;; amdgpu-corpus repo=ROCm/rocm-libraries kind=compiled arch=gfx1201 opt=O3
	.amdgcn_target "amdgcn-amd-amdhsa--gfx1201"
	.amdhsa_code_object_version 6
	.text
	.protected	naive_conv_ab_packed_fwd_nchw_float_double_float_0 ; -- Begin function naive_conv_ab_packed_fwd_nchw_float_double_float_0
	.globl	naive_conv_ab_packed_fwd_nchw_float_double_float_0
	.p2align	8
	.type	naive_conv_ab_packed_fwd_nchw_float_double_float_0,@function
naive_conv_ab_packed_fwd_nchw_float_double_float_0: ; @naive_conv_ab_packed_fwd_nchw_float_double_float_0
; %bb.0:
	s_load_b512 s[4:19], s[0:1], 0xa0
	s_mov_b32 s25, exec_lo
	s_wait_kmcnt 0x0
	s_abs_i32 s3, s7
	s_mul_i32 s33, s10, s9
	s_cvt_f32_u32 s2, s3
	s_delay_alu instid0(SALU_CYCLE_3) | instskip(NEXT) | instid1(TRANS32_DEP_1)
	v_rcp_iflag_f32_e32 v1, s2
	v_readfirstlane_b32 s2, v1
	s_mul_f32 s2, s2, 0x4f7ffffe
	s_wait_alu 0xfffe
	s_delay_alu instid0(SALU_CYCLE_2) | instskip(SKIP_2) | instid1(SALU_CYCLE_1)
	s_cvt_u32_f32 s20, s2
	s_sub_co_i32 s2, 0, s3
	s_wait_alu 0xfffe
	s_mul_i32 s2, s2, s20
	s_wait_alu 0xfffe
	s_mul_hi_u32 s21, s20, s2
	s_abs_i32 s2, ttmp9
	s_add_co_i32 s20, s20, s21
	s_wait_alu 0xfffe
	s_mul_hi_u32 s20, s2, s20
	s_delay_alu instid0(SALU_CYCLE_1) | instskip(SKIP_2) | instid1(SALU_CYCLE_1)
	s_mul_i32 s21, s20, s3
	s_add_co_i32 s22, s20, 1
	s_sub_co_i32 s21, s2, s21
	s_sub_co_i32 s23, s21, s3
	s_cmp_ge_u32 s21, s3
	s_cselect_b32 s20, s22, s20
	s_cselect_b32 s21, s23, s21
	s_add_co_i32 s22, s20, 1
	s_cmp_ge_u32 s21, s3
	s_mul_i32 s21, s7, s6
	s_cselect_b32 s22, s22, s20
	s_abs_i32 s20, s6
	s_abs_i32 s6, s21
	s_cvt_f32_u32 s3, s20
	s_cvt_f32_u32 s23, s6
	s_wait_alu 0xfffe
	s_delay_alu instid0(SALU_CYCLE_1) | instskip(NEXT) | instid1(SALU_CYCLE_1)
	v_rcp_iflag_f32_e32 v1, s3
	v_rcp_iflag_f32_e32 v2, s23
	s_mov_b32 s3, 0
	s_delay_alu instid0(TRANS32_DEP_2) | instskip(NEXT) | instid1(TRANS32_DEP_1)
	v_readfirstlane_b32 s24, v1
	v_readfirstlane_b32 s23, v2
	v_cmpx_gt_i32_e64 s33, v0
	s_cbranch_execz .LBB0_17
; %bb.1:
	s_mul_f32 s24, s24, 0x4f7ffffe
	s_ashr_i32 s26, ttmp9, 31
	s_ashr_i32 s37, s7, 31
	s_sub_co_i32 s25, 0, s20
	s_cvt_u32_f32 s24, s24
	s_xor_b32 s27, s26, s37
	s_mul_f32 s28, s23, 0x4f7ffffe
	s_xor_b32 s22, s22, s27
	s_mul_i32 s25, s25, s24
	s_wait_alu 0xfffe
	s_sub_co_i32 s27, s22, s27
	s_mul_hi_u32 s23, s24, s25
	s_cvt_u32_f32 s28, s28
	s_abs_i32 s22, s27
	s_wait_alu 0xfffe
	s_add_co_i32 s24, s24, s23
	s_mov_b32 s23, s3
	s_mov_b32 s25, s3
	s_sub_co_i32 s29, 0, s6
	s_wait_alu 0xfffe
	s_mul_u64 s[24:25], s[22:23], s[24:25]
	s_mul_i32 s29, s29, s28
	s_ashr_i32 s23, s27, 31
	s_mul_hi_u32 s24, s28, s29
	s_ashr_i32 s29, s21, 31
	s_mul_i32 s21, s25, s20
	s_mul_i32 s27, s27, s7
	s_sub_co_i32 s21, s22, s21
	s_add_co_i32 s24, s28, s24
	s_sub_co_i32 s38, ttmp9, s27
	s_sub_co_i32 s22, s21, s20
	s_cmp_ge_u32 s21, s20
	s_mov_b32 s25, s3
	s_wait_alu 0xfffe
	s_cselect_b32 s22, s22, s21
	s_mov_b32 s34, s8
	s_wait_alu 0xfffe
	s_sub_co_i32 s27, s22, s20
	s_cmp_ge_u32 s22, s20
	s_mul_u64 s[20:21], s[2:3], s[24:25]
	s_cselect_b32 s20, s27, s22
	s_xor_b32 s22, s26, s29
	s_xor_b32 s20, s20, s23
	s_mov_b32 s28, s4
	s_sub_co_i32 s40, s20, s23
	s_mul_i32 s20, s21, s6
	s_mov_b32 s30, s5
	s_sub_co_i32 s2, s2, s20
	s_add_co_i32 s20, s21, 1
	s_wait_alu 0xfffe
	s_sub_co_i32 s23, s2, s6
	s_cmp_ge_u32 s2, s6
	s_mov_b32 s36, s7
	s_cselect_b32 s20, s20, s21
	s_wait_alu 0xfffe
	s_cselect_b32 s2, s23, s2
	s_add_co_i32 s21, s20, 1
	s_wait_alu 0xfffe
	s_cmp_ge_u32 s2, s6
	s_mul_i32 s6, s19, s7
	s_cselect_b32 s2, s21, s20
	s_mul_i32 s20, s19, s8
	s_wait_alu 0xfffe
	s_xor_b32 s2, s2, s22
	s_ashr_i32 s41, s40, 31
	s_ashr_i32 s21, s20, 31
	s_wait_alu 0xfffe
	s_sub_co_i32 s42, s2, s22
	s_mul_u64 s[44:45], s[40:41], s[20:21]
	s_load_b256 s[20:27], s[0:1], 0x0
	s_ashr_i32 s43, s42, 31
	s_ashr_i32 s35, s8, 31
	;; [unrolled: 1-line block ×4, first 2 shown]
	s_mul_u64 s[4:5], s[42:43], s[34:35]
	s_mul_u64 s[46:47], s[30:31], s[28:29]
	s_add_nc_u64 s[4:5], s[4:5], s[44:45]
	s_ashr_i32 s7, s6, 31
	s_mul_u64 s[36:37], s[42:43], s[36:37]
	s_ashr_i32 s39, s38, 31
	s_mul_u64 s[44:45], s[46:47], s[4:5]
	s_mul_u64 s[6:7], s[40:41], s[6:7]
	s_ashr_i32 s41, s9, 31
	s_mov_b32 s40, s9
	s_ashr_i32 s5, s10, 31
	s_mov_b32 s4, s10
	s_add_nc_u64 s[36:37], s[36:37], s[38:39]
	s_mul_u64 s[40:41], s[4:5], s[40:41]
	s_add_nc_u64 s[42:43], s[36:37], s[6:7]
	s_lshl_b64 s[38:39], s[44:45], 2
	s_mul_u64 s[40:41], s[40:41], s[42:43]
	s_ashr_i32 s7, s17, 31
	s_ashr_i32 s19, s18, 31
	s_lshl_b64 s[40:41], s[40:41], 2
	s_cmp_gt_i32 s8, 0
	s_wait_kmcnt 0x0
	v_cmp_neq_f64_e64 s2, s[24:25], 1.0
	v_cmp_neq_f64_e64 s44, s[26:27], 0
	s_cselect_b32 s48, -1, 0
	s_cmp_gt_i32 s17, 0
	s_clause 0x1
	s_load_b64 s[42:43], s[0:1], 0x20
	s_load_b32 s45, s[0:1], 0xec
	s_cselect_b32 s49, -1, 0
	s_cmp_gt_i32 s18, 0
	s_add_nc_u64 s[8:9], s[20:21], s[38:39]
	s_cselect_b32 s50, -1, 0
	s_abs_i32 s10, s10
	v_mov_b32_e32 v2, 0
	s_cvt_f32_u32 s6, s10
	s_sub_co_i32 s38, 0, s10
	s_delay_alu instid0(SALU_CYCLE_2) | instskip(SKIP_3) | instid1(TRANS32_DEP_1)
	v_rcp_iflag_f32_e32 v1, s6
	s_mov_b32 s6, s17
	s_wait_kmcnt 0x0
	s_add_nc_u64 s[20:21], s[42:43], s[40:41]
	v_readfirstlane_b32 s0, v1
	s_mul_f32 s17, s0, 0x4f7ffffe
	s_wait_alu 0xfffe
	s_mul_u64 s[0:1], s[18:19], s[6:7]
	s_and_b32 s7, s45, 0xffff
	s_mul_u64 s[36:37], s[0:1], s[36:37]
	s_cvt_u32_f32 s17, s17
	s_mul_u64 s[36:37], s[36:37], s[34:35]
	s_delay_alu instid0(SALU_CYCLE_1) | instskip(NEXT) | instid1(SALU_CYCLE_1)
	s_lshl_b64 s[36:37], s[36:37], 2
	s_mul_i32 s38, s38, s17
	s_add_nc_u64 s[22:23], s[22:23], s[36:37]
	s_mul_hi_u32 s35, s17, s38
	s_lshl_b64 s[36:37], s[0:1], 2
	s_add_co_i32 s17, s17, s35
	s_or_b32 s35, s2, s44
	s_lshl_b64 s[38:39], s[18:19], 2
	s_mov_b32 s19, 0
	s_branch .LBB0_3
.LBB0_2:                                ;   in Loop: Header=BB0_3 Depth=1
	s_delay_alu instid0(VALU_DEP_1) | instskip(SKIP_1) | instid1(VALU_DEP_1)
	v_cvt_f32_f64_e32 v1, v[3:4]
	v_add_nc_u32_e32 v0, s7, v0
	v_cmp_le_i32_e32 vcc_lo, s33, v0
	s_or_b32 s19, vcc_lo, s19
	global_store_b32 v[5:6], v1, off
	s_and_not1_b32 exec_lo, exec_lo, s19
	s_cbranch_execz .LBB0_17
.LBB0_3:                                ; =>This Loop Header: Depth=1
                                        ;     Child Loop BB0_6 Depth 2
                                        ;       Child Loop BB0_9 Depth 3
                                        ;         Child Loop BB0_12 Depth 4
	v_sub_nc_u32_e32 v1, 0, v0
	s_delay_alu instid0(VALU_DEP_1) | instskip(NEXT) | instid1(VALU_DEP_1)
	v_max_i32_e32 v1, v0, v1
	v_mul_hi_u32 v3, v1, s17
	s_delay_alu instid0(VALU_DEP_1) | instskip(NEXT) | instid1(VALU_DEP_1)
	v_mul_lo_u32 v4, v3, s10
	v_sub_nc_u32_e32 v1, v1, v4
	s_delay_alu instid0(VALU_DEP_1) | instskip(SKIP_2) | instid1(VALU_DEP_2)
	v_subrev_nc_u32_e32 v5, s10, v1
	v_cmp_le_u32_e32 vcc_lo, s10, v1
	s_wait_alu 0xfffd
	v_dual_cndmask_b32 v1, v1, v5 :: v_dual_add_nc_u32 v4, 1, v3
	s_delay_alu instid0(VALU_DEP_1) | instskip(SKIP_1) | instid1(VALU_DEP_3)
	v_cndmask_b32_e32 v3, v3, v4, vcc_lo
	v_ashrrev_i32_e32 v4, 31, v0
	v_cmp_le_u32_e32 vcc_lo, s10, v1
	s_delay_alu instid0(VALU_DEP_3) | instskip(NEXT) | instid1(VALU_DEP_3)
	v_add_nc_u32_e32 v5, 1, v3
	v_xor_b32_e32 v4, s5, v4
	s_wait_alu 0xfffd
	s_delay_alu instid0(VALU_DEP_2) | instskip(SKIP_1) | instid1(VALU_DEP_1)
	v_cndmask_b32_e32 v1, v3, v5, vcc_lo
	s_and_not1_b32 vcc_lo, exec_lo, s48
	v_xor_b32_e32 v1, v1, v4
	s_delay_alu instid0(VALU_DEP_1) | instskip(NEXT) | instid1(VALU_DEP_1)
	v_sub_nc_u32_e32 v7, v1, v4
	v_mul_lo_u32 v1, v7, s4
	s_delay_alu instid0(VALU_DEP_1)
	v_sub_nc_u32_e32 v5, v0, v1
	s_wait_alu 0xfffe
	s_cbranch_vccnz .LBB0_14
; %bb.4:                                ;   in Loop: Header=BB0_3 Depth=1
	v_mul_lo_u32 v1, v7, s11
	s_delay_alu instid0(VALU_DEP_2) | instskip(SKIP_4) | instid1(VALU_DEP_4)
	v_mul_lo_u32 v8, v5, s12
	v_mov_b32_e32 v3, 0
	v_mov_b32_e32 v4, 0
	s_mov_b32 s2, 0
	s_mov_b64 s[40:41], s[22:23]
	v_subrev_nc_u32_e32 v6, s15, v1
	s_delay_alu instid0(VALU_DEP_4)
	v_subrev_nc_u32_e32 v8, s16, v8
	s_branch .LBB0_6
.LBB0_5:                                ;   in Loop: Header=BB0_6 Depth=2
	s_add_co_i32 s2, s2, 1
	s_add_nc_u64 s[40:41], s[40:41], s[36:37]
	s_wait_alu 0xfffe
	s_cmp_eq_u32 s2, s34
	s_cbranch_scc1 .LBB0_15
.LBB0_6:                                ;   Parent Loop BB0_3 Depth=1
                                        ; =>  This Loop Header: Depth=2
                                        ;       Child Loop BB0_9 Depth 3
                                        ;         Child Loop BB0_12 Depth 4
	s_and_not1_b32 vcc_lo, exec_lo, s49
	s_wait_alu 0xfffe
	s_cbranch_vccnz .LBB0_5
; %bb.7:                                ;   in Loop: Header=BB0_6 Depth=2
	s_mul_u64 s[42:43], s[2:3], s[28:29]
	s_mov_b32 s51, 0
	s_mov_b64 s[44:45], s[40:41]
	s_branch .LBB0_9
.LBB0_8:                                ;   in Loop: Header=BB0_9 Depth=3
	s_add_co_i32 s51, s51, 1
	s_add_nc_u64 s[44:45], s[44:45], s[38:39]
	s_wait_alu 0xfffe
	s_cmp_eq_u32 s51, s6
	s_cbranch_scc1 .LBB0_5
.LBB0_9:                                ;   Parent Loop BB0_3 Depth=1
                                        ;     Parent Loop BB0_6 Depth=2
                                        ; =>    This Loop Header: Depth=3
                                        ;         Child Loop BB0_12 Depth 4
	s_and_not1_b32 vcc_lo, exec_lo, s50
	s_wait_alu 0xfffe
	s_cbranch_vccnz .LBB0_8
; %bb.10:                               ;   in Loop: Header=BB0_9 Depth=3
	v_mad_co_u64_u32 v[9:10], null, s51, s13, v[6:7]
	s_mov_b64 s[46:47], s[44:45]
	s_mov_b32 s52, s18
	v_add_co_u32 v1, s0, s42, v9
	s_wait_alu 0xf1ff
	v_add_co_ci_u32_e64 v10, null, s43, 0, s0
	v_cmp_gt_i32_e32 vcc_lo, 0, v9
	s_delay_alu instid0(VALU_DEP_3) | instskip(SKIP_1) | instid1(VALU_DEP_4)
	v_mul_lo_u32 v13, v1, s31
	v_cmp_le_i32_e64 s0, s28, v9
	v_mul_lo_u32 v12, v10, s30
	v_mad_co_u64_u32 v[10:11], null, v1, s30, 0
	v_mov_b32_e32 v1, v8
	s_delay_alu instid0(VALU_DEP_2) | instskip(NEXT) | instid1(VALU_DEP_1)
	v_add3_u32 v11, v11, v13, v12
	v_lshlrev_b64_e32 v[10:11], 2, v[10:11]
	s_delay_alu instid0(VALU_DEP_1) | instskip(SKIP_1) | instid1(VALU_DEP_2)
	v_add_co_u32 v9, s1, s8, v10
	s_wait_alu 0xf1ff
	v_add_co_ci_u32_e64 v10, null, s9, v11, s1
	s_or_b32 s1, vcc_lo, s0
	s_branch .LBB0_12
.LBB0_11:                               ;   in Loop: Header=BB0_12 Depth=4
	s_wait_alu 0xfffe
	s_or_b32 exec_lo, exec_lo, s0
	v_add_nc_u32_e32 v1, s14, v1
	s_add_co_i32 s52, s52, -1
	s_add_nc_u64 s[46:47], s[46:47], 4
	s_wait_alu 0xfffe
	s_cmp_eq_u32 s52, 0
	s_cbranch_scc1 .LBB0_8
.LBB0_12:                               ;   Parent Loop BB0_3 Depth=1
                                        ;     Parent Loop BB0_6 Depth=2
                                        ;       Parent Loop BB0_9 Depth=3
                                        ; =>      This Inner Loop Header: Depth=4
	v_cmp_gt_i32_e32 vcc_lo, 0, v1
	v_cmp_le_i32_e64 s0, s30, v1
	s_or_b32 s0, vcc_lo, s0
	s_wait_alu 0xfffe
	s_nor_b32 s53, s1, s0
	s_wait_alu 0xfffe
	s_and_saveexec_b32 s0, s53
	s_cbranch_execz .LBB0_11
; %bb.13:                               ;   in Loop: Header=BB0_12 Depth=4
	v_lshlrev_b64_e32 v[11:12], 2, v[1:2]
	s_load_b32 s53, s[46:47], 0x0
	s_delay_alu instid0(VALU_DEP_1) | instskip(SKIP_1) | instid1(VALU_DEP_2)
	v_add_co_u32 v11, vcc_lo, v9, v11
	s_wait_alu 0xfffd
	v_add_co_ci_u32_e64 v12, null, v10, v12, vcc_lo
	global_load_b32 v11, v[11:12], off
	s_wait_kmcnt 0x0
	v_cvt_f64_f32_e32 v[13:14], s53
	s_wait_loadcnt 0x0
	v_cvt_f64_f32_e32 v[11:12], v11
	s_delay_alu instid0(VALU_DEP_1)
	v_fma_f64 v[3:4], v[11:12], v[13:14], v[3:4]
	s_branch .LBB0_11
.LBB0_14:                               ;   in Loop: Header=BB0_3 Depth=1
	v_mov_b32_e32 v3, 0
	v_mov_b32_e32 v4, 0
.LBB0_15:                               ;   in Loop: Header=BB0_3 Depth=1
	v_mad_co_i64_i32 v[7:8], null, v7, s4, 0
	v_ashrrev_i32_e32 v6, 31, v5
	s_delay_alu instid0(VALU_DEP_1) | instskip(NEXT) | instid1(VALU_DEP_3)
	v_lshlrev_b64_e32 v[5:6], 2, v[5:6]
	v_lshlrev_b64_e32 v[7:8], 2, v[7:8]
	s_delay_alu instid0(VALU_DEP_1) | instskip(SKIP_1) | instid1(VALU_DEP_2)
	v_add_co_u32 v1, vcc_lo, s20, v7
	s_wait_alu 0xfffd
	v_add_co_ci_u32_e64 v7, null, s21, v8, vcc_lo
	s_delay_alu instid0(VALU_DEP_2) | instskip(SKIP_1) | instid1(VALU_DEP_2)
	v_add_co_u32 v5, vcc_lo, v1, v5
	s_wait_alu 0xfffd
	v_add_co_ci_u32_e64 v6, null, v7, v6, vcc_lo
	s_and_not1_b32 vcc_lo, exec_lo, s35
	s_wait_alu 0xfffe
	s_cbranch_vccnz .LBB0_2
; %bb.16:                               ;   in Loop: Header=BB0_3 Depth=1
	global_load_b32 v1, v[5:6], off
	s_wait_loadcnt 0x0
	v_cvt_f64_f32_e32 v[7:8], v1
	s_delay_alu instid0(VALU_DEP_1) | instskip(NEXT) | instid1(VALU_DEP_1)
	v_mul_f64_e32 v[7:8], s[26:27], v[7:8]
	v_fma_f64 v[3:4], s[24:25], v[3:4], v[7:8]
	s_branch .LBB0_2
.LBB0_17:
	s_endpgm
	.section	.rodata,"a",@progbits
	.p2align	6, 0x0
	.amdhsa_kernel naive_conv_ab_packed_fwd_nchw_float_double_float_0
		.amdhsa_group_segment_fixed_size 0
		.amdhsa_private_segment_fixed_size 0
		.amdhsa_kernarg_size 480
		.amdhsa_user_sgpr_count 2
		.amdhsa_user_sgpr_dispatch_ptr 0
		.amdhsa_user_sgpr_queue_ptr 0
		.amdhsa_user_sgpr_kernarg_segment_ptr 1
		.amdhsa_user_sgpr_dispatch_id 0
		.amdhsa_user_sgpr_private_segment_size 0
		.amdhsa_wavefront_size32 1
		.amdhsa_uses_dynamic_stack 0
		.amdhsa_enable_private_segment 0
		.amdhsa_system_sgpr_workgroup_id_x 1
		.amdhsa_system_sgpr_workgroup_id_y 0
		.amdhsa_system_sgpr_workgroup_id_z 0
		.amdhsa_system_sgpr_workgroup_info 0
		.amdhsa_system_vgpr_workitem_id 0
		.amdhsa_next_free_vgpr 15
		.amdhsa_next_free_sgpr 54
		.amdhsa_reserve_vcc 1
		.amdhsa_float_round_mode_32 0
		.amdhsa_float_round_mode_16_64 0
		.amdhsa_float_denorm_mode_32 3
		.amdhsa_float_denorm_mode_16_64 3
		.amdhsa_fp16_overflow 0
		.amdhsa_workgroup_processor_mode 1
		.amdhsa_memory_ordered 1
		.amdhsa_forward_progress 1
		.amdhsa_inst_pref_size 12
		.amdhsa_round_robin_scheduling 0
		.amdhsa_exception_fp_ieee_invalid_op 0
		.amdhsa_exception_fp_denorm_src 0
		.amdhsa_exception_fp_ieee_div_zero 0
		.amdhsa_exception_fp_ieee_overflow 0
		.amdhsa_exception_fp_ieee_underflow 0
		.amdhsa_exception_fp_ieee_inexact 0
		.amdhsa_exception_int_div_zero 0
	.end_amdhsa_kernel
	.text
.Lfunc_end0:
	.size	naive_conv_ab_packed_fwd_nchw_float_double_float_0, .Lfunc_end0-naive_conv_ab_packed_fwd_nchw_float_double_float_0
                                        ; -- End function
	.set naive_conv_ab_packed_fwd_nchw_float_double_float_0.num_vgpr, 15
	.set naive_conv_ab_packed_fwd_nchw_float_double_float_0.num_agpr, 0
	.set naive_conv_ab_packed_fwd_nchw_float_double_float_0.numbered_sgpr, 54
	.set naive_conv_ab_packed_fwd_nchw_float_double_float_0.num_named_barrier, 0
	.set naive_conv_ab_packed_fwd_nchw_float_double_float_0.private_seg_size, 0
	.set naive_conv_ab_packed_fwd_nchw_float_double_float_0.uses_vcc, 1
	.set naive_conv_ab_packed_fwd_nchw_float_double_float_0.uses_flat_scratch, 0
	.set naive_conv_ab_packed_fwd_nchw_float_double_float_0.has_dyn_sized_stack, 0
	.set naive_conv_ab_packed_fwd_nchw_float_double_float_0.has_recursion, 0
	.set naive_conv_ab_packed_fwd_nchw_float_double_float_0.has_indirect_call, 0
	.section	.AMDGPU.csdata,"",@progbits
; Kernel info:
; codeLenInByte = 1504
; TotalNumSgprs: 56
; NumVgprs: 15
; ScratchSize: 0
; MemoryBound: 0
; FloatMode: 240
; IeeeMode: 1
; LDSByteSize: 0 bytes/workgroup (compile time only)
; SGPRBlocks: 0
; VGPRBlocks: 1
; NumSGPRsForWavesPerEU: 56
; NumVGPRsForWavesPerEU: 15
; Occupancy: 16
; WaveLimiterHint : 0
; COMPUTE_PGM_RSRC2:SCRATCH_EN: 0
; COMPUTE_PGM_RSRC2:USER_SGPR: 2
; COMPUTE_PGM_RSRC2:TRAP_HANDLER: 0
; COMPUTE_PGM_RSRC2:TGID_X_EN: 1
; COMPUTE_PGM_RSRC2:TGID_Y_EN: 0
; COMPUTE_PGM_RSRC2:TGID_Z_EN: 0
; COMPUTE_PGM_RSRC2:TIDIG_COMP_CNT: 0
	.text
	.protected	naive_conv_ab_nonpacked_fwd_nchw_float_double_float_0 ; -- Begin function naive_conv_ab_nonpacked_fwd_nchw_float_double_float_0
	.globl	naive_conv_ab_nonpacked_fwd_nchw_float_double_float_0
	.p2align	8
	.type	naive_conv_ab_nonpacked_fwd_nchw_float_double_float_0,@function
naive_conv_ab_nonpacked_fwd_nchw_float_double_float_0: ; @naive_conv_ab_nonpacked_fwd_nchw_float_double_float_0
; %bb.0:
	s_load_b256 s[20:27], s[0:1], 0xa0
	s_mov_b32 s9, exec_lo
	s_wait_kmcnt 0x0
	s_abs_i32 s3, s23
	s_mul_i32 s25, s26, s25
	s_cvt_f32_u32 s2, s3
	s_delay_alu instid0(SALU_CYCLE_3) | instskip(NEXT) | instid1(TRANS32_DEP_1)
	v_rcp_iflag_f32_e32 v1, s2
	v_readfirstlane_b32 s2, v1
	s_mul_f32 s2, s2, 0x4f7ffffe
	s_wait_alu 0xfffe
	s_delay_alu instid0(SALU_CYCLE_2) | instskip(SKIP_2) | instid1(SALU_CYCLE_1)
	s_cvt_u32_f32 s4, s2
	s_sub_co_i32 s2, 0, s3
	s_wait_alu 0xfffe
	s_mul_i32 s2, s2, s4
	s_wait_alu 0xfffe
	s_mul_hi_u32 s5, s4, s2
	s_abs_i32 s2, ttmp9
	s_add_co_i32 s4, s4, s5
	s_wait_alu 0xfffe
	s_mul_hi_u32 s4, s2, s4
	s_delay_alu instid0(SALU_CYCLE_1) | instskip(SKIP_2) | instid1(SALU_CYCLE_1)
	s_mul_i32 s5, s4, s3
	s_add_co_i32 s6, s4, 1
	s_sub_co_i32 s5, s2, s5
	s_sub_co_i32 s7, s5, s3
	s_cmp_ge_u32 s5, s3
	s_cselect_b32 s4, s6, s4
	s_cselect_b32 s5, s7, s5
	s_add_co_i32 s6, s4, 1
	s_cmp_ge_u32 s5, s3
	s_mul_i32 s5, s23, s22
	s_cselect_b32 s6, s6, s4
	s_abs_i32 s4, s22
	s_abs_i32 s22, s5
	s_cvt_f32_u32 s3, s4
	s_cvt_f32_u32 s7, s22
	s_wait_alu 0xfffe
	s_delay_alu instid0(SALU_CYCLE_1) | instskip(NEXT) | instid1(SALU_CYCLE_1)
	v_rcp_iflag_f32_e32 v1, s3
	v_rcp_iflag_f32_e32 v2, s7
	s_mov_b32 s3, 0
	s_delay_alu instid0(TRANS32_DEP_2) | instskip(NEXT) | instid1(TRANS32_DEP_1)
	v_readfirstlane_b32 s8, v1
	v_readfirstlane_b32 s7, v2
	v_cmpx_gt_i32_e64 s25, v0
	s_cbranch_execz .LBB1_17
; %bb.1:
	s_mul_f32 s8, s8, 0x4f7ffffe
	s_ashr_i32 s33, ttmp9, 31
	s_ashr_i32 s9, s23, 31
	s_sub_co_i32 s10, 0, s4
	s_cvt_u32_f32 s8, s8
	s_xor_b32 s9, s33, s9
	s_mul_f32 s11, s7, 0x4f7ffffe
	s_xor_b32 s6, s6, s9
	s_mul_i32 s10, s10, s8
	s_wait_alu 0xfffe
	s_sub_co_i32 s12, s6, s9
	s_mul_hi_u32 s7, s8, s10
	s_abs_i32 s6, s12
	s_wait_alu 0xfffe
	s_add_co_i32 s8, s8, s7
	s_mov_b32 s7, s3
	s_cvt_u32_f32 s10, s11
	s_mov_b32 s9, s3
	s_sub_co_i32 s11, 0, s22
	s_wait_alu 0xfffe
	s_mul_u64 s[8:9], s[6:7], s[8:9]
	s_mul_i32 s11, s11, s10
	s_ashr_i32 s38, s5, 31
	s_mul_i32 s5, s9, s4
	s_ashr_i32 s35, s12, 31
	s_mul_hi_u32 s7, s10, s11
	s_mul_i32 s12, s12, s23
	s_sub_co_i32 s5, s6, s5
	s_wait_alu 0xfffe
	s_add_co_i32 s8, s10, s7
	s_sub_co_i32 s34, ttmp9, s12
	s_sub_co_i32 s6, s5, s4
	s_cmp_ge_u32 s5, s4
	s_mov_b32 s9, s3
	s_wait_alu 0xfffe
	s_cselect_b32 s5, s6, s5
	s_mul_u64 s[36:37], s[2:3], s[8:9]
	s_sub_co_i32 s6, s5, s4
	s_cmp_ge_u32 s5, s4
	s_clause 0x1
	s_load_b64 s[52:53], s[0:1], 0x98
	s_load_b128 s[28:31], s[0:1], 0x88
	s_cselect_b32 s23, s6, s5
	s_load_b512 s[4:19], s[0:1], 0x28
	s_xor_b32 s23, s23, s35
	s_xor_b32 s33, s33, s38
	s_sub_co_i32 s54, s23, s35
	s_mul_i32 s23, s37, s22
	s_load_b256 s[44:51], s[0:1], 0x0
	s_sub_co_i32 s2, s2, s23
	s_add_co_i32 s23, s37, 1
	s_wait_alu 0xfffe
	s_sub_co_i32 s35, s2, s22
	s_cmp_ge_u32 s2, s22
	s_load_b64 s[64:65], s[0:1], 0x20
	s_cselect_b32 s23, s23, s37
	s_load_b256 s[36:43], s[0:1], 0xc0
	s_cselect_b32 s2, s35, s2
	s_add_co_i32 s35, s23, 1
	s_wait_alu 0xfffe
	s_cmp_ge_u32 s2, s22
	s_load_b32 s68, s[0:1], 0xec
	s_cselect_b32 s2, s35, s23
	s_ashr_i32 s55, s54, 31
	s_wait_alu 0xfffe
	s_xor_b32 s2, s2, s33
	s_ashr_i32 s35, s34, 31
	s_wait_alu 0xfffe
	s_sub_co_i32 s22, s2, s33
	s_wait_kmcnt 0x0
	s_mul_u64 s[12:13], s[12:13], s[54:55]
	s_ashr_i32 s23, s22, 31
	s_mul_u64 s[52:53], s[52:53], s[54:55]
	s_mul_u64 s[10:11], s[10:11], s[22:23]
	s_mul_u64 s[30:31], s[30:31], s[22:23]
	s_mul_u64 s[28:29], s[28:29], s[34:35]
	s_lshl_b64 s[12:13], s[12:13], 2
	s_lshl_b64 s[10:11], s[10:11], 2
	;; [unrolled: 1-line block ×5, first 2 shown]
	s_cmp_gt_i32 s24, 0
	v_cmp_neq_f64_e64 s66, s[48:49], 1.0
	s_cselect_b32 s33, -1, 0
	s_cmp_gt_i32 s41, 0
	v_cmp_neq_f64_e64 s67, s[50:51], 0
	s_cselect_b32 s43, -1, 0
	s_cmp_gt_i32 s42, 0
	s_load_b256 s[52:59], s[0:1], 0x68
	s_cselect_b32 s60, -1, 0
	s_abs_i32 s61, s26
	s_add_nc_u64 s[0:1], s[44:45], s[12:13]
	s_cvt_f32_u32 s2, s61
	s_add_nc_u64 s[12:13], s[64:65], s[62:63]
	s_add_nc_u64 s[10:11], s[0:1], s[10:11]
	;; [unrolled: 1-line block ×3, first 2 shown]
	s_wait_alu 0xfffe
	v_rcp_iflag_f32_e32 v1, s2
	s_sub_co_i32 s0, 0, s61
	s_add_nc_u64 s[12:13], s[12:13], s[28:29]
	s_and_b32 s62, s68, 0xffff
	s_ashr_i32 s63, s26, 31
	s_lshl_b64 s[18:19], s[18:19], 2
	s_lshl_b64 s[16:17], s[16:17], 2
	;; [unrolled: 1-line block ×3, first 2 shown]
	s_delay_alu instid0(TRANS32_DEP_1) | instskip(SKIP_2) | instid1(SALU_CYCLE_1)
	v_readfirstlane_b32 s2, v1
	s_wait_kmcnt 0x0
	s_mul_u64 s[22:23], s[54:55], s[22:23]
	s_lshl_b64 s[22:23], s[22:23], 2
	s_mul_f32 s2, s2, 0x4f7ffffe
	s_wait_alu 0xfffe
	s_delay_alu instid0(SALU_CYCLE_2) | instskip(SKIP_1) | instid1(SALU_CYCLE_2)
	s_cvt_u32_f32 s2, s2
	s_wait_alu 0xfffe
	s_mul_i32 s28, s0, s2
	s_mul_u64 s[0:1], s[52:53], s[34:35]
	s_mul_hi_u32 s28, s2, s28
	s_lshl_b64 s[0:1], s[0:1], 2
	s_add_co_i32 s52, s2, s28
	s_add_nc_u64 s[0:1], s[0:1], s[22:23]
	s_delay_alu instid0(SALU_CYCLE_1)
	s_add_nc_u64 s[22:23], s[46:47], s[0:1]
	s_or_b32 s46, s66, s67
	s_mov_b32 s47, 0
	s_branch .LBB1_3
.LBB1_2:                                ;   in Loop: Header=BB1_3 Depth=1
	s_delay_alu instid0(VALU_DEP_1) | instskip(SKIP_1) | instid1(VALU_DEP_1)
	v_cvt_f32_f64_e32 v1, v[1:2]
	v_add_nc_u32_e32 v0, s62, v0
	v_cmp_le_i32_e32 vcc_lo, s25, v0
	s_or_b32 s47, vcc_lo, s47
	global_store_b32 v[3:4], v1, off
	s_and_not1_b32 exec_lo, exec_lo, s47
	s_cbranch_execz .LBB1_17
.LBB1_3:                                ; =>This Loop Header: Depth=1
                                        ;     Child Loop BB1_6 Depth 2
                                        ;       Child Loop BB1_9 Depth 3
                                        ;         Child Loop BB1_12 Depth 4
	v_sub_nc_u32_e32 v1, 0, v0
	s_delay_alu instid0(VALU_DEP_1) | instskip(NEXT) | instid1(VALU_DEP_1)
	v_max_i32_e32 v1, v0, v1
	v_mul_hi_u32 v2, v1, s52
	s_delay_alu instid0(VALU_DEP_1) | instskip(NEXT) | instid1(VALU_DEP_1)
	v_mul_lo_u32 v3, v2, s61
	v_sub_nc_u32_e32 v1, v1, v3
	v_add_nc_u32_e32 v3, 1, v2
	s_delay_alu instid0(VALU_DEP_2) | instskip(SKIP_2) | instid1(VALU_DEP_2)
	v_subrev_nc_u32_e32 v4, s61, v1
	v_cmp_le_u32_e32 vcc_lo, s61, v1
	s_wait_alu 0xfffd
	v_dual_cndmask_b32 v2, v2, v3 :: v_dual_cndmask_b32 v1, v1, v4
	v_ashrrev_i32_e32 v3, 31, v0
	s_delay_alu instid0(VALU_DEP_2) | instskip(NEXT) | instid1(VALU_DEP_3)
	v_add_nc_u32_e32 v4, 1, v2
	v_cmp_le_u32_e32 vcc_lo, s61, v1
	s_delay_alu instid0(VALU_DEP_3) | instskip(SKIP_1) | instid1(VALU_DEP_3)
	v_xor_b32_e32 v3, s63, v3
	s_wait_alu 0xfffd
	v_cndmask_b32_e32 v1, v2, v4, vcc_lo
	s_and_not1_b32 vcc_lo, exec_lo, s33
	s_delay_alu instid0(VALU_DEP_1) | instskip(NEXT) | instid1(VALU_DEP_1)
	v_xor_b32_e32 v1, v1, v3
	v_sub_nc_u32_e32 v5, v1, v3
	s_delay_alu instid0(VALU_DEP_1) | instskip(NEXT) | instid1(VALU_DEP_1)
	v_mul_lo_u32 v1, v5, s26
	v_sub_nc_u32_e32 v4, v0, v1
	s_wait_alu 0xfffe
	s_cbranch_vccnz .LBB1_14
; %bb.4:                                ;   in Loop: Header=BB1_3 Depth=1
	v_mul_lo_u32 v3, v5, s27
	s_delay_alu instid0(VALU_DEP_2) | instskip(SKIP_4) | instid1(VALU_DEP_4)
	v_mul_lo_u32 v6, v4, s36
	v_mov_b32_e32 v1, 0
	v_mov_b32_e32 v2, 0
	s_mov_b32 s2, 0
	s_mov_b64 s[28:29], s[22:23]
	v_subrev_nc_u32_e32 v3, s39, v3
	s_delay_alu instid0(VALU_DEP_4)
	v_subrev_nc_u32_e32 v6, s40, v6
	s_branch .LBB1_6
.LBB1_5:                                ;   in Loop: Header=BB1_6 Depth=2
	s_add_co_i32 s2, s2, 1
	s_add_nc_u64 s[28:29], s[28:29], s[18:19]
	s_wait_alu 0xfffe
	s_cmp_eq_u32 s2, s24
	s_cbranch_scc1 .LBB1_15
.LBB1_6:                                ;   Parent Loop BB1_3 Depth=1
                                        ; =>  This Loop Header: Depth=2
                                        ;       Child Loop BB1_9 Depth 3
                                        ;         Child Loop BB1_12 Depth 4
	s_and_not1_b32 vcc_lo, exec_lo, s43
	s_wait_alu 0xfffe
	s_cbranch_vccnz .LBB1_5
; %bb.7:                                ;   in Loop: Header=BB1_6 Depth=2
	s_mul_u64 s[0:1], s[8:9], s[2:3]
	s_mov_b32 s53, 0
	s_wait_alu 0xfffe
	s_lshl_b64 s[0:1], s[0:1], 2
	s_mov_b64 s[34:35], s[28:29]
	s_wait_alu 0xfffe
	s_add_nc_u64 s[30:31], s[10:11], s[0:1]
	s_branch .LBB1_9
.LBB1_8:                                ;   in Loop: Header=BB1_9 Depth=3
	s_add_co_i32 s53, s53, 1
	s_add_nc_u64 s[34:35], s[34:35], s[16:17]
	s_wait_alu 0xfffe
	s_cmp_eq_u32 s53, s41
	s_cbranch_scc1 .LBB1_5
.LBB1_9:                                ;   Parent Loop BB1_3 Depth=1
                                        ;     Parent Loop BB1_6 Depth=2
                                        ; =>    This Loop Header: Depth=3
                                        ;         Child Loop BB1_12 Depth 4
	s_and_not1_b32 vcc_lo, exec_lo, s60
	s_wait_alu 0xfffe
	s_cbranch_vccnz .LBB1_8
; %bb.10:                               ;   in Loop: Header=BB1_9 Depth=3
	v_mad_co_u64_u32 v[7:8], null, s53, s37, v[3:4]
	s_mov_b64 s[44:45], s[34:35]
	s_mov_b32 s54, s42
	v_mad_co_u64_u32 v[8:9], null, s6, v7, 0
	v_cmp_gt_i32_e32 vcc_lo, 0, v7
	v_cmp_le_i32_e64 s0, s20, v7
	s_delay_alu instid0(VALU_DEP_3) | instskip(NEXT) | instid1(VALU_DEP_1)
	v_mad_co_u64_u32 v[9:10], null, s7, v7, v[9:10]
	v_lshlrev_b64_e32 v[8:9], 2, v[8:9]
	s_delay_alu instid0(VALU_DEP_1) | instskip(SKIP_1) | instid1(VALU_DEP_2)
	v_add_co_u32 v7, s1, s30, v8
	s_wait_alu 0xf1ff
	v_add_co_ci_u32_e64 v8, null, s31, v9, s1
	v_mov_b32_e32 v9, v6
	s_or_b32 s1, vcc_lo, s0
	s_branch .LBB1_12
.LBB1_11:                               ;   in Loop: Header=BB1_12 Depth=4
	s_wait_alu 0xfffe
	s_or_b32 exec_lo, exec_lo, s0
	v_add_nc_u32_e32 v9, s38, v9
	s_add_co_i32 s54, s54, -1
	s_add_nc_u64 s[44:45], s[44:45], s[14:15]
	s_wait_alu 0xfffe
	s_cmp_eq_u32 s54, 0
	s_cbranch_scc1 .LBB1_8
.LBB1_12:                               ;   Parent Loop BB1_3 Depth=1
                                        ;     Parent Loop BB1_6 Depth=2
                                        ;       Parent Loop BB1_9 Depth=3
                                        ; =>      This Inner Loop Header: Depth=4
	s_delay_alu instid0(VALU_DEP_1)
	v_cmp_gt_i32_e32 vcc_lo, 0, v9
	v_cmp_le_i32_e64 s0, s21, v9
	s_or_b32 s0, vcc_lo, s0
	s_wait_alu 0xfffe
	s_nor_b32 s55, s1, s0
	s_wait_alu 0xfffe
	s_and_saveexec_b32 s0, s55
	s_cbranch_execz .LBB1_11
; %bb.13:                               ;   in Loop: Header=BB1_12 Depth=4
	v_mad_co_u64_u32 v[10:11], null, s4, v9, 0
	s_load_b32 s55, s[44:45], 0x0
	v_mad_co_u64_u32 v[11:12], null, s5, v9, v[11:12]
	s_delay_alu instid0(VALU_DEP_1) | instskip(SKIP_2) | instid1(VALU_DEP_2)
	v_lshlrev_b64_e32 v[10:11], 2, v[10:11]
	s_wait_kmcnt 0x0
	v_cvt_f64_f32_e32 v[12:13], s55
	v_add_co_u32 v10, vcc_lo, v7, v10
	s_wait_alu 0xfffd
	s_delay_alu instid0(VALU_DEP_3) | instskip(SKIP_3) | instid1(VALU_DEP_1)
	v_add_co_ci_u32_e64 v11, null, v8, v11, vcc_lo
	global_load_b32 v10, v[10:11], off
	s_wait_loadcnt 0x0
	v_cvt_f64_f32_e32 v[10:11], v10
	v_fma_f64 v[1:2], v[10:11], v[12:13], v[1:2]
	s_branch .LBB1_11
.LBB1_14:                               ;   in Loop: Header=BB1_3 Depth=1
	v_mov_b32_e32 v1, 0
	v_mov_b32_e32 v2, 0
.LBB1_15:                               ;   in Loop: Header=BB1_3 Depth=1
	v_ashrrev_i32_e32 v3, 31, v5
	v_mul_lo_u32 v7, s59, v5
	v_mad_co_u64_u32 v[5:6], null, s58, v5, 0
	v_ashrrev_i32_e32 v8, 31, v4
	s_delay_alu instid0(VALU_DEP_4) | instskip(SKIP_2) | instid1(VALU_DEP_4)
	v_mul_lo_u32 v9, s58, v3
	v_mul_lo_u32 v10, s57, v4
	v_mad_co_u64_u32 v[3:4], null, s56, v4, 0
	v_mul_lo_u32 v8, s56, v8
	s_delay_alu instid0(VALU_DEP_4) | instskip(NEXT) | instid1(VALU_DEP_2)
	v_add3_u32 v6, v6, v9, v7
	v_add3_u32 v4, v4, v8, v10
	s_delay_alu instid0(VALU_DEP_2) | instskip(NEXT) | instid1(VALU_DEP_2)
	v_lshlrev_b64_e32 v[5:6], 2, v[5:6]
	v_lshlrev_b64_e32 v[3:4], 2, v[3:4]
	s_delay_alu instid0(VALU_DEP_2) | instskip(SKIP_1) | instid1(VALU_DEP_3)
	v_add_co_u32 v5, vcc_lo, s12, v5
	s_wait_alu 0xfffd
	v_add_co_ci_u32_e64 v6, null, s13, v6, vcc_lo
	s_delay_alu instid0(VALU_DEP_2) | instskip(SKIP_1) | instid1(VALU_DEP_2)
	v_add_co_u32 v3, vcc_lo, v5, v3
	s_wait_alu 0xfffd
	v_add_co_ci_u32_e64 v4, null, v6, v4, vcc_lo
	s_and_not1_b32 vcc_lo, exec_lo, s46
	s_wait_alu 0xfffe
	s_cbranch_vccnz .LBB1_2
; %bb.16:                               ;   in Loop: Header=BB1_3 Depth=1
	global_load_b32 v5, v[3:4], off
	s_wait_loadcnt 0x0
	v_cvt_f64_f32_e32 v[5:6], v5
	s_delay_alu instid0(VALU_DEP_1) | instskip(NEXT) | instid1(VALU_DEP_1)
	v_mul_f64_e32 v[5:6], s[50:51], v[5:6]
	v_fma_f64 v[1:2], s[48:49], v[1:2], v[5:6]
	s_branch .LBB1_2
.LBB1_17:
	s_endpgm
	.section	.rodata,"a",@progbits
	.p2align	6, 0x0
	.amdhsa_kernel naive_conv_ab_nonpacked_fwd_nchw_float_double_float_0
		.amdhsa_group_segment_fixed_size 0
		.amdhsa_private_segment_fixed_size 0
		.amdhsa_kernarg_size 480
		.amdhsa_user_sgpr_count 2
		.amdhsa_user_sgpr_dispatch_ptr 0
		.amdhsa_user_sgpr_queue_ptr 0
		.amdhsa_user_sgpr_kernarg_segment_ptr 1
		.amdhsa_user_sgpr_dispatch_id 0
		.amdhsa_user_sgpr_private_segment_size 0
		.amdhsa_wavefront_size32 1
		.amdhsa_uses_dynamic_stack 0
		.amdhsa_enable_private_segment 0
		.amdhsa_system_sgpr_workgroup_id_x 1
		.amdhsa_system_sgpr_workgroup_id_y 0
		.amdhsa_system_sgpr_workgroup_id_z 0
		.amdhsa_system_sgpr_workgroup_info 0
		.amdhsa_system_vgpr_workitem_id 0
		.amdhsa_next_free_vgpr 14
		.amdhsa_next_free_sgpr 69
		.amdhsa_reserve_vcc 1
		.amdhsa_float_round_mode_32 0
		.amdhsa_float_round_mode_16_64 0
		.amdhsa_float_denorm_mode_32 3
		.amdhsa_float_denorm_mode_16_64 3
		.amdhsa_fp16_overflow 0
		.amdhsa_workgroup_processor_mode 1
		.amdhsa_memory_ordered 1
		.amdhsa_forward_progress 1
		.amdhsa_inst_pref_size 13
		.amdhsa_round_robin_scheduling 0
		.amdhsa_exception_fp_ieee_invalid_op 0
		.amdhsa_exception_fp_denorm_src 0
		.amdhsa_exception_fp_ieee_div_zero 0
		.amdhsa_exception_fp_ieee_overflow 0
		.amdhsa_exception_fp_ieee_underflow 0
		.amdhsa_exception_fp_ieee_inexact 0
		.amdhsa_exception_int_div_zero 0
	.end_amdhsa_kernel
	.text
.Lfunc_end1:
	.size	naive_conv_ab_nonpacked_fwd_nchw_float_double_float_0, .Lfunc_end1-naive_conv_ab_nonpacked_fwd_nchw_float_double_float_0
                                        ; -- End function
	.set naive_conv_ab_nonpacked_fwd_nchw_float_double_float_0.num_vgpr, 14
	.set naive_conv_ab_nonpacked_fwd_nchw_float_double_float_0.num_agpr, 0
	.set naive_conv_ab_nonpacked_fwd_nchw_float_double_float_0.numbered_sgpr, 69
	.set naive_conv_ab_nonpacked_fwd_nchw_float_double_float_0.num_named_barrier, 0
	.set naive_conv_ab_nonpacked_fwd_nchw_float_double_float_0.private_seg_size, 0
	.set naive_conv_ab_nonpacked_fwd_nchw_float_double_float_0.uses_vcc, 1
	.set naive_conv_ab_nonpacked_fwd_nchw_float_double_float_0.uses_flat_scratch, 0
	.set naive_conv_ab_nonpacked_fwd_nchw_float_double_float_0.has_dyn_sized_stack, 0
	.set naive_conv_ab_nonpacked_fwd_nchw_float_double_float_0.has_recursion, 0
	.set naive_conv_ab_nonpacked_fwd_nchw_float_double_float_0.has_indirect_call, 0
	.section	.AMDGPU.csdata,"",@progbits
; Kernel info:
; codeLenInByte = 1548
; TotalNumSgprs: 71
; NumVgprs: 14
; ScratchSize: 0
; MemoryBound: 0
; FloatMode: 240
; IeeeMode: 1
; LDSByteSize: 0 bytes/workgroup (compile time only)
; SGPRBlocks: 0
; VGPRBlocks: 1
; NumSGPRsForWavesPerEU: 71
; NumVGPRsForWavesPerEU: 14
; Occupancy: 16
; WaveLimiterHint : 0
; COMPUTE_PGM_RSRC2:SCRATCH_EN: 0
; COMPUTE_PGM_RSRC2:USER_SGPR: 2
; COMPUTE_PGM_RSRC2:TRAP_HANDLER: 0
; COMPUTE_PGM_RSRC2:TGID_X_EN: 1
; COMPUTE_PGM_RSRC2:TGID_Y_EN: 0
; COMPUTE_PGM_RSRC2:TGID_Z_EN: 0
; COMPUTE_PGM_RSRC2:TIDIG_COMP_CNT: 0
	.text
	.protected	naive_conv_ab_packed_fwd_nchw_float_double_float_1 ; -- Begin function naive_conv_ab_packed_fwd_nchw_float_double_float_1
	.globl	naive_conv_ab_packed_fwd_nchw_float_double_float_1
	.p2align	8
	.type	naive_conv_ab_packed_fwd_nchw_float_double_float_1,@function
naive_conv_ab_packed_fwd_nchw_float_double_float_1: ; @naive_conv_ab_packed_fwd_nchw_float_double_float_1
; %bb.0:
	s_load_b512 s[4:19], s[0:1], 0xa0
	s_mov_b32 s25, exec_lo
	s_wait_kmcnt 0x0
	s_abs_i32 s3, s7
	s_mul_i32 s33, s10, s9
	s_cvt_f32_u32 s2, s3
	s_delay_alu instid0(SALU_CYCLE_3) | instskip(NEXT) | instid1(TRANS32_DEP_1)
	v_rcp_iflag_f32_e32 v1, s2
	v_readfirstlane_b32 s2, v1
	s_mul_f32 s2, s2, 0x4f7ffffe
	s_wait_alu 0xfffe
	s_delay_alu instid0(SALU_CYCLE_2) | instskip(SKIP_2) | instid1(SALU_CYCLE_1)
	s_cvt_u32_f32 s20, s2
	s_sub_co_i32 s2, 0, s3
	s_wait_alu 0xfffe
	s_mul_i32 s2, s2, s20
	s_wait_alu 0xfffe
	s_mul_hi_u32 s21, s20, s2
	s_abs_i32 s2, ttmp9
	s_add_co_i32 s20, s20, s21
	s_wait_alu 0xfffe
	s_mul_hi_u32 s20, s2, s20
	s_delay_alu instid0(SALU_CYCLE_1) | instskip(SKIP_2) | instid1(SALU_CYCLE_1)
	s_mul_i32 s21, s20, s3
	s_add_co_i32 s22, s20, 1
	s_sub_co_i32 s21, s2, s21
	s_sub_co_i32 s23, s21, s3
	s_cmp_ge_u32 s21, s3
	s_cselect_b32 s20, s22, s20
	s_cselect_b32 s21, s23, s21
	s_add_co_i32 s22, s20, 1
	s_cmp_ge_u32 s21, s3
	s_mul_i32 s21, s7, s6
	s_cselect_b32 s22, s22, s20
	s_abs_i32 s20, s6
	s_abs_i32 s6, s21
	s_cvt_f32_u32 s3, s20
	s_cvt_f32_u32 s23, s6
	s_wait_alu 0xfffe
	s_delay_alu instid0(SALU_CYCLE_1) | instskip(NEXT) | instid1(SALU_CYCLE_1)
	v_rcp_iflag_f32_e32 v1, s3
	v_rcp_iflag_f32_e32 v2, s23
	s_mov_b32 s3, 0
	s_delay_alu instid0(TRANS32_DEP_2) | instskip(NEXT) | instid1(TRANS32_DEP_1)
	v_readfirstlane_b32 s24, v1
	v_readfirstlane_b32 s23, v2
	v_cmpx_gt_i32_e64 s33, v0
	s_cbranch_execz .LBB2_17
; %bb.1:
	s_mul_f32 s24, s24, 0x4f7ffffe
	s_ashr_i32 s26, ttmp9, 31
	s_ashr_i32 s37, s7, 31
	s_sub_co_i32 s25, 0, s20
	s_cvt_u32_f32 s24, s24
	s_xor_b32 s27, s26, s37
	s_mul_f32 s28, s23, 0x4f7ffffe
	s_xor_b32 s22, s22, s27
	s_mul_i32 s25, s25, s24
	s_wait_alu 0xfffe
	s_sub_co_i32 s27, s22, s27
	s_mul_hi_u32 s23, s24, s25
	s_cvt_u32_f32 s28, s28
	s_abs_i32 s22, s27
	s_wait_alu 0xfffe
	s_add_co_i32 s24, s24, s23
	s_mov_b32 s23, s3
	s_mov_b32 s25, s3
	s_sub_co_i32 s29, 0, s6
	s_wait_alu 0xfffe
	s_mul_u64 s[24:25], s[22:23], s[24:25]
	s_mul_i32 s29, s29, s28
	s_ashr_i32 s23, s27, 31
	s_mul_hi_u32 s24, s28, s29
	s_ashr_i32 s29, s21, 31
	s_mul_i32 s21, s25, s20
	s_mul_i32 s27, s27, s7
	s_sub_co_i32 s21, s22, s21
	s_add_co_i32 s24, s28, s24
	s_sub_co_i32 s38, ttmp9, s27
	s_sub_co_i32 s22, s21, s20
	s_cmp_ge_u32 s21, s20
	s_mov_b32 s25, s3
	s_wait_alu 0xfffe
	s_cselect_b32 s22, s22, s21
	s_mov_b32 s34, s8
	s_wait_alu 0xfffe
	s_sub_co_i32 s27, s22, s20
	s_cmp_ge_u32 s22, s20
	s_mul_u64 s[20:21], s[2:3], s[24:25]
	s_cselect_b32 s20, s27, s22
	s_xor_b32 s22, s26, s29
	s_xor_b32 s20, s20, s23
	s_mov_b32 s28, s4
	s_sub_co_i32 s40, s20, s23
	s_mul_i32 s20, s21, s6
	s_mov_b32 s30, s5
	s_sub_co_i32 s2, s2, s20
	s_add_co_i32 s20, s21, 1
	s_wait_alu 0xfffe
	s_sub_co_i32 s23, s2, s6
	s_cmp_ge_u32 s2, s6
	s_mov_b32 s36, s7
	s_cselect_b32 s20, s20, s21
	s_wait_alu 0xfffe
	s_cselect_b32 s2, s23, s2
	s_add_co_i32 s21, s20, 1
	s_wait_alu 0xfffe
	s_cmp_ge_u32 s2, s6
	s_mul_i32 s6, s19, s7
	s_cselect_b32 s2, s21, s20
	s_mul_i32 s20, s19, s8
	s_wait_alu 0xfffe
	s_xor_b32 s2, s2, s22
	s_ashr_i32 s41, s40, 31
	s_ashr_i32 s21, s20, 31
	s_wait_alu 0xfffe
	s_sub_co_i32 s42, s2, s22
	s_mul_u64 s[44:45], s[40:41], s[20:21]
	s_load_b256 s[20:27], s[0:1], 0x0
	s_ashr_i32 s43, s42, 31
	s_ashr_i32 s35, s8, 31
	;; [unrolled: 1-line block ×4, first 2 shown]
	s_mul_u64 s[4:5], s[42:43], s[34:35]
	s_mul_u64 s[46:47], s[30:31], s[28:29]
	s_add_nc_u64 s[4:5], s[4:5], s[44:45]
	s_ashr_i32 s7, s6, 31
	s_mul_u64 s[36:37], s[42:43], s[36:37]
	s_ashr_i32 s39, s38, 31
	s_mul_u64 s[44:45], s[46:47], s[4:5]
	s_mul_u64 s[6:7], s[40:41], s[6:7]
	s_ashr_i32 s41, s9, 31
	s_mov_b32 s40, s9
	s_ashr_i32 s5, s10, 31
	s_mov_b32 s4, s10
	s_add_nc_u64 s[36:37], s[36:37], s[38:39]
	s_mul_u64 s[40:41], s[4:5], s[40:41]
	s_add_nc_u64 s[42:43], s[36:37], s[6:7]
	s_lshl_b64 s[38:39], s[44:45], 2
	s_mul_u64 s[40:41], s[40:41], s[42:43]
	s_ashr_i32 s7, s17, 31
	s_ashr_i32 s19, s18, 31
	s_lshl_b64 s[40:41], s[40:41], 2
	s_cmp_gt_i32 s8, 0
	s_wait_kmcnt 0x0
	v_cmp_neq_f64_e64 s2, s[24:25], 1.0
	v_cmp_neq_f64_e64 s44, s[26:27], 0
	s_cselect_b32 s48, -1, 0
	s_cmp_gt_i32 s17, 0
	s_clause 0x1
	s_load_b64 s[42:43], s[0:1], 0x20
	s_load_b32 s45, s[0:1], 0xec
	s_cselect_b32 s49, -1, 0
	s_cmp_gt_i32 s18, 0
	s_add_nc_u64 s[8:9], s[20:21], s[38:39]
	s_cselect_b32 s50, -1, 0
	s_abs_i32 s10, s10
	v_mov_b32_e32 v2, 0
	s_cvt_f32_u32 s6, s10
	s_sub_co_i32 s38, 0, s10
	s_delay_alu instid0(SALU_CYCLE_2) | instskip(SKIP_3) | instid1(TRANS32_DEP_1)
	v_rcp_iflag_f32_e32 v1, s6
	s_mov_b32 s6, s17
	s_wait_kmcnt 0x0
	s_add_nc_u64 s[20:21], s[42:43], s[40:41]
	v_readfirstlane_b32 s0, v1
	s_mul_f32 s17, s0, 0x4f7ffffe
	s_wait_alu 0xfffe
	s_mul_u64 s[0:1], s[18:19], s[6:7]
	s_and_b32 s7, s45, 0xffff
	s_mul_u64 s[36:37], s[0:1], s[36:37]
	s_cvt_u32_f32 s17, s17
	s_mul_u64 s[36:37], s[36:37], s[34:35]
	s_delay_alu instid0(SALU_CYCLE_1) | instskip(NEXT) | instid1(SALU_CYCLE_1)
	s_lshl_b64 s[36:37], s[36:37], 2
	s_mul_i32 s38, s38, s17
	s_add_nc_u64 s[22:23], s[22:23], s[36:37]
	s_mul_hi_u32 s35, s17, s38
	s_lshl_b64 s[36:37], s[0:1], 2
	s_add_co_i32 s17, s17, s35
	s_or_b32 s35, s2, s44
	s_lshl_b64 s[38:39], s[18:19], 2
	s_mov_b32 s19, 0
	s_branch .LBB2_3
.LBB2_2:                                ;   in Loop: Header=BB2_3 Depth=1
	s_delay_alu instid0(VALU_DEP_1) | instskip(SKIP_1) | instid1(VALU_DEP_1)
	v_cvt_f32_f64_e32 v1, v[3:4]
	v_add_nc_u32_e32 v0, s7, v0
	v_cmp_le_i32_e32 vcc_lo, s33, v0
	s_or_b32 s19, vcc_lo, s19
	global_store_b32 v[5:6], v1, off
	s_and_not1_b32 exec_lo, exec_lo, s19
	s_cbranch_execz .LBB2_17
.LBB2_3:                                ; =>This Loop Header: Depth=1
                                        ;     Child Loop BB2_6 Depth 2
                                        ;       Child Loop BB2_9 Depth 3
                                        ;         Child Loop BB2_12 Depth 4
	v_sub_nc_u32_e32 v1, 0, v0
	s_delay_alu instid0(VALU_DEP_1) | instskip(NEXT) | instid1(VALU_DEP_1)
	v_max_i32_e32 v1, v0, v1
	v_mul_hi_u32 v3, v1, s17
	s_delay_alu instid0(VALU_DEP_1) | instskip(NEXT) | instid1(VALU_DEP_1)
	v_mul_lo_u32 v4, v3, s10
	v_sub_nc_u32_e32 v1, v1, v4
	s_delay_alu instid0(VALU_DEP_1) | instskip(SKIP_2) | instid1(VALU_DEP_2)
	v_subrev_nc_u32_e32 v5, s10, v1
	v_cmp_le_u32_e32 vcc_lo, s10, v1
	s_wait_alu 0xfffd
	v_dual_cndmask_b32 v1, v1, v5 :: v_dual_add_nc_u32 v4, 1, v3
	s_delay_alu instid0(VALU_DEP_1) | instskip(SKIP_1) | instid1(VALU_DEP_3)
	v_cndmask_b32_e32 v3, v3, v4, vcc_lo
	v_ashrrev_i32_e32 v4, 31, v0
	v_cmp_le_u32_e32 vcc_lo, s10, v1
	s_delay_alu instid0(VALU_DEP_3) | instskip(NEXT) | instid1(VALU_DEP_3)
	v_add_nc_u32_e32 v5, 1, v3
	v_xor_b32_e32 v4, s5, v4
	s_wait_alu 0xfffd
	s_delay_alu instid0(VALU_DEP_2) | instskip(SKIP_1) | instid1(VALU_DEP_1)
	v_cndmask_b32_e32 v1, v3, v5, vcc_lo
	s_and_not1_b32 vcc_lo, exec_lo, s48
	v_xor_b32_e32 v1, v1, v4
	s_delay_alu instid0(VALU_DEP_1) | instskip(NEXT) | instid1(VALU_DEP_1)
	v_sub_nc_u32_e32 v7, v1, v4
	v_mul_lo_u32 v1, v7, s4
	s_delay_alu instid0(VALU_DEP_1)
	v_sub_nc_u32_e32 v5, v0, v1
	s_wait_alu 0xfffe
	s_cbranch_vccnz .LBB2_14
; %bb.4:                                ;   in Loop: Header=BB2_3 Depth=1
	v_mul_lo_u32 v1, v7, s11
	s_delay_alu instid0(VALU_DEP_2) | instskip(SKIP_4) | instid1(VALU_DEP_4)
	v_mul_lo_u32 v8, v5, s12
	v_mov_b32_e32 v3, 0
	v_mov_b32_e32 v4, 0
	s_mov_b32 s2, 0
	s_mov_b64 s[40:41], s[22:23]
	v_subrev_nc_u32_e32 v6, s15, v1
	s_delay_alu instid0(VALU_DEP_4)
	v_subrev_nc_u32_e32 v8, s16, v8
	s_branch .LBB2_6
.LBB2_5:                                ;   in Loop: Header=BB2_6 Depth=2
	s_add_co_i32 s2, s2, 1
	s_add_nc_u64 s[40:41], s[40:41], s[36:37]
	s_wait_alu 0xfffe
	s_cmp_eq_u32 s2, s34
	s_cbranch_scc1 .LBB2_15
.LBB2_6:                                ;   Parent Loop BB2_3 Depth=1
                                        ; =>  This Loop Header: Depth=2
                                        ;       Child Loop BB2_9 Depth 3
                                        ;         Child Loop BB2_12 Depth 4
	s_and_not1_b32 vcc_lo, exec_lo, s49
	s_wait_alu 0xfffe
	s_cbranch_vccnz .LBB2_5
; %bb.7:                                ;   in Loop: Header=BB2_6 Depth=2
	s_mul_u64 s[42:43], s[2:3], s[28:29]
	s_mov_b32 s51, 0
	s_mov_b64 s[44:45], s[40:41]
	s_branch .LBB2_9
.LBB2_8:                                ;   in Loop: Header=BB2_9 Depth=3
	s_add_co_i32 s51, s51, 1
	s_add_nc_u64 s[44:45], s[44:45], s[38:39]
	s_wait_alu 0xfffe
	s_cmp_eq_u32 s51, s6
	s_cbranch_scc1 .LBB2_5
.LBB2_9:                                ;   Parent Loop BB2_3 Depth=1
                                        ;     Parent Loop BB2_6 Depth=2
                                        ; =>    This Loop Header: Depth=3
                                        ;         Child Loop BB2_12 Depth 4
	s_and_not1_b32 vcc_lo, exec_lo, s50
	s_wait_alu 0xfffe
	s_cbranch_vccnz .LBB2_8
; %bb.10:                               ;   in Loop: Header=BB2_9 Depth=3
	v_mad_co_u64_u32 v[9:10], null, s51, s13, v[6:7]
	s_mov_b64 s[46:47], s[44:45]
	s_mov_b32 s52, s18
	v_add_co_u32 v1, s0, s42, v9
	s_wait_alu 0xf1ff
	v_add_co_ci_u32_e64 v10, null, s43, 0, s0
	v_cmp_gt_i32_e32 vcc_lo, 0, v9
	s_delay_alu instid0(VALU_DEP_3) | instskip(SKIP_1) | instid1(VALU_DEP_4)
	v_mul_lo_u32 v13, v1, s31
	v_cmp_le_i32_e64 s0, s28, v9
	v_mul_lo_u32 v12, v10, s30
	v_mad_co_u64_u32 v[10:11], null, v1, s30, 0
	v_mov_b32_e32 v1, v8
	s_delay_alu instid0(VALU_DEP_2) | instskip(NEXT) | instid1(VALU_DEP_1)
	v_add3_u32 v11, v11, v13, v12
	v_lshlrev_b64_e32 v[10:11], 2, v[10:11]
	s_delay_alu instid0(VALU_DEP_1) | instskip(SKIP_1) | instid1(VALU_DEP_2)
	v_add_co_u32 v9, s1, s8, v10
	s_wait_alu 0xf1ff
	v_add_co_ci_u32_e64 v10, null, s9, v11, s1
	s_or_b32 s1, vcc_lo, s0
	s_branch .LBB2_12
.LBB2_11:                               ;   in Loop: Header=BB2_12 Depth=4
	s_wait_alu 0xfffe
	s_or_b32 exec_lo, exec_lo, s0
	v_add_nc_u32_e32 v1, s14, v1
	s_add_co_i32 s52, s52, -1
	s_add_nc_u64 s[46:47], s[46:47], 4
	s_wait_alu 0xfffe
	s_cmp_eq_u32 s52, 0
	s_cbranch_scc1 .LBB2_8
.LBB2_12:                               ;   Parent Loop BB2_3 Depth=1
                                        ;     Parent Loop BB2_6 Depth=2
                                        ;       Parent Loop BB2_9 Depth=3
                                        ; =>      This Inner Loop Header: Depth=4
	v_cmp_gt_i32_e32 vcc_lo, 0, v1
	v_cmp_le_i32_e64 s0, s30, v1
	s_or_b32 s0, vcc_lo, s0
	s_wait_alu 0xfffe
	s_nor_b32 s53, s1, s0
	s_wait_alu 0xfffe
	s_and_saveexec_b32 s0, s53
	s_cbranch_execz .LBB2_11
; %bb.13:                               ;   in Loop: Header=BB2_12 Depth=4
	v_lshlrev_b64_e32 v[11:12], 2, v[1:2]
	s_load_b32 s53, s[46:47], 0x0
	s_delay_alu instid0(VALU_DEP_1) | instskip(SKIP_1) | instid1(VALU_DEP_2)
	v_add_co_u32 v11, vcc_lo, v9, v11
	s_wait_alu 0xfffd
	v_add_co_ci_u32_e64 v12, null, v10, v12, vcc_lo
	global_load_b32 v11, v[11:12], off
	s_wait_kmcnt 0x0
	s_and_b32 s53, s53, 0xffffe000
	s_wait_alu 0xfffe
	v_cvt_f64_f32_e32 v[13:14], s53
	s_wait_loadcnt 0x0
	v_and_b32_e32 v11, 0xffffe000, v11
	s_delay_alu instid0(VALU_DEP_1) | instskip(NEXT) | instid1(VALU_DEP_1)
	v_cvt_f64_f32_e32 v[11:12], v11
	v_fma_f64 v[3:4], v[11:12], v[13:14], v[3:4]
	s_branch .LBB2_11
.LBB2_14:                               ;   in Loop: Header=BB2_3 Depth=1
	v_mov_b32_e32 v3, 0
	v_mov_b32_e32 v4, 0
.LBB2_15:                               ;   in Loop: Header=BB2_3 Depth=1
	v_mad_co_i64_i32 v[7:8], null, v7, s4, 0
	v_ashrrev_i32_e32 v6, 31, v5
	s_delay_alu instid0(VALU_DEP_1) | instskip(NEXT) | instid1(VALU_DEP_3)
	v_lshlrev_b64_e32 v[5:6], 2, v[5:6]
	v_lshlrev_b64_e32 v[7:8], 2, v[7:8]
	s_delay_alu instid0(VALU_DEP_1) | instskip(SKIP_1) | instid1(VALU_DEP_2)
	v_add_co_u32 v1, vcc_lo, s20, v7
	s_wait_alu 0xfffd
	v_add_co_ci_u32_e64 v7, null, s21, v8, vcc_lo
	s_delay_alu instid0(VALU_DEP_2) | instskip(SKIP_1) | instid1(VALU_DEP_2)
	v_add_co_u32 v5, vcc_lo, v1, v5
	s_wait_alu 0xfffd
	v_add_co_ci_u32_e64 v6, null, v7, v6, vcc_lo
	s_and_not1_b32 vcc_lo, exec_lo, s35
	s_wait_alu 0xfffe
	s_cbranch_vccnz .LBB2_2
; %bb.16:                               ;   in Loop: Header=BB2_3 Depth=1
	global_load_b32 v1, v[5:6], off
	s_wait_loadcnt 0x0
	v_cvt_f64_f32_e32 v[7:8], v1
	s_delay_alu instid0(VALU_DEP_1) | instskip(NEXT) | instid1(VALU_DEP_1)
	v_mul_f64_e32 v[7:8], s[26:27], v[7:8]
	v_fma_f64 v[3:4], s[24:25], v[3:4], v[7:8]
	s_branch .LBB2_2
.LBB2_17:
	s_endpgm
	.section	.rodata,"a",@progbits
	.p2align	6, 0x0
	.amdhsa_kernel naive_conv_ab_packed_fwd_nchw_float_double_float_1
		.amdhsa_group_segment_fixed_size 0
		.amdhsa_private_segment_fixed_size 0
		.amdhsa_kernarg_size 480
		.amdhsa_user_sgpr_count 2
		.amdhsa_user_sgpr_dispatch_ptr 0
		.amdhsa_user_sgpr_queue_ptr 0
		.amdhsa_user_sgpr_kernarg_segment_ptr 1
		.amdhsa_user_sgpr_dispatch_id 0
		.amdhsa_user_sgpr_private_segment_size 0
		.amdhsa_wavefront_size32 1
		.amdhsa_uses_dynamic_stack 0
		.amdhsa_enable_private_segment 0
		.amdhsa_system_sgpr_workgroup_id_x 1
		.amdhsa_system_sgpr_workgroup_id_y 0
		.amdhsa_system_sgpr_workgroup_id_z 0
		.amdhsa_system_sgpr_workgroup_info 0
		.amdhsa_system_vgpr_workitem_id 0
		.amdhsa_next_free_vgpr 15
		.amdhsa_next_free_sgpr 54
		.amdhsa_reserve_vcc 1
		.amdhsa_float_round_mode_32 0
		.amdhsa_float_round_mode_16_64 0
		.amdhsa_float_denorm_mode_32 3
		.amdhsa_float_denorm_mode_16_64 3
		.amdhsa_fp16_overflow 0
		.amdhsa_workgroup_processor_mode 1
		.amdhsa_memory_ordered 1
		.amdhsa_forward_progress 1
		.amdhsa_inst_pref_size 12
		.amdhsa_round_robin_scheduling 0
		.amdhsa_exception_fp_ieee_invalid_op 0
		.amdhsa_exception_fp_denorm_src 0
		.amdhsa_exception_fp_ieee_div_zero 0
		.amdhsa_exception_fp_ieee_overflow 0
		.amdhsa_exception_fp_ieee_underflow 0
		.amdhsa_exception_fp_ieee_inexact 0
		.amdhsa_exception_int_div_zero 0
	.end_amdhsa_kernel
	.text
.Lfunc_end2:
	.size	naive_conv_ab_packed_fwd_nchw_float_double_float_1, .Lfunc_end2-naive_conv_ab_packed_fwd_nchw_float_double_float_1
                                        ; -- End function
	.set naive_conv_ab_packed_fwd_nchw_float_double_float_1.num_vgpr, 15
	.set naive_conv_ab_packed_fwd_nchw_float_double_float_1.num_agpr, 0
	.set naive_conv_ab_packed_fwd_nchw_float_double_float_1.numbered_sgpr, 54
	.set naive_conv_ab_packed_fwd_nchw_float_double_float_1.num_named_barrier, 0
	.set naive_conv_ab_packed_fwd_nchw_float_double_float_1.private_seg_size, 0
	.set naive_conv_ab_packed_fwd_nchw_float_double_float_1.uses_vcc, 1
	.set naive_conv_ab_packed_fwd_nchw_float_double_float_1.uses_flat_scratch, 0
	.set naive_conv_ab_packed_fwd_nchw_float_double_float_1.has_dyn_sized_stack, 0
	.set naive_conv_ab_packed_fwd_nchw_float_double_float_1.has_recursion, 0
	.set naive_conv_ab_packed_fwd_nchw_float_double_float_1.has_indirect_call, 0
	.section	.AMDGPU.csdata,"",@progbits
; Kernel info:
; codeLenInByte = 1524
; TotalNumSgprs: 56
; NumVgprs: 15
; ScratchSize: 0
; MemoryBound: 0
; FloatMode: 240
; IeeeMode: 1
; LDSByteSize: 0 bytes/workgroup (compile time only)
; SGPRBlocks: 0
; VGPRBlocks: 1
; NumSGPRsForWavesPerEU: 56
; NumVGPRsForWavesPerEU: 15
; Occupancy: 16
; WaveLimiterHint : 0
; COMPUTE_PGM_RSRC2:SCRATCH_EN: 0
; COMPUTE_PGM_RSRC2:USER_SGPR: 2
; COMPUTE_PGM_RSRC2:TRAP_HANDLER: 0
; COMPUTE_PGM_RSRC2:TGID_X_EN: 1
; COMPUTE_PGM_RSRC2:TGID_Y_EN: 0
; COMPUTE_PGM_RSRC2:TGID_Z_EN: 0
; COMPUTE_PGM_RSRC2:TIDIG_COMP_CNT: 0
	.text
	.protected	naive_conv_ab_nonpacked_fwd_nchw_float_double_float_1 ; -- Begin function naive_conv_ab_nonpacked_fwd_nchw_float_double_float_1
	.globl	naive_conv_ab_nonpacked_fwd_nchw_float_double_float_1
	.p2align	8
	.type	naive_conv_ab_nonpacked_fwd_nchw_float_double_float_1,@function
naive_conv_ab_nonpacked_fwd_nchw_float_double_float_1: ; @naive_conv_ab_nonpacked_fwd_nchw_float_double_float_1
; %bb.0:
	s_load_b256 s[20:27], s[0:1], 0xa0
	s_mov_b32 s9, exec_lo
	s_wait_kmcnt 0x0
	s_abs_i32 s3, s23
	s_mul_i32 s25, s26, s25
	s_cvt_f32_u32 s2, s3
	s_delay_alu instid0(SALU_CYCLE_3) | instskip(NEXT) | instid1(TRANS32_DEP_1)
	v_rcp_iflag_f32_e32 v1, s2
	v_readfirstlane_b32 s2, v1
	s_mul_f32 s2, s2, 0x4f7ffffe
	s_wait_alu 0xfffe
	s_delay_alu instid0(SALU_CYCLE_2) | instskip(SKIP_2) | instid1(SALU_CYCLE_1)
	s_cvt_u32_f32 s4, s2
	s_sub_co_i32 s2, 0, s3
	s_wait_alu 0xfffe
	s_mul_i32 s2, s2, s4
	s_wait_alu 0xfffe
	s_mul_hi_u32 s5, s4, s2
	s_abs_i32 s2, ttmp9
	s_add_co_i32 s4, s4, s5
	s_wait_alu 0xfffe
	s_mul_hi_u32 s4, s2, s4
	s_delay_alu instid0(SALU_CYCLE_1) | instskip(SKIP_2) | instid1(SALU_CYCLE_1)
	s_mul_i32 s5, s4, s3
	s_add_co_i32 s6, s4, 1
	s_sub_co_i32 s5, s2, s5
	s_sub_co_i32 s7, s5, s3
	s_cmp_ge_u32 s5, s3
	s_cselect_b32 s4, s6, s4
	s_cselect_b32 s5, s7, s5
	s_add_co_i32 s6, s4, 1
	s_cmp_ge_u32 s5, s3
	s_mul_i32 s5, s23, s22
	s_cselect_b32 s6, s6, s4
	s_abs_i32 s4, s22
	s_abs_i32 s22, s5
	s_cvt_f32_u32 s3, s4
	s_cvt_f32_u32 s7, s22
	s_wait_alu 0xfffe
	s_delay_alu instid0(SALU_CYCLE_1) | instskip(NEXT) | instid1(SALU_CYCLE_1)
	v_rcp_iflag_f32_e32 v1, s3
	v_rcp_iflag_f32_e32 v2, s7
	s_mov_b32 s3, 0
	s_delay_alu instid0(TRANS32_DEP_2) | instskip(NEXT) | instid1(TRANS32_DEP_1)
	v_readfirstlane_b32 s8, v1
	v_readfirstlane_b32 s7, v2
	v_cmpx_gt_i32_e64 s25, v0
	s_cbranch_execz .LBB3_17
; %bb.1:
	s_mul_f32 s8, s8, 0x4f7ffffe
	s_ashr_i32 s33, ttmp9, 31
	s_ashr_i32 s9, s23, 31
	s_sub_co_i32 s10, 0, s4
	s_cvt_u32_f32 s8, s8
	s_xor_b32 s9, s33, s9
	s_mul_f32 s11, s7, 0x4f7ffffe
	s_xor_b32 s6, s6, s9
	s_mul_i32 s10, s10, s8
	s_wait_alu 0xfffe
	s_sub_co_i32 s12, s6, s9
	s_mul_hi_u32 s7, s8, s10
	s_abs_i32 s6, s12
	s_wait_alu 0xfffe
	s_add_co_i32 s8, s8, s7
	s_mov_b32 s7, s3
	s_cvt_u32_f32 s10, s11
	s_mov_b32 s9, s3
	s_sub_co_i32 s11, 0, s22
	s_wait_alu 0xfffe
	s_mul_u64 s[8:9], s[6:7], s[8:9]
	s_mul_i32 s11, s11, s10
	s_ashr_i32 s38, s5, 31
	s_mul_i32 s5, s9, s4
	s_ashr_i32 s35, s12, 31
	s_mul_hi_u32 s7, s10, s11
	s_mul_i32 s12, s12, s23
	s_sub_co_i32 s5, s6, s5
	s_wait_alu 0xfffe
	s_add_co_i32 s8, s10, s7
	s_sub_co_i32 s34, ttmp9, s12
	s_sub_co_i32 s6, s5, s4
	s_cmp_ge_u32 s5, s4
	s_mov_b32 s9, s3
	s_wait_alu 0xfffe
	s_cselect_b32 s5, s6, s5
	s_mul_u64 s[36:37], s[2:3], s[8:9]
	s_sub_co_i32 s6, s5, s4
	s_cmp_ge_u32 s5, s4
	s_clause 0x1
	s_load_b64 s[52:53], s[0:1], 0x98
	s_load_b128 s[28:31], s[0:1], 0x88
	s_cselect_b32 s23, s6, s5
	s_load_b512 s[4:19], s[0:1], 0x28
	s_xor_b32 s23, s23, s35
	s_xor_b32 s33, s33, s38
	s_sub_co_i32 s54, s23, s35
	s_mul_i32 s23, s37, s22
	s_load_b256 s[44:51], s[0:1], 0x0
	s_sub_co_i32 s2, s2, s23
	s_add_co_i32 s23, s37, 1
	s_wait_alu 0xfffe
	s_sub_co_i32 s35, s2, s22
	s_cmp_ge_u32 s2, s22
	s_load_b64 s[64:65], s[0:1], 0x20
	s_cselect_b32 s23, s23, s37
	s_load_b256 s[36:43], s[0:1], 0xc0
	s_cselect_b32 s2, s35, s2
	s_add_co_i32 s35, s23, 1
	s_wait_alu 0xfffe
	s_cmp_ge_u32 s2, s22
	s_load_b32 s68, s[0:1], 0xec
	s_cselect_b32 s2, s35, s23
	s_ashr_i32 s55, s54, 31
	s_wait_alu 0xfffe
	s_xor_b32 s2, s2, s33
	s_ashr_i32 s35, s34, 31
	s_wait_alu 0xfffe
	s_sub_co_i32 s22, s2, s33
	s_wait_kmcnt 0x0
	s_mul_u64 s[12:13], s[12:13], s[54:55]
	s_ashr_i32 s23, s22, 31
	s_mul_u64 s[52:53], s[52:53], s[54:55]
	s_mul_u64 s[10:11], s[10:11], s[22:23]
	;; [unrolled: 1-line block ×4, first 2 shown]
	s_lshl_b64 s[12:13], s[12:13], 2
	s_lshl_b64 s[10:11], s[10:11], 2
	;; [unrolled: 1-line block ×5, first 2 shown]
	s_cmp_gt_i32 s24, 0
	v_cmp_neq_f64_e64 s66, s[48:49], 1.0
	s_cselect_b32 s33, -1, 0
	s_cmp_gt_i32 s41, 0
	v_cmp_neq_f64_e64 s67, s[50:51], 0
	s_cselect_b32 s43, -1, 0
	s_cmp_gt_i32 s42, 0
	s_load_b256 s[52:59], s[0:1], 0x68
	s_cselect_b32 s60, -1, 0
	s_abs_i32 s61, s26
	s_add_nc_u64 s[0:1], s[44:45], s[12:13]
	s_cvt_f32_u32 s2, s61
	s_add_nc_u64 s[12:13], s[64:65], s[62:63]
	s_add_nc_u64 s[10:11], s[0:1], s[10:11]
	;; [unrolled: 1-line block ×3, first 2 shown]
	s_wait_alu 0xfffe
	v_rcp_iflag_f32_e32 v1, s2
	s_sub_co_i32 s0, 0, s61
	s_add_nc_u64 s[12:13], s[12:13], s[28:29]
	s_and_b32 s62, s68, 0xffff
	s_ashr_i32 s63, s26, 31
	s_lshl_b64 s[18:19], s[18:19], 2
	s_lshl_b64 s[16:17], s[16:17], 2
	;; [unrolled: 1-line block ×3, first 2 shown]
	s_delay_alu instid0(TRANS32_DEP_1) | instskip(SKIP_2) | instid1(SALU_CYCLE_1)
	v_readfirstlane_b32 s2, v1
	s_wait_kmcnt 0x0
	s_mul_u64 s[22:23], s[54:55], s[22:23]
	s_lshl_b64 s[22:23], s[22:23], 2
	s_mul_f32 s2, s2, 0x4f7ffffe
	s_wait_alu 0xfffe
	s_delay_alu instid0(SALU_CYCLE_2) | instskip(SKIP_1) | instid1(SALU_CYCLE_2)
	s_cvt_u32_f32 s2, s2
	s_wait_alu 0xfffe
	s_mul_i32 s28, s0, s2
	s_mul_u64 s[0:1], s[52:53], s[34:35]
	s_mul_hi_u32 s28, s2, s28
	s_lshl_b64 s[0:1], s[0:1], 2
	s_add_co_i32 s52, s2, s28
	s_add_nc_u64 s[0:1], s[0:1], s[22:23]
	s_delay_alu instid0(SALU_CYCLE_1)
	s_add_nc_u64 s[22:23], s[46:47], s[0:1]
	s_or_b32 s46, s66, s67
	s_mov_b32 s47, 0
	s_branch .LBB3_3
.LBB3_2:                                ;   in Loop: Header=BB3_3 Depth=1
	s_delay_alu instid0(VALU_DEP_1) | instskip(SKIP_1) | instid1(VALU_DEP_1)
	v_cvt_f32_f64_e32 v1, v[1:2]
	v_add_nc_u32_e32 v0, s62, v0
	v_cmp_le_i32_e32 vcc_lo, s25, v0
	s_or_b32 s47, vcc_lo, s47
	global_store_b32 v[3:4], v1, off
	s_and_not1_b32 exec_lo, exec_lo, s47
	s_cbranch_execz .LBB3_17
.LBB3_3:                                ; =>This Loop Header: Depth=1
                                        ;     Child Loop BB3_6 Depth 2
                                        ;       Child Loop BB3_9 Depth 3
                                        ;         Child Loop BB3_12 Depth 4
	v_sub_nc_u32_e32 v1, 0, v0
	s_delay_alu instid0(VALU_DEP_1) | instskip(NEXT) | instid1(VALU_DEP_1)
	v_max_i32_e32 v1, v0, v1
	v_mul_hi_u32 v2, v1, s52
	s_delay_alu instid0(VALU_DEP_1) | instskip(NEXT) | instid1(VALU_DEP_1)
	v_mul_lo_u32 v3, v2, s61
	v_sub_nc_u32_e32 v1, v1, v3
	v_add_nc_u32_e32 v3, 1, v2
	s_delay_alu instid0(VALU_DEP_2) | instskip(SKIP_2) | instid1(VALU_DEP_2)
	v_subrev_nc_u32_e32 v4, s61, v1
	v_cmp_le_u32_e32 vcc_lo, s61, v1
	s_wait_alu 0xfffd
	v_dual_cndmask_b32 v2, v2, v3 :: v_dual_cndmask_b32 v1, v1, v4
	v_ashrrev_i32_e32 v3, 31, v0
	s_delay_alu instid0(VALU_DEP_2) | instskip(NEXT) | instid1(VALU_DEP_3)
	v_add_nc_u32_e32 v4, 1, v2
	v_cmp_le_u32_e32 vcc_lo, s61, v1
	s_delay_alu instid0(VALU_DEP_3) | instskip(SKIP_1) | instid1(VALU_DEP_3)
	v_xor_b32_e32 v3, s63, v3
	s_wait_alu 0xfffd
	v_cndmask_b32_e32 v1, v2, v4, vcc_lo
	s_and_not1_b32 vcc_lo, exec_lo, s33
	s_delay_alu instid0(VALU_DEP_1) | instskip(NEXT) | instid1(VALU_DEP_1)
	v_xor_b32_e32 v1, v1, v3
	v_sub_nc_u32_e32 v5, v1, v3
	s_delay_alu instid0(VALU_DEP_1) | instskip(NEXT) | instid1(VALU_DEP_1)
	v_mul_lo_u32 v1, v5, s26
	v_sub_nc_u32_e32 v4, v0, v1
	s_wait_alu 0xfffe
	s_cbranch_vccnz .LBB3_14
; %bb.4:                                ;   in Loop: Header=BB3_3 Depth=1
	v_mul_lo_u32 v3, v5, s27
	s_delay_alu instid0(VALU_DEP_2) | instskip(SKIP_4) | instid1(VALU_DEP_4)
	v_mul_lo_u32 v6, v4, s36
	v_mov_b32_e32 v1, 0
	v_mov_b32_e32 v2, 0
	s_mov_b32 s2, 0
	s_mov_b64 s[28:29], s[22:23]
	v_subrev_nc_u32_e32 v3, s39, v3
	s_delay_alu instid0(VALU_DEP_4)
	v_subrev_nc_u32_e32 v6, s40, v6
	s_branch .LBB3_6
.LBB3_5:                                ;   in Loop: Header=BB3_6 Depth=2
	s_add_co_i32 s2, s2, 1
	s_add_nc_u64 s[28:29], s[28:29], s[18:19]
	s_wait_alu 0xfffe
	s_cmp_eq_u32 s2, s24
	s_cbranch_scc1 .LBB3_15
.LBB3_6:                                ;   Parent Loop BB3_3 Depth=1
                                        ; =>  This Loop Header: Depth=2
                                        ;       Child Loop BB3_9 Depth 3
                                        ;         Child Loop BB3_12 Depth 4
	s_and_not1_b32 vcc_lo, exec_lo, s43
	s_wait_alu 0xfffe
	s_cbranch_vccnz .LBB3_5
; %bb.7:                                ;   in Loop: Header=BB3_6 Depth=2
	s_mul_u64 s[0:1], s[8:9], s[2:3]
	s_mov_b32 s53, 0
	s_wait_alu 0xfffe
	s_lshl_b64 s[0:1], s[0:1], 2
	s_mov_b64 s[34:35], s[28:29]
	s_wait_alu 0xfffe
	s_add_nc_u64 s[30:31], s[10:11], s[0:1]
	s_branch .LBB3_9
.LBB3_8:                                ;   in Loop: Header=BB3_9 Depth=3
	s_add_co_i32 s53, s53, 1
	s_add_nc_u64 s[34:35], s[34:35], s[16:17]
	s_wait_alu 0xfffe
	s_cmp_eq_u32 s53, s41
	s_cbranch_scc1 .LBB3_5
.LBB3_9:                                ;   Parent Loop BB3_3 Depth=1
                                        ;     Parent Loop BB3_6 Depth=2
                                        ; =>    This Loop Header: Depth=3
                                        ;         Child Loop BB3_12 Depth 4
	s_and_not1_b32 vcc_lo, exec_lo, s60
	s_wait_alu 0xfffe
	s_cbranch_vccnz .LBB3_8
; %bb.10:                               ;   in Loop: Header=BB3_9 Depth=3
	v_mad_co_u64_u32 v[7:8], null, s53, s37, v[3:4]
	s_mov_b64 s[44:45], s[34:35]
	s_mov_b32 s54, s42
	v_mad_co_u64_u32 v[8:9], null, s6, v7, 0
	v_cmp_gt_i32_e32 vcc_lo, 0, v7
	v_cmp_le_i32_e64 s0, s20, v7
	s_delay_alu instid0(VALU_DEP_3) | instskip(NEXT) | instid1(VALU_DEP_1)
	v_mad_co_u64_u32 v[9:10], null, s7, v7, v[9:10]
	v_lshlrev_b64_e32 v[8:9], 2, v[8:9]
	s_delay_alu instid0(VALU_DEP_1) | instskip(SKIP_1) | instid1(VALU_DEP_2)
	v_add_co_u32 v7, s1, s30, v8
	s_wait_alu 0xf1ff
	v_add_co_ci_u32_e64 v8, null, s31, v9, s1
	v_mov_b32_e32 v9, v6
	s_or_b32 s1, vcc_lo, s0
	s_branch .LBB3_12
.LBB3_11:                               ;   in Loop: Header=BB3_12 Depth=4
	s_wait_alu 0xfffe
	s_or_b32 exec_lo, exec_lo, s0
	v_add_nc_u32_e32 v9, s38, v9
	s_add_co_i32 s54, s54, -1
	s_add_nc_u64 s[44:45], s[44:45], s[14:15]
	s_wait_alu 0xfffe
	s_cmp_eq_u32 s54, 0
	s_cbranch_scc1 .LBB3_8
.LBB3_12:                               ;   Parent Loop BB3_3 Depth=1
                                        ;     Parent Loop BB3_6 Depth=2
                                        ;       Parent Loop BB3_9 Depth=3
                                        ; =>      This Inner Loop Header: Depth=4
	s_delay_alu instid0(VALU_DEP_1)
	v_cmp_gt_i32_e32 vcc_lo, 0, v9
	v_cmp_le_i32_e64 s0, s21, v9
	s_or_b32 s0, vcc_lo, s0
	s_wait_alu 0xfffe
	s_nor_b32 s55, s1, s0
	s_wait_alu 0xfffe
	s_and_saveexec_b32 s0, s55
	s_cbranch_execz .LBB3_11
; %bb.13:                               ;   in Loop: Header=BB3_12 Depth=4
	v_mad_co_u64_u32 v[10:11], null, s4, v9, 0
	s_load_b32 s55, s[44:45], 0x0
	v_mad_co_u64_u32 v[11:12], null, s5, v9, v[11:12]
	s_delay_alu instid0(VALU_DEP_1) | instskip(SKIP_2) | instid1(VALU_DEP_1)
	v_lshlrev_b64_e32 v[10:11], 2, v[10:11]
	s_wait_kmcnt 0x0
	s_and_b32 s55, s55, 0xffffe000
	v_add_co_u32 v10, vcc_lo, v7, v10
	s_wait_alu 0xfffd
	s_delay_alu instid0(VALU_DEP_2)
	v_add_co_ci_u32_e64 v11, null, v8, v11, vcc_lo
	s_wait_alu 0xfffe
	v_cvt_f64_f32_e32 v[12:13], s55
	global_load_b32 v10, v[10:11], off
	s_wait_loadcnt 0x0
	v_and_b32_e32 v10, 0xffffe000, v10
	s_delay_alu instid0(VALU_DEP_1) | instskip(NEXT) | instid1(VALU_DEP_1)
	v_cvt_f64_f32_e32 v[10:11], v10
	v_fma_f64 v[1:2], v[10:11], v[12:13], v[1:2]
	s_branch .LBB3_11
.LBB3_14:                               ;   in Loop: Header=BB3_3 Depth=1
	v_mov_b32_e32 v1, 0
	v_mov_b32_e32 v2, 0
.LBB3_15:                               ;   in Loop: Header=BB3_3 Depth=1
	v_ashrrev_i32_e32 v3, 31, v5
	v_mul_lo_u32 v7, s59, v5
	v_mad_co_u64_u32 v[5:6], null, s58, v5, 0
	v_ashrrev_i32_e32 v8, 31, v4
	s_delay_alu instid0(VALU_DEP_4) | instskip(SKIP_2) | instid1(VALU_DEP_4)
	v_mul_lo_u32 v9, s58, v3
	v_mul_lo_u32 v10, s57, v4
	v_mad_co_u64_u32 v[3:4], null, s56, v4, 0
	v_mul_lo_u32 v8, s56, v8
	s_delay_alu instid0(VALU_DEP_4) | instskip(NEXT) | instid1(VALU_DEP_2)
	v_add3_u32 v6, v6, v9, v7
	v_add3_u32 v4, v4, v8, v10
	s_delay_alu instid0(VALU_DEP_2) | instskip(NEXT) | instid1(VALU_DEP_2)
	v_lshlrev_b64_e32 v[5:6], 2, v[5:6]
	v_lshlrev_b64_e32 v[3:4], 2, v[3:4]
	s_delay_alu instid0(VALU_DEP_2) | instskip(SKIP_1) | instid1(VALU_DEP_3)
	v_add_co_u32 v5, vcc_lo, s12, v5
	s_wait_alu 0xfffd
	v_add_co_ci_u32_e64 v6, null, s13, v6, vcc_lo
	s_delay_alu instid0(VALU_DEP_2) | instskip(SKIP_1) | instid1(VALU_DEP_2)
	v_add_co_u32 v3, vcc_lo, v5, v3
	s_wait_alu 0xfffd
	v_add_co_ci_u32_e64 v4, null, v6, v4, vcc_lo
	s_and_not1_b32 vcc_lo, exec_lo, s46
	s_wait_alu 0xfffe
	s_cbranch_vccnz .LBB3_2
; %bb.16:                               ;   in Loop: Header=BB3_3 Depth=1
	global_load_b32 v5, v[3:4], off
	s_wait_loadcnt 0x0
	v_cvt_f64_f32_e32 v[5:6], v5
	s_delay_alu instid0(VALU_DEP_1) | instskip(NEXT) | instid1(VALU_DEP_1)
	v_mul_f64_e32 v[5:6], s[50:51], v[5:6]
	v_fma_f64 v[1:2], s[48:49], v[1:2], v[5:6]
	s_branch .LBB3_2
.LBB3_17:
	s_endpgm
	.section	.rodata,"a",@progbits
	.p2align	6, 0x0
	.amdhsa_kernel naive_conv_ab_nonpacked_fwd_nchw_float_double_float_1
		.amdhsa_group_segment_fixed_size 0
		.amdhsa_private_segment_fixed_size 0
		.amdhsa_kernarg_size 480
		.amdhsa_user_sgpr_count 2
		.amdhsa_user_sgpr_dispatch_ptr 0
		.amdhsa_user_sgpr_queue_ptr 0
		.amdhsa_user_sgpr_kernarg_segment_ptr 1
		.amdhsa_user_sgpr_dispatch_id 0
		.amdhsa_user_sgpr_private_segment_size 0
		.amdhsa_wavefront_size32 1
		.amdhsa_uses_dynamic_stack 0
		.amdhsa_enable_private_segment 0
		.amdhsa_system_sgpr_workgroup_id_x 1
		.amdhsa_system_sgpr_workgroup_id_y 0
		.amdhsa_system_sgpr_workgroup_id_z 0
		.amdhsa_system_sgpr_workgroup_info 0
		.amdhsa_system_vgpr_workitem_id 0
		.amdhsa_next_free_vgpr 14
		.amdhsa_next_free_sgpr 69
		.amdhsa_reserve_vcc 1
		.amdhsa_float_round_mode_32 0
		.amdhsa_float_round_mode_16_64 0
		.amdhsa_float_denorm_mode_32 3
		.amdhsa_float_denorm_mode_16_64 3
		.amdhsa_fp16_overflow 0
		.amdhsa_workgroup_processor_mode 1
		.amdhsa_memory_ordered 1
		.amdhsa_forward_progress 1
		.amdhsa_inst_pref_size 13
		.amdhsa_round_robin_scheduling 0
		.amdhsa_exception_fp_ieee_invalid_op 0
		.amdhsa_exception_fp_denorm_src 0
		.amdhsa_exception_fp_ieee_div_zero 0
		.amdhsa_exception_fp_ieee_overflow 0
		.amdhsa_exception_fp_ieee_underflow 0
		.amdhsa_exception_fp_ieee_inexact 0
		.amdhsa_exception_int_div_zero 0
	.end_amdhsa_kernel
	.text
.Lfunc_end3:
	.size	naive_conv_ab_nonpacked_fwd_nchw_float_double_float_1, .Lfunc_end3-naive_conv_ab_nonpacked_fwd_nchw_float_double_float_1
                                        ; -- End function
	.set naive_conv_ab_nonpacked_fwd_nchw_float_double_float_1.num_vgpr, 14
	.set naive_conv_ab_nonpacked_fwd_nchw_float_double_float_1.num_agpr, 0
	.set naive_conv_ab_nonpacked_fwd_nchw_float_double_float_1.numbered_sgpr, 69
	.set naive_conv_ab_nonpacked_fwd_nchw_float_double_float_1.num_named_barrier, 0
	.set naive_conv_ab_nonpacked_fwd_nchw_float_double_float_1.private_seg_size, 0
	.set naive_conv_ab_nonpacked_fwd_nchw_float_double_float_1.uses_vcc, 1
	.set naive_conv_ab_nonpacked_fwd_nchw_float_double_float_1.uses_flat_scratch, 0
	.set naive_conv_ab_nonpacked_fwd_nchw_float_double_float_1.has_dyn_sized_stack, 0
	.set naive_conv_ab_nonpacked_fwd_nchw_float_double_float_1.has_recursion, 0
	.set naive_conv_ab_nonpacked_fwd_nchw_float_double_float_1.has_indirect_call, 0
	.section	.AMDGPU.csdata,"",@progbits
; Kernel info:
; codeLenInByte = 1572
; TotalNumSgprs: 71
; NumVgprs: 14
; ScratchSize: 0
; MemoryBound: 0
; FloatMode: 240
; IeeeMode: 1
; LDSByteSize: 0 bytes/workgroup (compile time only)
; SGPRBlocks: 0
; VGPRBlocks: 1
; NumSGPRsForWavesPerEU: 71
; NumVGPRsForWavesPerEU: 14
; Occupancy: 16
; WaveLimiterHint : 0
; COMPUTE_PGM_RSRC2:SCRATCH_EN: 0
; COMPUTE_PGM_RSRC2:USER_SGPR: 2
; COMPUTE_PGM_RSRC2:TRAP_HANDLER: 0
; COMPUTE_PGM_RSRC2:TGID_X_EN: 1
; COMPUTE_PGM_RSRC2:TGID_Y_EN: 0
; COMPUTE_PGM_RSRC2:TGID_Z_EN: 0
; COMPUTE_PGM_RSRC2:TIDIG_COMP_CNT: 0
	.text
	.protected	naive_conv_ab_packed_fwd_nchw_half_double_half_0 ; -- Begin function naive_conv_ab_packed_fwd_nchw_half_double_half_0
	.globl	naive_conv_ab_packed_fwd_nchw_half_double_half_0
	.p2align	8
	.type	naive_conv_ab_packed_fwd_nchw_half_double_half_0,@function
naive_conv_ab_packed_fwd_nchw_half_double_half_0: ; @naive_conv_ab_packed_fwd_nchw_half_double_half_0
; %bb.0:
	s_load_b512 s[4:19], s[0:1], 0xa0
	s_mov_b32 s25, exec_lo
	s_wait_kmcnt 0x0
	s_abs_i32 s3, s7
	s_mul_i32 s33, s10, s9
	s_cvt_f32_u32 s2, s3
	s_delay_alu instid0(SALU_CYCLE_3) | instskip(NEXT) | instid1(TRANS32_DEP_1)
	v_rcp_iflag_f32_e32 v1, s2
	v_readfirstlane_b32 s2, v1
	s_mul_f32 s2, s2, 0x4f7ffffe
	s_wait_alu 0xfffe
	s_delay_alu instid0(SALU_CYCLE_2) | instskip(SKIP_2) | instid1(SALU_CYCLE_1)
	s_cvt_u32_f32 s20, s2
	s_sub_co_i32 s2, 0, s3
	s_wait_alu 0xfffe
	s_mul_i32 s2, s2, s20
	s_wait_alu 0xfffe
	s_mul_hi_u32 s21, s20, s2
	s_abs_i32 s2, ttmp9
	s_add_co_i32 s20, s20, s21
	s_wait_alu 0xfffe
	s_mul_hi_u32 s20, s2, s20
	s_delay_alu instid0(SALU_CYCLE_1) | instskip(SKIP_2) | instid1(SALU_CYCLE_1)
	s_mul_i32 s21, s20, s3
	s_add_co_i32 s22, s20, 1
	s_sub_co_i32 s21, s2, s21
	s_sub_co_i32 s23, s21, s3
	s_cmp_ge_u32 s21, s3
	s_cselect_b32 s20, s22, s20
	s_cselect_b32 s21, s23, s21
	s_add_co_i32 s22, s20, 1
	s_cmp_ge_u32 s21, s3
	s_mul_i32 s21, s7, s6
	s_cselect_b32 s22, s22, s20
	s_abs_i32 s20, s6
	s_abs_i32 s6, s21
	s_cvt_f32_u32 s3, s20
	s_cvt_f32_u32 s23, s6
	s_wait_alu 0xfffe
	s_delay_alu instid0(SALU_CYCLE_1) | instskip(NEXT) | instid1(SALU_CYCLE_1)
	v_rcp_iflag_f32_e32 v1, s3
	v_rcp_iflag_f32_e32 v2, s23
	s_mov_b32 s3, 0
	s_delay_alu instid0(TRANS32_DEP_2) | instskip(NEXT) | instid1(TRANS32_DEP_1)
	v_readfirstlane_b32 s24, v1
	v_readfirstlane_b32 s23, v2
	v_cmpx_gt_i32_e64 s33, v0
	s_cbranch_execz .LBB4_19
; %bb.1:
	s_mul_f32 s24, s24, 0x4f7ffffe
	s_ashr_i32 s26, ttmp9, 31
	s_ashr_i32 s37, s7, 31
	s_sub_co_i32 s25, 0, s20
	s_cvt_u32_f32 s24, s24
	s_xor_b32 s27, s26, s37
	s_mul_f32 s28, s23, 0x4f7ffffe
	s_xor_b32 s22, s22, s27
	s_mul_i32 s25, s25, s24
	s_wait_alu 0xfffe
	s_sub_co_i32 s27, s22, s27
	s_mul_hi_u32 s23, s24, s25
	s_cvt_u32_f32 s28, s28
	s_abs_i32 s22, s27
	s_wait_alu 0xfffe
	s_add_co_i32 s24, s24, s23
	s_mov_b32 s23, s3
	s_mov_b32 s25, s3
	s_sub_co_i32 s29, 0, s6
	s_wait_alu 0xfffe
	s_mul_u64 s[24:25], s[22:23], s[24:25]
	s_mul_i32 s29, s29, s28
	s_ashr_i32 s23, s27, 31
	s_mul_hi_u32 s24, s28, s29
	s_ashr_i32 s29, s21, 31
	s_mul_i32 s21, s25, s20
	s_mul_i32 s27, s27, s7
	s_sub_co_i32 s21, s22, s21
	s_add_co_i32 s24, s28, s24
	s_sub_co_i32 s38, ttmp9, s27
	s_sub_co_i32 s22, s21, s20
	s_cmp_ge_u32 s21, s20
	s_mov_b32 s25, s3
	s_wait_alu 0xfffe
	s_cselect_b32 s22, s22, s21
	s_mov_b32 s34, s8
	s_wait_alu 0xfffe
	s_sub_co_i32 s27, s22, s20
	s_cmp_ge_u32 s22, s20
	s_mul_u64 s[20:21], s[2:3], s[24:25]
	s_cselect_b32 s20, s27, s22
	s_xor_b32 s22, s26, s29
	s_xor_b32 s20, s20, s23
	s_mov_b32 s28, s4
	s_sub_co_i32 s40, s20, s23
	s_mul_i32 s20, s21, s6
	s_mov_b32 s30, s5
	s_sub_co_i32 s2, s2, s20
	s_add_co_i32 s20, s21, 1
	s_wait_alu 0xfffe
	s_sub_co_i32 s23, s2, s6
	s_cmp_ge_u32 s2, s6
	s_mov_b32 s36, s7
	s_cselect_b32 s20, s20, s21
	s_wait_alu 0xfffe
	s_cselect_b32 s2, s23, s2
	s_add_co_i32 s21, s20, 1
	s_wait_alu 0xfffe
	s_cmp_ge_u32 s2, s6
	s_mul_i32 s6, s19, s7
	s_cselect_b32 s2, s21, s20
	s_mul_i32 s20, s19, s8
	s_wait_alu 0xfffe
	s_xor_b32 s2, s2, s22
	s_ashr_i32 s41, s40, 31
	s_ashr_i32 s21, s20, 31
	s_wait_alu 0xfffe
	s_sub_co_i32 s42, s2, s22
	s_mul_u64 s[44:45], s[40:41], s[20:21]
	s_load_b256 s[20:27], s[0:1], 0x0
	s_ashr_i32 s43, s42, 31
	s_ashr_i32 s35, s8, 31
	;; [unrolled: 1-line block ×4, first 2 shown]
	s_mul_u64 s[4:5], s[42:43], s[34:35]
	s_mul_u64 s[46:47], s[30:31], s[28:29]
	s_add_nc_u64 s[4:5], s[4:5], s[44:45]
	s_mul_u64 s[36:37], s[42:43], s[36:37]
	s_mul_u64 s[4:5], s[46:47], s[4:5]
	s_ashr_i32 s7, s6, 31
	s_ashr_i32 s39, s38, 31
	s_lshl_b64 s[44:45], s[4:5], 1
	s_mul_u64 s[40:41], s[40:41], s[6:7]
	s_ashr_i32 s7, s9, 31
	s_mov_b32 s6, s9
	s_ashr_i32 s5, s10, 31
	s_mov_b32 s4, s10
	s_add_nc_u64 s[36:37], s[36:37], s[38:39]
	s_mul_u64 s[38:39], s[4:5], s[6:7]
	s_wait_kmcnt 0x0
	v_cmp_neq_f64_e64 s2, s[24:25], 1.0
	v_cmp_neq_f64_e64 s42, s[26:27], 0
	s_add_nc_u64 s[40:41], s[36:37], s[40:41]
	s_ashr_i32 s7, s17, 31
	s_mul_u64 s[38:39], s[38:39], s[40:41]
	s_ashr_i32 s19, s18, 31
	s_lshl_b64 s[38:39], s[38:39], 1
	s_cmp_gt_i32 s8, 0
	s_clause 0x1
	s_load_b64 s[40:41], s[0:1], 0x20
	s_load_b32 s43, s[0:1], 0xec
	s_cselect_b32 s48, -1, 0
	s_cmp_gt_i32 s17, 0
	s_add_nc_u64 s[8:9], s[20:21], s[44:45]
	s_cselect_b32 s49, -1, 0
	s_cmp_gt_i32 s18, 0
	v_dual_mov_b32 v2, 0 :: v_dual_mov_b32 v7, 0x7e00
	s_cselect_b32 s50, -1, 0
	s_abs_i32 s10, s10
	s_delay_alu instid0(SALU_CYCLE_1) | instskip(NEXT) | instid1(SALU_CYCLE_3)
	s_cvt_f32_u32 s6, s10
	v_rcp_iflag_f32_e32 v1, s6
	s_mov_b32 s6, s17
	s_wait_kmcnt 0x0
	s_add_nc_u64 s[20:21], s[40:41], s[38:39]
	s_sub_co_i32 s38, 0, s10
	s_delay_alu instid0(TRANS32_DEP_1)
	v_readfirstlane_b32 s0, v1
	s_mul_f32 s17, s0, 0x4f7ffffe
	s_wait_alu 0xfffe
	s_mul_u64 s[0:1], s[18:19], s[6:7]
	s_or_b32 s7, s2, s42
	s_mul_u64 s[36:37], s[0:1], s[36:37]
	s_cvt_u32_f32 s2, s17
	s_mul_u64 s[36:37], s[36:37], s[34:35]
	s_and_b32 s17, s43, 0xffff
	s_lshl_b64 s[36:37], s[36:37], 1
	s_wait_alu 0xfffe
	s_mul_i32 s38, s38, s2
	s_add_nc_u64 s[22:23], s[22:23], s[36:37]
	s_mul_hi_u32 s35, s2, s38
	s_lshl_b64 s[36:37], s[0:1], 1
	s_add_co_i32 s35, s2, s35
	s_lshl_b64 s[38:39], s[18:19], 1
	s_mov_b32 s19, 0
	s_branch .LBB4_3
.LBB4_2:                                ;   in Loop: Header=BB4_3 Depth=1
	v_add_nc_u32_e32 v0, s17, v0
	s_delay_alu instid0(VALU_DEP_1) | instskip(SKIP_1) | instid1(SALU_CYCLE_1)
	v_cmp_le_i32_e32 vcc_lo, s33, v0
	s_or_b32 s19, vcc_lo, s19
	s_and_not1_b32 exec_lo, exec_lo, s19
	s_cbranch_execz .LBB4_19
.LBB4_3:                                ; =>This Loop Header: Depth=1
                                        ;     Child Loop BB4_6 Depth 2
                                        ;       Child Loop BB4_9 Depth 3
                                        ;         Child Loop BB4_12 Depth 4
	v_sub_nc_u32_e32 v1, 0, v0
	s_delay_alu instid0(VALU_DEP_1) | instskip(NEXT) | instid1(VALU_DEP_1)
	v_max_i32_e32 v1, v0, v1
	v_mul_hi_u32 v3, v1, s35
	s_delay_alu instid0(VALU_DEP_1) | instskip(NEXT) | instid1(VALU_DEP_1)
	v_mul_lo_u32 v4, v3, s10
	v_sub_nc_u32_e32 v1, v1, v4
	s_delay_alu instid0(VALU_DEP_1) | instskip(SKIP_2) | instid1(VALU_DEP_2)
	v_subrev_nc_u32_e32 v5, s10, v1
	v_cmp_le_u32_e32 vcc_lo, s10, v1
	s_wait_alu 0xfffd
	v_dual_cndmask_b32 v1, v1, v5 :: v_dual_add_nc_u32 v4, 1, v3
	s_delay_alu instid0(VALU_DEP_1) | instskip(SKIP_1) | instid1(VALU_DEP_3)
	v_cndmask_b32_e32 v3, v3, v4, vcc_lo
	v_ashrrev_i32_e32 v4, 31, v0
	v_cmp_le_u32_e32 vcc_lo, s10, v1
	s_delay_alu instid0(VALU_DEP_3) | instskip(NEXT) | instid1(VALU_DEP_3)
	v_add_nc_u32_e32 v5, 1, v3
	v_xor_b32_e32 v4, s5, v4
	s_wait_alu 0xfffd
	s_delay_alu instid0(VALU_DEP_2) | instskip(SKIP_1) | instid1(VALU_DEP_1)
	v_cndmask_b32_e32 v1, v3, v5, vcc_lo
	s_and_not1_b32 vcc_lo, exec_lo, s48
	v_xor_b32_e32 v1, v1, v4
	s_delay_alu instid0(VALU_DEP_1) | instskip(NEXT) | instid1(VALU_DEP_1)
	v_sub_nc_u32_e32 v8, v1, v4
	v_mul_lo_u32 v1, v8, s4
	s_delay_alu instid0(VALU_DEP_1)
	v_sub_nc_u32_e32 v5, v0, v1
	s_wait_alu 0xfffe
	s_cbranch_vccnz .LBB4_14
; %bb.4:                                ;   in Loop: Header=BB4_3 Depth=1
	v_mul_lo_u32 v1, v8, s11
	s_delay_alu instid0(VALU_DEP_2) | instskip(SKIP_4) | instid1(VALU_DEP_4)
	v_mul_lo_u32 v9, v5, s12
	v_mov_b32_e32 v3, 0
	v_mov_b32_e32 v4, 0
	s_mov_b32 s2, 0
	s_mov_b64 s[40:41], s[22:23]
	v_subrev_nc_u32_e32 v6, s15, v1
	s_delay_alu instid0(VALU_DEP_4)
	v_subrev_nc_u32_e32 v9, s16, v9
	s_branch .LBB4_6
.LBB4_5:                                ;   in Loop: Header=BB4_6 Depth=2
	s_add_co_i32 s2, s2, 1
	s_add_nc_u64 s[40:41], s[40:41], s[36:37]
	s_wait_alu 0xfffe
	s_cmp_eq_u32 s2, s34
	s_cbranch_scc1 .LBB4_15
.LBB4_6:                                ;   Parent Loop BB4_3 Depth=1
                                        ; =>  This Loop Header: Depth=2
                                        ;       Child Loop BB4_9 Depth 3
                                        ;         Child Loop BB4_12 Depth 4
	s_and_not1_b32 vcc_lo, exec_lo, s49
	s_wait_alu 0xfffe
	s_cbranch_vccnz .LBB4_5
; %bb.7:                                ;   in Loop: Header=BB4_6 Depth=2
	s_mul_u64 s[42:43], s[2:3], s[28:29]
	s_mov_b32 s51, 0
	s_mov_b64 s[44:45], s[40:41]
	s_branch .LBB4_9
.LBB4_8:                                ;   in Loop: Header=BB4_9 Depth=3
	s_add_co_i32 s51, s51, 1
	s_add_nc_u64 s[44:45], s[44:45], s[38:39]
	s_wait_alu 0xfffe
	s_cmp_eq_u32 s51, s6
	s_cbranch_scc1 .LBB4_5
.LBB4_9:                                ;   Parent Loop BB4_3 Depth=1
                                        ;     Parent Loop BB4_6 Depth=2
                                        ; =>    This Loop Header: Depth=3
                                        ;         Child Loop BB4_12 Depth 4
	s_and_not1_b32 vcc_lo, exec_lo, s50
	s_wait_alu 0xfffe
	s_cbranch_vccnz .LBB4_8
; %bb.10:                               ;   in Loop: Header=BB4_9 Depth=3
	v_mad_co_u64_u32 v[10:11], null, s51, s13, v[6:7]
	s_mov_b64 s[46:47], s[44:45]
	s_mov_b32 s52, s18
	v_add_co_u32 v1, s0, s42, v10
	s_wait_alu 0xf1ff
	v_add_co_ci_u32_e64 v11, null, s43, 0, s0
	v_cmp_gt_i32_e32 vcc_lo, 0, v10
	s_delay_alu instid0(VALU_DEP_3) | instskip(SKIP_1) | instid1(VALU_DEP_4)
	v_mul_lo_u32 v14, v1, s31
	v_cmp_le_i32_e64 s0, s28, v10
	v_mul_lo_u32 v13, v11, s30
	v_mad_co_u64_u32 v[11:12], null, v1, s30, 0
	v_mov_b32_e32 v1, v9
	s_delay_alu instid0(VALU_DEP_2) | instskip(NEXT) | instid1(VALU_DEP_1)
	v_add3_u32 v12, v12, v14, v13
	v_lshlrev_b64_e32 v[11:12], 1, v[11:12]
	s_delay_alu instid0(VALU_DEP_1) | instskip(SKIP_1) | instid1(VALU_DEP_2)
	v_add_co_u32 v10, s1, s8, v11
	s_wait_alu 0xf1ff
	v_add_co_ci_u32_e64 v11, null, s9, v12, s1
	s_or_b32 s1, vcc_lo, s0
	s_branch .LBB4_12
.LBB4_11:                               ;   in Loop: Header=BB4_12 Depth=4
	s_wait_alu 0xfffe
	s_or_b32 exec_lo, exec_lo, s0
	v_add_nc_u32_e32 v1, s14, v1
	s_add_co_i32 s52, s52, -1
	s_add_nc_u64 s[46:47], s[46:47], 2
	s_cmp_eq_u32 s52, 0
	s_cbranch_scc1 .LBB4_8
.LBB4_12:                               ;   Parent Loop BB4_3 Depth=1
                                        ;     Parent Loop BB4_6 Depth=2
                                        ;       Parent Loop BB4_9 Depth=3
                                        ; =>      This Inner Loop Header: Depth=4
	v_cmp_gt_i32_e32 vcc_lo, 0, v1
	v_cmp_le_i32_e64 s0, s30, v1
	s_or_b32 s0, vcc_lo, s0
	s_wait_alu 0xfffe
	s_nor_b32 s53, s1, s0
	s_delay_alu instid0(SALU_CYCLE_1)
	s_and_saveexec_b32 s0, s53
	s_cbranch_execz .LBB4_11
; %bb.13:                               ;   in Loop: Header=BB4_12 Depth=4
	v_lshlrev_b64_e32 v[12:13], 1, v[1:2]
	s_delay_alu instid0(VALU_DEP_1) | instskip(SKIP_1) | instid1(VALU_DEP_2)
	v_add_co_u32 v12, vcc_lo, v10, v12
	s_wait_alu 0xfffd
	v_add_co_ci_u32_e64 v13, null, v11, v13, vcc_lo
	global_load_u16 v12, v[12:13], off
	global_load_u16 v13, v2, s[46:47]
	s_wait_loadcnt 0x1
	v_cvt_f32_f16_e32 v12, v12
	s_wait_loadcnt 0x0
	v_cvt_f32_f16_e32 v14, v13
	s_delay_alu instid0(VALU_DEP_2) | instskip(NEXT) | instid1(VALU_DEP_2)
	v_cvt_f64_f32_e32 v[12:13], v12
	v_cvt_f64_f32_e32 v[14:15], v14
	s_delay_alu instid0(VALU_DEP_1)
	v_fma_f64 v[3:4], v[12:13], v[14:15], v[3:4]
	s_branch .LBB4_11
.LBB4_14:                               ;   in Loop: Header=BB4_3 Depth=1
	v_mov_b32_e32 v3, 0
	v_mov_b32_e32 v4, 0
.LBB4_15:                               ;   in Loop: Header=BB4_3 Depth=1
	v_ashrrev_i32_e32 v6, 31, v5
	s_and_b32 vcc_lo, exec_lo, s7
	s_mov_b32 s0, -1
	s_delay_alu instid0(VALU_DEP_1)
	v_mad_co_i64_i32 v[5:6], null, v8, s4, v[5:6]
	s_wait_alu 0xfffe
	s_cbranch_vccz .LBB4_17
; %bb.16:                               ;   in Loop: Header=BB4_3 Depth=1
	s_delay_alu instid0(VALU_DEP_1) | instskip(SKIP_1) | instid1(VALU_DEP_1)
	v_lshlrev_b64_e32 v[8:9], 1, v[5:6]
	s_mov_b32 s0, 0
	v_add_co_u32 v8, vcc_lo, s20, v8
	s_wait_alu 0xfffd
	s_delay_alu instid0(VALU_DEP_2) | instskip(SKIP_3) | instid1(VALU_DEP_1)
	v_add_co_ci_u32_e64 v9, null, s21, v9, vcc_lo
	global_load_u16 v1, v[8:9], off
	s_wait_loadcnt 0x0
	v_cvt_f32_f16_e32 v1, v1
	v_cvt_f64_f32_e32 v[10:11], v1
	s_delay_alu instid0(VALU_DEP_1) | instskip(NEXT) | instid1(VALU_DEP_1)
	v_mul_f64_e32 v[10:11], s[26:27], v[10:11]
	v_fma_f64 v[10:11], s[24:25], v[3:4], v[10:11]
	s_delay_alu instid0(VALU_DEP_1) | instskip(SKIP_2) | instid1(VALU_DEP_3)
	v_and_or_b32 v1, 0x1ff, v11, v10
	v_lshrrev_b32_e32 v10, 8, v11
	v_bfe_u32 v12, v11, 20, 11
	v_cmp_ne_u32_e32 vcc_lo, 0, v1
	s_delay_alu instid0(VALU_DEP_2) | instskip(SKIP_3) | instid1(VALU_DEP_1)
	v_sub_nc_u32_e32 v13, 0x3f1, v12
	v_add_nc_u32_e32 v12, 0xfffffc10, v12
	s_wait_alu 0xfffd
	v_cndmask_b32_e64 v1, 0, 1, vcc_lo
	v_and_or_b32 v1, 0xffe, v10, v1
	v_med3_i32 v10, v13, 0, 13
	s_delay_alu instid0(VALU_DEP_2) | instskip(NEXT) | instid1(VALU_DEP_1)
	v_or_b32_e32 v13, 0x1000, v1
	v_lshrrev_b32_e32 v14, v10, v13
	s_delay_alu instid0(VALU_DEP_1) | instskip(NEXT) | instid1(VALU_DEP_1)
	v_lshlrev_b32_e32 v10, v10, v14
	v_cmp_ne_u32_e32 vcc_lo, v10, v13
	v_lshl_or_b32 v13, v12, 12, v1
	s_wait_alu 0xfffd
	v_cndmask_b32_e64 v10, 0, 1, vcc_lo
	v_cmp_gt_i32_e32 vcc_lo, 1, v12
	s_delay_alu instid0(VALU_DEP_2) | instskip(SKIP_1) | instid1(VALU_DEP_1)
	v_or_b32_e32 v10, v14, v10
	s_wait_alu 0xfffd
	v_cndmask_b32_e32 v10, v13, v10, vcc_lo
	s_delay_alu instid0(VALU_DEP_1) | instskip(SKIP_1) | instid1(VALU_DEP_2)
	v_and_b32_e32 v13, 7, v10
	v_lshrrev_b32_e32 v10, 2, v10
	v_cmp_lt_i32_e32 vcc_lo, 5, v13
	s_wait_alu 0xfffd
	v_cndmask_b32_e64 v14, 0, 1, vcc_lo
	v_cmp_eq_u32_e32 vcc_lo, 3, v13
	s_wait_alu 0xfffd
	v_cndmask_b32_e64 v13, 0, 1, vcc_lo
	v_cmp_ne_u32_e32 vcc_lo, 0, v1
	s_delay_alu instid0(VALU_DEP_2) | instskip(SKIP_3) | instid1(VALU_DEP_3)
	v_or_b32_e32 v13, v13, v14
	s_wait_alu 0xfffd
	v_cndmask_b32_e32 v1, 0x7c00, v7, vcc_lo
	v_cmp_gt_i32_e32 vcc_lo, 31, v12
	v_add_nc_u32_e32 v10, v10, v13
	s_wait_alu 0xfffd
	s_delay_alu instid0(VALU_DEP_1) | instskip(SKIP_2) | instid1(VALU_DEP_2)
	v_cndmask_b32_e32 v10, 0x7c00, v10, vcc_lo
	v_cmp_eq_u32_e32 vcc_lo, 0x40f, v12
	s_wait_alu 0xfffd
	v_cndmask_b32_e32 v1, v10, v1, vcc_lo
	v_lshrrev_b32_e32 v10, 16, v11
	s_delay_alu instid0(VALU_DEP_1)
	v_and_or_b32 v1, 0x8000, v10, v1
	global_store_b16 v[8:9], v1, off
.LBB4_17:                               ;   in Loop: Header=BB4_3 Depth=1
	s_wait_alu 0xfffe
	s_and_not1_b32 vcc_lo, exec_lo, s0
	s_wait_alu 0xfffe
	s_cbranch_vccnz .LBB4_2
; %bb.18:                               ;   in Loop: Header=BB4_3 Depth=1
	s_delay_alu instid0(VALU_DEP_3) | instskip(SKIP_2) | instid1(VALU_DEP_3)
	v_and_or_b32 v1, 0x1ff, v4, v3
	v_lshrrev_b32_e32 v3, 8, v4
	v_bfe_u32 v8, v4, 20, 11
	v_cmp_ne_u32_e32 vcc_lo, 0, v1
	s_delay_alu instid0(VALU_DEP_2) | instskip(SKIP_2) | instid1(VALU_DEP_1)
	v_sub_nc_u32_e32 v9, 0x3f1, v8
	s_wait_alu 0xfffd
	v_cndmask_b32_e64 v1, 0, 1, vcc_lo
	v_and_or_b32 v1, 0xffe, v3, v1
	s_delay_alu instid0(VALU_DEP_3) | instskip(NEXT) | instid1(VALU_DEP_2)
	v_med3_i32 v3, v9, 0, 13
	v_or_b32_e32 v9, 0x1000, v1
	s_delay_alu instid0(VALU_DEP_1) | instskip(NEXT) | instid1(VALU_DEP_1)
	v_lshrrev_b32_e32 v10, v3, v9
	v_lshlrev_b32_e32 v3, v3, v10
	s_delay_alu instid0(VALU_DEP_1) | instskip(SKIP_2) | instid1(VALU_DEP_1)
	v_cmp_ne_u32_e32 vcc_lo, v3, v9
	s_wait_alu 0xfffd
	v_cndmask_b32_e64 v3, 0, 1, vcc_lo
	v_or_b32_e32 v3, v10, v3
	v_add_nc_u32_e32 v8, 0xfffffc10, v8
	s_delay_alu instid0(VALU_DEP_1) | instskip(SKIP_2) | instid1(VALU_DEP_2)
	v_lshl_or_b32 v9, v8, 12, v1
	v_cmp_gt_i32_e32 vcc_lo, 1, v8
	s_wait_alu 0xfffd
	v_cndmask_b32_e32 v3, v9, v3, vcc_lo
	s_delay_alu instid0(VALU_DEP_1) | instskip(SKIP_1) | instid1(VALU_DEP_2)
	v_and_b32_e32 v9, 7, v3
	v_lshrrev_b32_e32 v3, 2, v3
	v_cmp_lt_i32_e32 vcc_lo, 5, v9
	s_wait_alu 0xfffd
	v_cndmask_b32_e64 v10, 0, 1, vcc_lo
	v_cmp_eq_u32_e32 vcc_lo, 3, v9
	s_wait_alu 0xfffd
	v_cndmask_b32_e64 v9, 0, 1, vcc_lo
	v_cmp_ne_u32_e32 vcc_lo, 0, v1
	s_delay_alu instid0(VALU_DEP_2) | instskip(SKIP_3) | instid1(VALU_DEP_3)
	v_or_b32_e32 v9, v9, v10
	s_wait_alu 0xfffd
	v_cndmask_b32_e32 v1, 0x7c00, v7, vcc_lo
	v_cmp_gt_i32_e32 vcc_lo, 31, v8
	v_add_nc_u32_e32 v3, v3, v9
	v_lshrrev_b32_e32 v9, 16, v4
	s_wait_alu 0xfffd
	s_delay_alu instid0(VALU_DEP_2) | instskip(SKIP_2) | instid1(VALU_DEP_2)
	v_cndmask_b32_e32 v3, 0x7c00, v3, vcc_lo
	v_cmp_eq_u32_e32 vcc_lo, 0x40f, v8
	s_wait_alu 0xfffd
	v_cndmask_b32_e32 v1, v3, v1, vcc_lo
	v_lshlrev_b64_e32 v[3:4], 1, v[5:6]
	s_delay_alu instid0(VALU_DEP_2) | instskip(NEXT) | instid1(VALU_DEP_2)
	v_and_or_b32 v1, 0x8000, v9, v1
	v_add_co_u32 v3, vcc_lo, s20, v3
	s_wait_alu 0xfffd
	s_delay_alu instid0(VALU_DEP_3)
	v_add_co_ci_u32_e64 v4, null, s21, v4, vcc_lo
	global_store_b16 v[3:4], v1, off
	s_branch .LBB4_2
.LBB4_19:
	s_endpgm
	.section	.rodata,"a",@progbits
	.p2align	6, 0x0
	.amdhsa_kernel naive_conv_ab_packed_fwd_nchw_half_double_half_0
		.amdhsa_group_segment_fixed_size 0
		.amdhsa_private_segment_fixed_size 0
		.amdhsa_kernarg_size 480
		.amdhsa_user_sgpr_count 2
		.amdhsa_user_sgpr_dispatch_ptr 0
		.amdhsa_user_sgpr_queue_ptr 0
		.amdhsa_user_sgpr_kernarg_segment_ptr 1
		.amdhsa_user_sgpr_dispatch_id 0
		.amdhsa_user_sgpr_private_segment_size 0
		.amdhsa_wavefront_size32 1
		.amdhsa_uses_dynamic_stack 0
		.amdhsa_enable_private_segment 0
		.amdhsa_system_sgpr_workgroup_id_x 1
		.amdhsa_system_sgpr_workgroup_id_y 0
		.amdhsa_system_sgpr_workgroup_id_z 0
		.amdhsa_system_sgpr_workgroup_info 0
		.amdhsa_system_vgpr_workitem_id 0
		.amdhsa_next_free_vgpr 16
		.amdhsa_next_free_sgpr 54
		.amdhsa_reserve_vcc 1
		.amdhsa_float_round_mode_32 0
		.amdhsa_float_round_mode_16_64 0
		.amdhsa_float_denorm_mode_32 3
		.amdhsa_float_denorm_mode_16_64 3
		.amdhsa_fp16_overflow 0
		.amdhsa_workgroup_processor_mode 1
		.amdhsa_memory_ordered 1
		.amdhsa_forward_progress 1
		.amdhsa_inst_pref_size 17
		.amdhsa_round_robin_scheduling 0
		.amdhsa_exception_fp_ieee_invalid_op 0
		.amdhsa_exception_fp_denorm_src 0
		.amdhsa_exception_fp_ieee_div_zero 0
		.amdhsa_exception_fp_ieee_overflow 0
		.amdhsa_exception_fp_ieee_underflow 0
		.amdhsa_exception_fp_ieee_inexact 0
		.amdhsa_exception_int_div_zero 0
	.end_amdhsa_kernel
	.text
.Lfunc_end4:
	.size	naive_conv_ab_packed_fwd_nchw_half_double_half_0, .Lfunc_end4-naive_conv_ab_packed_fwd_nchw_half_double_half_0
                                        ; -- End function
	.set naive_conv_ab_packed_fwd_nchw_half_double_half_0.num_vgpr, 16
	.set naive_conv_ab_packed_fwd_nchw_half_double_half_0.num_agpr, 0
	.set naive_conv_ab_packed_fwd_nchw_half_double_half_0.numbered_sgpr, 54
	.set naive_conv_ab_packed_fwd_nchw_half_double_half_0.num_named_barrier, 0
	.set naive_conv_ab_packed_fwd_nchw_half_double_half_0.private_seg_size, 0
	.set naive_conv_ab_packed_fwd_nchw_half_double_half_0.uses_vcc, 1
	.set naive_conv_ab_packed_fwd_nchw_half_double_half_0.uses_flat_scratch, 0
	.set naive_conv_ab_packed_fwd_nchw_half_double_half_0.has_dyn_sized_stack, 0
	.set naive_conv_ab_packed_fwd_nchw_half_double_half_0.has_recursion, 0
	.set naive_conv_ab_packed_fwd_nchw_half_double_half_0.has_indirect_call, 0
	.section	.AMDGPU.csdata,"",@progbits
; Kernel info:
; codeLenInByte = 2132
; TotalNumSgprs: 56
; NumVgprs: 16
; ScratchSize: 0
; MemoryBound: 0
; FloatMode: 240
; IeeeMode: 1
; LDSByteSize: 0 bytes/workgroup (compile time only)
; SGPRBlocks: 0
; VGPRBlocks: 1
; NumSGPRsForWavesPerEU: 56
; NumVGPRsForWavesPerEU: 16
; Occupancy: 16
; WaveLimiterHint : 0
; COMPUTE_PGM_RSRC2:SCRATCH_EN: 0
; COMPUTE_PGM_RSRC2:USER_SGPR: 2
; COMPUTE_PGM_RSRC2:TRAP_HANDLER: 0
; COMPUTE_PGM_RSRC2:TGID_X_EN: 1
; COMPUTE_PGM_RSRC2:TGID_Y_EN: 0
; COMPUTE_PGM_RSRC2:TGID_Z_EN: 0
; COMPUTE_PGM_RSRC2:TIDIG_COMP_CNT: 0
	.text
	.protected	naive_conv_ab_nonpacked_fwd_nchw_half_double_half_0 ; -- Begin function naive_conv_ab_nonpacked_fwd_nchw_half_double_half_0
	.globl	naive_conv_ab_nonpacked_fwd_nchw_half_double_half_0
	.p2align	8
	.type	naive_conv_ab_nonpacked_fwd_nchw_half_double_half_0,@function
naive_conv_ab_nonpacked_fwd_nchw_half_double_half_0: ; @naive_conv_ab_nonpacked_fwd_nchw_half_double_half_0
; %bb.0:
	s_load_b256 s[20:27], s[0:1], 0xa0
	s_mov_b32 s9, exec_lo
	s_wait_kmcnt 0x0
	s_abs_i32 s3, s23
	s_mul_i32 s25, s26, s25
	s_cvt_f32_u32 s2, s3
	s_delay_alu instid0(SALU_CYCLE_3) | instskip(NEXT) | instid1(TRANS32_DEP_1)
	v_rcp_iflag_f32_e32 v1, s2
	v_readfirstlane_b32 s2, v1
	s_mul_f32 s2, s2, 0x4f7ffffe
	s_wait_alu 0xfffe
	s_delay_alu instid0(SALU_CYCLE_2) | instskip(SKIP_2) | instid1(SALU_CYCLE_1)
	s_cvt_u32_f32 s4, s2
	s_sub_co_i32 s2, 0, s3
	s_wait_alu 0xfffe
	s_mul_i32 s2, s2, s4
	s_wait_alu 0xfffe
	s_mul_hi_u32 s5, s4, s2
	s_abs_i32 s2, ttmp9
	s_add_co_i32 s4, s4, s5
	s_wait_alu 0xfffe
	s_mul_hi_u32 s4, s2, s4
	s_delay_alu instid0(SALU_CYCLE_1) | instskip(SKIP_2) | instid1(SALU_CYCLE_1)
	s_mul_i32 s5, s4, s3
	s_add_co_i32 s6, s4, 1
	s_sub_co_i32 s5, s2, s5
	s_sub_co_i32 s7, s5, s3
	s_cmp_ge_u32 s5, s3
	s_cselect_b32 s4, s6, s4
	s_cselect_b32 s5, s7, s5
	s_add_co_i32 s6, s4, 1
	s_cmp_ge_u32 s5, s3
	s_mul_i32 s5, s23, s22
	s_cselect_b32 s6, s6, s4
	s_abs_i32 s4, s22
	s_abs_i32 s22, s5
	s_cvt_f32_u32 s3, s4
	s_cvt_f32_u32 s7, s22
	s_wait_alu 0xfffe
	s_delay_alu instid0(SALU_CYCLE_1) | instskip(NEXT) | instid1(SALU_CYCLE_1)
	v_rcp_iflag_f32_e32 v1, s3
	v_rcp_iflag_f32_e32 v2, s7
	s_mov_b32 s3, 0
	s_delay_alu instid0(TRANS32_DEP_2) | instskip(NEXT) | instid1(TRANS32_DEP_1)
	v_readfirstlane_b32 s8, v1
	v_readfirstlane_b32 s7, v2
	v_cmpx_gt_i32_e64 s25, v0
	s_cbranch_execz .LBB5_19
; %bb.1:
	s_mul_f32 s8, s8, 0x4f7ffffe
	s_ashr_i32 s33, ttmp9, 31
	s_ashr_i32 s9, s23, 31
	s_sub_co_i32 s10, 0, s4
	s_cvt_u32_f32 s8, s8
	s_xor_b32 s9, s33, s9
	s_mul_f32 s11, s7, 0x4f7ffffe
	s_xor_b32 s6, s6, s9
	s_mul_i32 s10, s10, s8
	s_wait_alu 0xfffe
	s_sub_co_i32 s12, s6, s9
	s_mul_hi_u32 s7, s8, s10
	s_abs_i32 s6, s12
	s_wait_alu 0xfffe
	s_add_co_i32 s8, s8, s7
	s_mov_b32 s7, s3
	s_cvt_u32_f32 s10, s11
	s_mov_b32 s9, s3
	s_sub_co_i32 s11, 0, s22
	s_wait_alu 0xfffe
	s_mul_u64 s[8:9], s[6:7], s[8:9]
	s_mul_i32 s11, s11, s10
	s_ashr_i32 s36, s5, 31
	s_mul_i32 s5, s9, s4
	s_ashr_i32 s35, s12, 31
	s_mul_hi_u32 s7, s10, s11
	s_mul_i32 s12, s12, s23
	s_sub_co_i32 s5, s6, s5
	s_wait_alu 0xfffe
	s_add_co_i32 s8, s10, s7
	s_sub_co_i32 s34, ttmp9, s12
	s_sub_co_i32 s6, s5, s4
	s_cmp_ge_u32 s5, s4
	s_mov_b32 s9, s3
	s_wait_alu 0xfffe
	s_cselect_b32 s5, s6, s5
	s_mul_u64 s[44:45], s[2:3], s[8:9]
	s_sub_co_i32 s6, s5, s4
	s_cmp_ge_u32 s5, s4
	s_clause 0x1
	s_load_b64 s[52:53], s[0:1], 0x98
	s_load_b128 s[28:31], s[0:1], 0x88
	s_cselect_b32 s23, s6, s5
	s_xor_b32 s33, s33, s36
	s_xor_b32 s23, s23, s35
	s_load_b256 s[36:43], s[0:1], 0x0
	s_sub_co_i32 s54, s23, s35
	s_mul_i32 s23, s45, s22
	s_load_b512 s[4:19], s[0:1], 0x28
	s_sub_co_i32 s2, s2, s23
	s_add_co_i32 s23, s45, 1
	s_wait_alu 0xfffe
	s_sub_co_i32 s35, s2, s22
	s_cmp_ge_u32 s2, s22
	s_load_b64 s[64:65], s[0:1], 0x20
	s_cselect_b32 s23, s23, s45
	s_load_b256 s[44:51], s[0:1], 0xc0
	s_cselect_b32 s2, s35, s2
	s_add_co_i32 s35, s23, 1
	s_wait_alu 0xfffe
	s_cmp_ge_u32 s2, s22
	s_load_b32 s67, s[0:1], 0xec
	s_cselect_b32 s2, s35, s23
	s_ashr_i32 s55, s54, 31
	s_wait_alu 0xfffe
	s_xor_b32 s2, s2, s33
	s_ashr_i32 s35, s34, 31
	s_wait_alu 0xfffe
	s_sub_co_i32 s22, s2, s33
	s_wait_kmcnt 0x0
	v_cmp_neq_f64_e64 s2, s[40:41], 1.0
	v_cmp_neq_f64_e64 s66, s[42:43], 0
	s_ashr_i32 s23, s22, 31
	s_mul_u64 s[12:13], s[12:13], s[54:55]
	s_mul_u64 s[10:11], s[10:11], s[22:23]
	;; [unrolled: 1-line block ×5, first 2 shown]
	s_lshl_b64 s[12:13], s[12:13], 1
	s_lshl_b64 s[10:11], s[10:11], 1
	;; [unrolled: 1-line block ×5, first 2 shown]
	s_cmp_gt_i32 s24, 0
	s_add_nc_u64 s[12:13], s[36:37], s[12:13]
	s_cselect_b32 s33, -1, 0
	s_cmp_gt_i32 s49, 0
	s_add_nc_u64 s[10:11], s[12:13], s[10:11]
	s_cselect_b32 s51, -1, 0
	s_cmp_gt_i32 s50, 0
	v_dual_mov_b32 v5, 0 :: v_dual_mov_b32 v6, 0x7e00
	s_cselect_b32 s60, -1, 0
	s_abs_i32 s61, s26
	s_lshl_b64 s[18:19], s[18:19], 1
	s_cvt_f32_u32 s52, s61
	s_lshl_b64 s[16:17], s[16:17], 1
	s_lshl_b64 s[14:15], s[14:15], 1
	s_delay_alu instid0(SALU_CYCLE_1)
	v_rcp_iflag_f32_e32 v1, s52
	s_load_b256 s[52:59], s[0:1], 0x68
	s_add_nc_u64 s[0:1], s[64:65], s[62:63]
	s_and_b32 s63, s67, 0xffff
	s_add_nc_u64 s[0:1], s[0:1], s[30:31]
	s_ashr_i32 s64, s26, 31
	s_add_nc_u64 s[12:13], s[0:1], s[28:29]
	s_sub_co_i32 s0, 0, s61
	s_delay_alu instid0(TRANS32_DEP_1) | instskip(SKIP_2) | instid1(SALU_CYCLE_3)
	v_readfirstlane_b32 s68, v1
	s_or_b32 s62, s2, s66
	s_mul_f32 s30, s68, 0x4f7ffffe
	s_cvt_u32_f32 s2, s30
	s_wait_kmcnt 0x0
	s_mul_u64 s[22:23], s[54:55], s[22:23]
	s_wait_alu 0xfffe
	s_mul_i32 s28, s0, s2
	s_mul_u64 s[0:1], s[52:53], s[34:35]
	s_lshl_b64 s[22:23], s[22:23], 1
	s_lshl_b64 s[0:1], s[0:1], 1
	s_mul_hi_u32 s28, s2, s28
	s_add_nc_u64 s[0:1], s[0:1], s[22:23]
	s_add_co_i32 s52, s2, s28
	s_add_nc_u64 s[22:23], s[38:39], s[0:1]
	s_mov_b32 s38, 0
	s_branch .LBB5_3
.LBB5_2:                                ;   in Loop: Header=BB5_3 Depth=1
	v_add_nc_u32_e32 v0, s63, v0
	s_delay_alu instid0(VALU_DEP_1)
	v_cmp_le_i32_e32 vcc_lo, s25, v0
	s_or_b32 s38, vcc_lo, s38
	s_wait_alu 0xfffe
	s_and_not1_b32 exec_lo, exec_lo, s38
	s_cbranch_execz .LBB5_19
.LBB5_3:                                ; =>This Loop Header: Depth=1
                                        ;     Child Loop BB5_6 Depth 2
                                        ;       Child Loop BB5_9 Depth 3
                                        ;         Child Loop BB5_12 Depth 4
	v_sub_nc_u32_e32 v1, 0, v0
	s_delay_alu instid0(VALU_DEP_1) | instskip(SKIP_1) | instid1(VALU_DEP_1)
	v_max_i32_e32 v1, v0, v1
	s_wait_alu 0xfffe
	v_mul_hi_u32 v2, v1, s52
	s_delay_alu instid0(VALU_DEP_1) | instskip(NEXT) | instid1(VALU_DEP_1)
	v_mul_lo_u32 v3, v2, s61
	v_sub_nc_u32_e32 v1, v1, v3
	v_add_nc_u32_e32 v3, 1, v2
	s_delay_alu instid0(VALU_DEP_2) | instskip(SKIP_2) | instid1(VALU_DEP_2)
	v_subrev_nc_u32_e32 v4, s61, v1
	v_cmp_le_u32_e32 vcc_lo, s61, v1
	s_wait_alu 0xfffd
	v_dual_cndmask_b32 v2, v2, v3 :: v_dual_cndmask_b32 v1, v1, v4
	v_ashrrev_i32_e32 v3, 31, v0
	s_delay_alu instid0(VALU_DEP_2) | instskip(NEXT) | instid1(VALU_DEP_3)
	v_add_nc_u32_e32 v4, 1, v2
	v_cmp_le_u32_e32 vcc_lo, s61, v1
	s_delay_alu instid0(VALU_DEP_3) | instskip(SKIP_1) | instid1(VALU_DEP_3)
	v_xor_b32_e32 v3, s64, v3
	s_wait_alu 0xfffd
	v_cndmask_b32_e32 v1, v2, v4, vcc_lo
	s_and_not1_b32 vcc_lo, exec_lo, s33
	s_delay_alu instid0(VALU_DEP_1) | instskip(NEXT) | instid1(VALU_DEP_1)
	v_xor_b32_e32 v1, v1, v3
	v_sub_nc_u32_e32 v7, v1, v3
	s_delay_alu instid0(VALU_DEP_1) | instskip(NEXT) | instid1(VALU_DEP_1)
	v_mul_lo_u32 v1, v7, s26
	v_sub_nc_u32_e32 v4, v0, v1
	s_wait_alu 0xfffe
	s_cbranch_vccnz .LBB5_14
; %bb.4:                                ;   in Loop: Header=BB5_3 Depth=1
	v_mul_lo_u32 v3, v7, s27
	s_delay_alu instid0(VALU_DEP_2) | instskip(SKIP_4) | instid1(VALU_DEP_4)
	v_mul_lo_u32 v8, v4, s44
	v_mov_b32_e32 v1, 0
	v_mov_b32_e32 v2, 0
	s_mov_b32 s2, 0
	s_mov_b64 s[28:29], s[22:23]
	v_subrev_nc_u32_e32 v3, s47, v3
	s_delay_alu instid0(VALU_DEP_4)
	v_subrev_nc_u32_e32 v8, s48, v8
	s_branch .LBB5_6
.LBB5_5:                                ;   in Loop: Header=BB5_6 Depth=2
	s_add_co_i32 s2, s2, 1
	s_add_nc_u64 s[28:29], s[28:29], s[18:19]
	s_wait_alu 0xfffe
	s_cmp_eq_u32 s2, s24
	s_cbranch_scc1 .LBB5_15
.LBB5_6:                                ;   Parent Loop BB5_3 Depth=1
                                        ; =>  This Loop Header: Depth=2
                                        ;       Child Loop BB5_9 Depth 3
                                        ;         Child Loop BB5_12 Depth 4
	s_and_not1_b32 vcc_lo, exec_lo, s51
	s_wait_alu 0xfffe
	s_cbranch_vccnz .LBB5_5
; %bb.7:                                ;   in Loop: Header=BB5_6 Depth=2
	s_mul_u64 s[0:1], s[8:9], s[2:3]
	s_mov_b32 s39, 0
	s_wait_alu 0xfffe
	s_lshl_b64 s[0:1], s[0:1], 1
	s_mov_b64 s[34:35], s[28:29]
	s_wait_alu 0xfffe
	s_add_nc_u64 s[30:31], s[10:11], s[0:1]
	s_branch .LBB5_9
.LBB5_8:                                ;   in Loop: Header=BB5_9 Depth=3
	s_add_co_i32 s39, s39, 1
	s_add_nc_u64 s[34:35], s[34:35], s[16:17]
	s_wait_alu 0xfffe
	s_cmp_eq_u32 s39, s49
	s_cbranch_scc1 .LBB5_5
.LBB5_9:                                ;   Parent Loop BB5_3 Depth=1
                                        ;     Parent Loop BB5_6 Depth=2
                                        ; =>    This Loop Header: Depth=3
                                        ;         Child Loop BB5_12 Depth 4
	s_and_not1_b32 vcc_lo, exec_lo, s60
	s_wait_alu 0xfffe
	s_cbranch_vccnz .LBB5_8
; %bb.10:                               ;   in Loop: Header=BB5_9 Depth=3
	v_mad_co_u64_u32 v[9:10], null, s39, s45, v[3:4]
	s_mov_b64 s[36:37], s[34:35]
	s_mov_b32 s53, s50
	v_mad_co_u64_u32 v[10:11], null, s6, v9, 0
	v_cmp_gt_i32_e32 vcc_lo, 0, v9
	v_cmp_le_i32_e64 s0, s20, v9
	s_delay_alu instid0(VALU_DEP_3) | instskip(NEXT) | instid1(VALU_DEP_1)
	v_mad_co_u64_u32 v[11:12], null, s7, v9, v[11:12]
	v_lshlrev_b64_e32 v[10:11], 1, v[10:11]
	s_delay_alu instid0(VALU_DEP_1) | instskip(SKIP_1) | instid1(VALU_DEP_2)
	v_add_co_u32 v9, s1, s30, v10
	s_wait_alu 0xf1ff
	v_add_co_ci_u32_e64 v10, null, s31, v11, s1
	v_mov_b32_e32 v11, v8
	s_or_b32 s1, vcc_lo, s0
	s_branch .LBB5_12
.LBB5_11:                               ;   in Loop: Header=BB5_12 Depth=4
	s_wait_alu 0xfffe
	s_or_b32 exec_lo, exec_lo, s0
	v_add_nc_u32_e32 v11, s46, v11
	s_add_co_i32 s53, s53, -1
	s_add_nc_u64 s[36:37], s[36:37], s[14:15]
	s_wait_alu 0xfffe
	s_cmp_eq_u32 s53, 0
	s_cbranch_scc1 .LBB5_8
.LBB5_12:                               ;   Parent Loop BB5_3 Depth=1
                                        ;     Parent Loop BB5_6 Depth=2
                                        ;       Parent Loop BB5_9 Depth=3
                                        ; =>      This Inner Loop Header: Depth=4
	s_delay_alu instid0(VALU_DEP_1) | instskip(SKIP_4) | instid1(SALU_CYCLE_1)
	v_cmp_gt_i32_e32 vcc_lo, 0, v11
	v_cmp_le_i32_e64 s0, s21, v11
	s_or_b32 s0, vcc_lo, s0
	s_wait_alu 0xfffe
	s_nor_b32 s54, s1, s0
	s_and_saveexec_b32 s0, s54
	s_cbranch_execz .LBB5_11
; %bb.13:                               ;   in Loop: Header=BB5_12 Depth=4
	v_mad_co_u64_u32 v[12:13], null, s4, v11, 0
	s_delay_alu instid0(VALU_DEP_1) | instskip(NEXT) | instid1(VALU_DEP_1)
	v_mad_co_u64_u32 v[13:14], null, s5, v11, v[13:14]
	v_lshlrev_b64_e32 v[12:13], 1, v[12:13]
	s_delay_alu instid0(VALU_DEP_1) | instskip(SKIP_1) | instid1(VALU_DEP_2)
	v_add_co_u32 v12, vcc_lo, v9, v12
	s_wait_alu 0xfffd
	v_add_co_ci_u32_e64 v13, null, v10, v13, vcc_lo
	global_load_u16 v12, v[12:13], off
	global_load_u16 v13, v5, s[36:37]
	s_wait_loadcnt 0x1
	v_cvt_f32_f16_e32 v12, v12
	s_wait_loadcnt 0x0
	v_cvt_f32_f16_e32 v14, v13
	s_delay_alu instid0(VALU_DEP_2) | instskip(NEXT) | instid1(VALU_DEP_2)
	v_cvt_f64_f32_e32 v[12:13], v12
	v_cvt_f64_f32_e32 v[14:15], v14
	s_delay_alu instid0(VALU_DEP_1)
	v_fma_f64 v[1:2], v[12:13], v[14:15], v[1:2]
	s_branch .LBB5_11
.LBB5_14:                               ;   in Loop: Header=BB5_3 Depth=1
	v_mov_b32_e32 v1, 0
	v_mov_b32_e32 v2, 0
.LBB5_15:                               ;   in Loop: Header=BB5_3 Depth=1
	v_ashrrev_i32_e32 v3, 31, v7
	v_mul_lo_u32 v9, s59, v7
	v_mad_co_u64_u32 v[7:8], null, s58, v7, 0
	v_ashrrev_i32_e32 v10, 31, v4
	s_delay_alu instid0(VALU_DEP_4) | instskip(SKIP_2) | instid1(VALU_DEP_2)
	v_mul_lo_u32 v3, s58, v3
	s_and_b32 vcc_lo, exec_lo, s62
	s_mov_b32 s0, -1
	v_mul_lo_u32 v10, s56, v10
	s_delay_alu instid0(VALU_DEP_2) | instskip(SKIP_1) | instid1(VALU_DEP_2)
	v_add3_u32 v8, v8, v3, v9
	v_mul_lo_u32 v9, s57, v4
	v_mad_co_u64_u32 v[3:4], null, s56, v4, v[7:8]
	s_delay_alu instid0(VALU_DEP_1)
	v_add3_u32 v4, v9, v4, v10
	s_wait_alu 0xfffe
	s_cbranch_vccz .LBB5_17
; %bb.16:                               ;   in Loop: Header=BB5_3 Depth=1
	s_delay_alu instid0(VALU_DEP_1) | instskip(SKIP_1) | instid1(VALU_DEP_1)
	v_lshlrev_b64_e32 v[7:8], 1, v[3:4]
	s_mov_b32 s0, 0
	v_add_co_u32 v7, vcc_lo, s12, v7
	s_wait_alu 0xfffd
	s_delay_alu instid0(VALU_DEP_2) | instskip(SKIP_3) | instid1(VALU_DEP_1)
	v_add_co_ci_u32_e64 v8, null, s13, v8, vcc_lo
	global_load_u16 v9, v[7:8], off
	s_wait_loadcnt 0x0
	v_cvt_f32_f16_e32 v9, v9
	v_cvt_f64_f32_e32 v[9:10], v9
	s_delay_alu instid0(VALU_DEP_1) | instskip(NEXT) | instid1(VALU_DEP_1)
	v_mul_f64_e32 v[9:10], s[42:43], v[9:10]
	v_fma_f64 v[9:10], s[40:41], v[1:2], v[9:10]
	s_delay_alu instid0(VALU_DEP_1) | instskip(SKIP_3) | instid1(VALU_DEP_4)
	v_and_or_b32 v9, 0x1ff, v10, v9
	v_lshrrev_b32_e32 v11, 8, v10
	v_bfe_u32 v12, v10, 20, 11
	v_lshrrev_b32_e32 v10, 16, v10
	v_cmp_ne_u32_e32 vcc_lo, 0, v9
	s_delay_alu instid0(VALU_DEP_3) | instskip(SKIP_2) | instid1(VALU_DEP_1)
	v_sub_nc_u32_e32 v13, 0x3f1, v12
	s_wait_alu 0xfffd
	v_cndmask_b32_e64 v9, 0, 1, vcc_lo
	v_and_or_b32 v9, 0xffe, v11, v9
	s_delay_alu instid0(VALU_DEP_3) | instskip(NEXT) | instid1(VALU_DEP_2)
	v_med3_i32 v11, v13, 0, 13
	v_or_b32_e32 v13, 0x1000, v9
	s_delay_alu instid0(VALU_DEP_1) | instskip(NEXT) | instid1(VALU_DEP_1)
	v_lshrrev_b32_e32 v14, v11, v13
	v_lshlrev_b32_e32 v11, v11, v14
	s_delay_alu instid0(VALU_DEP_1) | instskip(SKIP_2) | instid1(VALU_DEP_1)
	v_cmp_ne_u32_e32 vcc_lo, v11, v13
	s_wait_alu 0xfffd
	v_cndmask_b32_e64 v11, 0, 1, vcc_lo
	v_or_b32_e32 v11, v14, v11
	v_add_nc_u32_e32 v12, 0xfffffc10, v12
	s_delay_alu instid0(VALU_DEP_1) | instskip(SKIP_2) | instid1(VALU_DEP_2)
	v_lshl_or_b32 v13, v12, 12, v9
	v_cmp_gt_i32_e32 vcc_lo, 1, v12
	s_wait_alu 0xfffd
	v_cndmask_b32_e32 v11, v13, v11, vcc_lo
	s_delay_alu instid0(VALU_DEP_1) | instskip(SKIP_1) | instid1(VALU_DEP_2)
	v_and_b32_e32 v13, 7, v11
	v_lshrrev_b32_e32 v11, 2, v11
	v_cmp_lt_i32_e32 vcc_lo, 5, v13
	s_wait_alu 0xfffd
	v_cndmask_b32_e64 v14, 0, 1, vcc_lo
	v_cmp_eq_u32_e32 vcc_lo, 3, v13
	s_wait_alu 0xfffd
	v_cndmask_b32_e64 v13, 0, 1, vcc_lo
	v_cmp_ne_u32_e32 vcc_lo, 0, v9
	s_delay_alu instid0(VALU_DEP_2) | instskip(SKIP_3) | instid1(VALU_DEP_3)
	v_or_b32_e32 v13, v13, v14
	s_wait_alu 0xfffd
	v_cndmask_b32_e32 v9, 0x7c00, v6, vcc_lo
	v_cmp_gt_i32_e32 vcc_lo, 31, v12
	v_add_nc_u32_e32 v11, v11, v13
	s_wait_alu 0xfffd
	s_delay_alu instid0(VALU_DEP_1) | instskip(SKIP_2) | instid1(VALU_DEP_2)
	v_cndmask_b32_e32 v11, 0x7c00, v11, vcc_lo
	v_cmp_eq_u32_e32 vcc_lo, 0x40f, v12
	s_wait_alu 0xfffd
	v_cndmask_b32_e32 v9, v11, v9, vcc_lo
	s_delay_alu instid0(VALU_DEP_1)
	v_and_or_b32 v9, 0x8000, v10, v9
	global_store_b16 v[7:8], v9, off
.LBB5_17:                               ;   in Loop: Header=BB5_3 Depth=1
	s_wait_alu 0xfffe
	s_and_not1_b32 vcc_lo, exec_lo, s0
	s_wait_alu 0xfffe
	s_cbranch_vccnz .LBB5_2
; %bb.18:                               ;   in Loop: Header=BB5_3 Depth=1
	v_and_or_b32 v1, 0x1ff, v2, v1
	v_lshrrev_b32_e32 v7, 8, v2
	v_bfe_u32 v8, v2, 20, 11
	s_delay_alu instid0(VALU_DEP_3) | instskip(NEXT) | instid1(VALU_DEP_2)
	v_cmp_ne_u32_e32 vcc_lo, 0, v1
	v_sub_nc_u32_e32 v9, 0x3f1, v8
	s_wait_alu 0xfffd
	v_cndmask_b32_e64 v1, 0, 1, vcc_lo
	s_delay_alu instid0(VALU_DEP_1) | instskip(NEXT) | instid1(VALU_DEP_3)
	v_and_or_b32 v1, 0xffe, v7, v1
	v_med3_i32 v7, v9, 0, 13
	s_delay_alu instid0(VALU_DEP_2) | instskip(NEXT) | instid1(VALU_DEP_1)
	v_or_b32_e32 v9, 0x1000, v1
	v_lshrrev_b32_e32 v10, v7, v9
	s_delay_alu instid0(VALU_DEP_1) | instskip(NEXT) | instid1(VALU_DEP_1)
	v_lshlrev_b32_e32 v7, v7, v10
	v_cmp_ne_u32_e32 vcc_lo, v7, v9
	s_wait_alu 0xfffd
	v_cndmask_b32_e64 v7, 0, 1, vcc_lo
	s_delay_alu instid0(VALU_DEP_1) | instskip(SKIP_1) | instid1(VALU_DEP_1)
	v_or_b32_e32 v7, v10, v7
	v_add_nc_u32_e32 v8, 0xfffffc10, v8
	v_lshl_or_b32 v9, v8, 12, v1
	v_cmp_gt_i32_e32 vcc_lo, 1, v8
	s_wait_alu 0xfffd
	s_delay_alu instid0(VALU_DEP_2) | instskip(NEXT) | instid1(VALU_DEP_1)
	v_cndmask_b32_e32 v7, v9, v7, vcc_lo
	v_and_b32_e32 v9, 7, v7
	v_lshrrev_b32_e32 v7, 2, v7
	s_delay_alu instid0(VALU_DEP_2)
	v_cmp_lt_i32_e32 vcc_lo, 5, v9
	s_wait_alu 0xfffd
	v_cndmask_b32_e64 v10, 0, 1, vcc_lo
	v_cmp_eq_u32_e32 vcc_lo, 3, v9
	s_wait_alu 0xfffd
	v_cndmask_b32_e64 v9, 0, 1, vcc_lo
	v_cmp_ne_u32_e32 vcc_lo, 0, v1
	s_delay_alu instid0(VALU_DEP_2) | instskip(SKIP_3) | instid1(VALU_DEP_3)
	v_or_b32_e32 v9, v9, v10
	s_wait_alu 0xfffd
	v_cndmask_b32_e32 v1, 0x7c00, v6, vcc_lo
	v_cmp_gt_i32_e32 vcc_lo, 31, v8
	v_add_nc_u32_e32 v7, v7, v9
	v_lshrrev_b32_e32 v9, 16, v2
	s_wait_alu 0xfffd
	s_delay_alu instid0(VALU_DEP_2) | instskip(SKIP_2) | instid1(VALU_DEP_2)
	v_cndmask_b32_e32 v7, 0x7c00, v7, vcc_lo
	v_cmp_eq_u32_e32 vcc_lo, 0x40f, v8
	s_wait_alu 0xfffd
	v_cndmask_b32_e32 v7, v7, v1, vcc_lo
	v_lshlrev_b64_e32 v[1:2], 1, v[3:4]
	s_delay_alu instid0(VALU_DEP_2) | instskip(NEXT) | instid1(VALU_DEP_2)
	v_and_or_b32 v3, 0x8000, v9, v7
	v_add_co_u32 v1, vcc_lo, s12, v1
	s_wait_alu 0xfffd
	s_delay_alu instid0(VALU_DEP_3)
	v_add_co_ci_u32_e64 v2, null, s13, v2, vcc_lo
	global_store_b16 v[1:2], v3, off
	s_branch .LBB5_2
.LBB5_19:
	s_endpgm
	.section	.rodata,"a",@progbits
	.p2align	6, 0x0
	.amdhsa_kernel naive_conv_ab_nonpacked_fwd_nchw_half_double_half_0
		.amdhsa_group_segment_fixed_size 0
		.amdhsa_private_segment_fixed_size 0
		.amdhsa_kernarg_size 480
		.amdhsa_user_sgpr_count 2
		.amdhsa_user_sgpr_dispatch_ptr 0
		.amdhsa_user_sgpr_queue_ptr 0
		.amdhsa_user_sgpr_kernarg_segment_ptr 1
		.amdhsa_user_sgpr_dispatch_id 0
		.amdhsa_user_sgpr_private_segment_size 0
		.amdhsa_wavefront_size32 1
		.amdhsa_uses_dynamic_stack 0
		.amdhsa_enable_private_segment 0
		.amdhsa_system_sgpr_workgroup_id_x 1
		.amdhsa_system_sgpr_workgroup_id_y 0
		.amdhsa_system_sgpr_workgroup_id_z 0
		.amdhsa_system_sgpr_workgroup_info 0
		.amdhsa_system_vgpr_workitem_id 0
		.amdhsa_next_free_vgpr 16
		.amdhsa_next_free_sgpr 69
		.amdhsa_reserve_vcc 1
		.amdhsa_float_round_mode_32 0
		.amdhsa_float_round_mode_16_64 0
		.amdhsa_float_denorm_mode_32 3
		.amdhsa_float_denorm_mode_16_64 3
		.amdhsa_fp16_overflow 0
		.amdhsa_workgroup_processor_mode 1
		.amdhsa_memory_ordered 1
		.amdhsa_forward_progress 1
		.amdhsa_inst_pref_size 18
		.amdhsa_round_robin_scheduling 0
		.amdhsa_exception_fp_ieee_invalid_op 0
		.amdhsa_exception_fp_denorm_src 0
		.amdhsa_exception_fp_ieee_div_zero 0
		.amdhsa_exception_fp_ieee_overflow 0
		.amdhsa_exception_fp_ieee_underflow 0
		.amdhsa_exception_fp_ieee_inexact 0
		.amdhsa_exception_int_div_zero 0
	.end_amdhsa_kernel
	.text
.Lfunc_end5:
	.size	naive_conv_ab_nonpacked_fwd_nchw_half_double_half_0, .Lfunc_end5-naive_conv_ab_nonpacked_fwd_nchw_half_double_half_0
                                        ; -- End function
	.set naive_conv_ab_nonpacked_fwd_nchw_half_double_half_0.num_vgpr, 16
	.set naive_conv_ab_nonpacked_fwd_nchw_half_double_half_0.num_agpr, 0
	.set naive_conv_ab_nonpacked_fwd_nchw_half_double_half_0.numbered_sgpr, 69
	.set naive_conv_ab_nonpacked_fwd_nchw_half_double_half_0.num_named_barrier, 0
	.set naive_conv_ab_nonpacked_fwd_nchw_half_double_half_0.private_seg_size, 0
	.set naive_conv_ab_nonpacked_fwd_nchw_half_double_half_0.uses_vcc, 1
	.set naive_conv_ab_nonpacked_fwd_nchw_half_double_half_0.uses_flat_scratch, 0
	.set naive_conv_ab_nonpacked_fwd_nchw_half_double_half_0.has_dyn_sized_stack, 0
	.set naive_conv_ab_nonpacked_fwd_nchw_half_double_half_0.has_recursion, 0
	.set naive_conv_ab_nonpacked_fwd_nchw_half_double_half_0.has_indirect_call, 0
	.section	.AMDGPU.csdata,"",@progbits
; Kernel info:
; codeLenInByte = 2180
; TotalNumSgprs: 71
; NumVgprs: 16
; ScratchSize: 0
; MemoryBound: 0
; FloatMode: 240
; IeeeMode: 1
; LDSByteSize: 0 bytes/workgroup (compile time only)
; SGPRBlocks: 0
; VGPRBlocks: 1
; NumSGPRsForWavesPerEU: 71
; NumVGPRsForWavesPerEU: 16
; Occupancy: 16
; WaveLimiterHint : 0
; COMPUTE_PGM_RSRC2:SCRATCH_EN: 0
; COMPUTE_PGM_RSRC2:USER_SGPR: 2
; COMPUTE_PGM_RSRC2:TRAP_HANDLER: 0
; COMPUTE_PGM_RSRC2:TGID_X_EN: 1
; COMPUTE_PGM_RSRC2:TGID_Y_EN: 0
; COMPUTE_PGM_RSRC2:TGID_Z_EN: 0
; COMPUTE_PGM_RSRC2:TIDIG_COMP_CNT: 0
	.text
	.protected	naive_conv_ab_packed_fwd_nchw_ushort_double_ushort_0 ; -- Begin function naive_conv_ab_packed_fwd_nchw_ushort_double_ushort_0
	.globl	naive_conv_ab_packed_fwd_nchw_ushort_double_ushort_0
	.p2align	8
	.type	naive_conv_ab_packed_fwd_nchw_ushort_double_ushort_0,@function
naive_conv_ab_packed_fwd_nchw_ushort_double_ushort_0: ; @naive_conv_ab_packed_fwd_nchw_ushort_double_ushort_0
; %bb.0:
	s_load_b512 s[4:19], s[0:1], 0xa0
	s_mov_b32 s25, exec_lo
	s_wait_kmcnt 0x0
	s_abs_i32 s3, s7
	s_mul_i32 s33, s10, s9
	s_cvt_f32_u32 s2, s3
	s_delay_alu instid0(SALU_CYCLE_3) | instskip(NEXT) | instid1(TRANS32_DEP_1)
	v_rcp_iflag_f32_e32 v1, s2
	v_readfirstlane_b32 s2, v1
	s_mul_f32 s2, s2, 0x4f7ffffe
	s_wait_alu 0xfffe
	s_delay_alu instid0(SALU_CYCLE_2) | instskip(SKIP_2) | instid1(SALU_CYCLE_1)
	s_cvt_u32_f32 s20, s2
	s_sub_co_i32 s2, 0, s3
	s_wait_alu 0xfffe
	s_mul_i32 s2, s2, s20
	s_wait_alu 0xfffe
	s_mul_hi_u32 s21, s20, s2
	s_abs_i32 s2, ttmp9
	s_add_co_i32 s20, s20, s21
	s_wait_alu 0xfffe
	s_mul_hi_u32 s20, s2, s20
	s_delay_alu instid0(SALU_CYCLE_1) | instskip(SKIP_2) | instid1(SALU_CYCLE_1)
	s_mul_i32 s21, s20, s3
	s_add_co_i32 s22, s20, 1
	s_sub_co_i32 s21, s2, s21
	s_sub_co_i32 s23, s21, s3
	s_cmp_ge_u32 s21, s3
	s_cselect_b32 s20, s22, s20
	s_cselect_b32 s21, s23, s21
	s_add_co_i32 s22, s20, 1
	s_cmp_ge_u32 s21, s3
	s_mul_i32 s21, s7, s6
	s_cselect_b32 s22, s22, s20
	s_abs_i32 s20, s6
	s_abs_i32 s6, s21
	s_cvt_f32_u32 s3, s20
	s_cvt_f32_u32 s23, s6
	s_wait_alu 0xfffe
	s_delay_alu instid0(SALU_CYCLE_1) | instskip(NEXT) | instid1(SALU_CYCLE_1)
	v_rcp_iflag_f32_e32 v1, s3
	v_rcp_iflag_f32_e32 v2, s23
	s_mov_b32 s3, 0
	s_delay_alu instid0(TRANS32_DEP_2) | instskip(NEXT) | instid1(TRANS32_DEP_1)
	v_readfirstlane_b32 s24, v1
	v_readfirstlane_b32 s23, v2
	v_cmpx_gt_i32_e64 s33, v0
	s_cbranch_execz .LBB6_19
; %bb.1:
	s_mul_f32 s24, s24, 0x4f7ffffe
	s_ashr_i32 s26, ttmp9, 31
	s_ashr_i32 s37, s7, 31
	s_sub_co_i32 s25, 0, s20
	s_cvt_u32_f32 s24, s24
	s_xor_b32 s27, s26, s37
	s_mul_f32 s28, s23, 0x4f7ffffe
	s_xor_b32 s22, s22, s27
	s_mul_i32 s25, s25, s24
	s_wait_alu 0xfffe
	s_sub_co_i32 s27, s22, s27
	s_mul_hi_u32 s23, s24, s25
	s_cvt_u32_f32 s28, s28
	s_abs_i32 s22, s27
	s_wait_alu 0xfffe
	s_add_co_i32 s24, s24, s23
	s_mov_b32 s23, s3
	s_mov_b32 s25, s3
	s_sub_co_i32 s29, 0, s6
	s_wait_alu 0xfffe
	s_mul_u64 s[24:25], s[22:23], s[24:25]
	s_mul_i32 s29, s29, s28
	s_ashr_i32 s23, s27, 31
	s_mul_hi_u32 s24, s28, s29
	s_ashr_i32 s29, s21, 31
	s_mul_i32 s21, s25, s20
	s_mul_i32 s27, s27, s7
	s_sub_co_i32 s21, s22, s21
	s_add_co_i32 s24, s28, s24
	s_sub_co_i32 s38, ttmp9, s27
	s_sub_co_i32 s22, s21, s20
	s_cmp_ge_u32 s21, s20
	s_mov_b32 s25, s3
	s_wait_alu 0xfffe
	s_cselect_b32 s22, s22, s21
	s_mov_b32 s34, s8
	s_wait_alu 0xfffe
	s_sub_co_i32 s27, s22, s20
	s_cmp_ge_u32 s22, s20
	s_mul_u64 s[20:21], s[2:3], s[24:25]
	s_cselect_b32 s20, s27, s22
	s_xor_b32 s22, s26, s29
	s_xor_b32 s20, s20, s23
	s_mov_b32 s28, s4
	s_sub_co_i32 s40, s20, s23
	s_mul_i32 s20, s21, s6
	s_mov_b32 s30, s5
	s_sub_co_i32 s2, s2, s20
	s_add_co_i32 s20, s21, 1
	s_wait_alu 0xfffe
	s_sub_co_i32 s23, s2, s6
	s_cmp_ge_u32 s2, s6
	s_mov_b32 s36, s7
	s_cselect_b32 s20, s20, s21
	s_wait_alu 0xfffe
	s_cselect_b32 s2, s23, s2
	s_add_co_i32 s21, s20, 1
	s_wait_alu 0xfffe
	s_cmp_ge_u32 s2, s6
	s_mul_i32 s6, s19, s7
	s_cselect_b32 s2, s21, s20
	s_mul_i32 s20, s19, s8
	s_wait_alu 0xfffe
	s_xor_b32 s2, s2, s22
	s_ashr_i32 s41, s40, 31
	s_ashr_i32 s21, s20, 31
	s_wait_alu 0xfffe
	s_sub_co_i32 s42, s2, s22
	s_mul_u64 s[44:45], s[40:41], s[20:21]
	s_load_b256 s[20:27], s[0:1], 0x0
	s_ashr_i32 s43, s42, 31
	s_ashr_i32 s35, s8, 31
	;; [unrolled: 1-line block ×4, first 2 shown]
	s_mul_u64 s[4:5], s[42:43], s[34:35]
	s_mul_u64 s[46:47], s[30:31], s[28:29]
	s_add_nc_u64 s[4:5], s[4:5], s[44:45]
	s_mul_u64 s[36:37], s[42:43], s[36:37]
	s_mul_u64 s[4:5], s[46:47], s[4:5]
	s_ashr_i32 s7, s6, 31
	s_ashr_i32 s39, s38, 31
	s_lshl_b64 s[44:45], s[4:5], 1
	s_mul_u64 s[40:41], s[40:41], s[6:7]
	s_ashr_i32 s7, s9, 31
	s_mov_b32 s6, s9
	s_ashr_i32 s5, s10, 31
	s_mov_b32 s4, s10
	s_add_nc_u64 s[36:37], s[36:37], s[38:39]
	s_mul_u64 s[38:39], s[4:5], s[6:7]
	s_wait_kmcnt 0x0
	v_cmp_neq_f64_e64 s2, s[24:25], 1.0
	v_cmp_neq_f64_e64 s42, s[26:27], 0
	s_add_nc_u64 s[40:41], s[36:37], s[40:41]
	s_ashr_i32 s7, s17, 31
	s_mul_u64 s[38:39], s[38:39], s[40:41]
	s_ashr_i32 s19, s18, 31
	s_lshl_b64 s[38:39], s[38:39], 1
	s_cmp_gt_i32 s8, 0
	s_clause 0x1
	s_load_b64 s[40:41], s[0:1], 0x20
	s_load_b32 s43, s[0:1], 0xec
	s_cselect_b32 s48, -1, 0
	s_cmp_gt_i32 s17, 0
	s_add_nc_u64 s[8:9], s[20:21], s[44:45]
	s_cselect_b32 s49, -1, 0
	s_cmp_gt_i32 s18, 0
	v_mov_b32_e32 v2, 0
	s_cselect_b32 s50, -1, 0
	s_abs_i32 s10, s10
	s_delay_alu instid0(SALU_CYCLE_1) | instskip(NEXT) | instid1(SALU_CYCLE_3)
	s_cvt_f32_u32 s6, s10
	v_rcp_iflag_f32_e32 v1, s6
	s_mov_b32 s6, s17
	s_wait_kmcnt 0x0
	s_add_nc_u64 s[20:21], s[40:41], s[38:39]
	s_sub_co_i32 s38, 0, s10
	s_delay_alu instid0(TRANS32_DEP_1)
	v_readfirstlane_b32 s0, v1
	s_mul_f32 s17, s0, 0x4f7ffffe
	s_wait_alu 0xfffe
	s_mul_u64 s[0:1], s[18:19], s[6:7]
	s_or_b32 s7, s2, s42
	s_mul_u64 s[36:37], s[0:1], s[36:37]
	s_cvt_u32_f32 s2, s17
	s_mul_u64 s[36:37], s[36:37], s[34:35]
	s_and_b32 s17, s43, 0xffff
	s_lshl_b64 s[36:37], s[36:37], 1
	s_wait_alu 0xfffe
	s_mul_i32 s38, s38, s2
	s_add_nc_u64 s[22:23], s[22:23], s[36:37]
	s_mul_hi_u32 s35, s2, s38
	s_lshl_b64 s[36:37], s[0:1], 1
	s_add_co_i32 s35, s2, s35
	s_lshl_b64 s[38:39], s[18:19], 1
	s_mov_b32 s19, 0
	s_branch .LBB6_3
.LBB6_2:                                ;   in Loop: Header=BB6_3 Depth=1
	v_add_nc_u32_e32 v0, s17, v0
	s_delay_alu instid0(VALU_DEP_1) | instskip(SKIP_1) | instid1(SALU_CYCLE_1)
	v_cmp_le_i32_e32 vcc_lo, s33, v0
	s_or_b32 s19, vcc_lo, s19
	s_and_not1_b32 exec_lo, exec_lo, s19
	s_cbranch_execz .LBB6_19
.LBB6_3:                                ; =>This Loop Header: Depth=1
                                        ;     Child Loop BB6_6 Depth 2
                                        ;       Child Loop BB6_9 Depth 3
                                        ;         Child Loop BB6_12 Depth 4
	v_sub_nc_u32_e32 v1, 0, v0
	s_delay_alu instid0(VALU_DEP_1) | instskip(NEXT) | instid1(VALU_DEP_1)
	v_max_i32_e32 v1, v0, v1
	v_mul_hi_u32 v3, v1, s35
	s_delay_alu instid0(VALU_DEP_1) | instskip(NEXT) | instid1(VALU_DEP_1)
	v_mul_lo_u32 v4, v3, s10
	v_sub_nc_u32_e32 v1, v1, v4
	s_delay_alu instid0(VALU_DEP_1) | instskip(SKIP_2) | instid1(VALU_DEP_2)
	v_subrev_nc_u32_e32 v5, s10, v1
	v_cmp_le_u32_e32 vcc_lo, s10, v1
	s_wait_alu 0xfffd
	v_dual_cndmask_b32 v1, v1, v5 :: v_dual_add_nc_u32 v4, 1, v3
	s_delay_alu instid0(VALU_DEP_1) | instskip(SKIP_1) | instid1(VALU_DEP_3)
	v_cndmask_b32_e32 v3, v3, v4, vcc_lo
	v_ashrrev_i32_e32 v4, 31, v0
	v_cmp_le_u32_e32 vcc_lo, s10, v1
	s_delay_alu instid0(VALU_DEP_3) | instskip(NEXT) | instid1(VALU_DEP_3)
	v_add_nc_u32_e32 v5, 1, v3
	v_xor_b32_e32 v4, s5, v4
	s_wait_alu 0xfffd
	s_delay_alu instid0(VALU_DEP_2) | instskip(SKIP_1) | instid1(VALU_DEP_1)
	v_cndmask_b32_e32 v1, v3, v5, vcc_lo
	s_and_not1_b32 vcc_lo, exec_lo, s48
	v_xor_b32_e32 v1, v1, v4
	s_delay_alu instid0(VALU_DEP_1) | instskip(NEXT) | instid1(VALU_DEP_1)
	v_sub_nc_u32_e32 v7, v1, v4
	v_mul_lo_u32 v1, v7, s4
	s_delay_alu instid0(VALU_DEP_1)
	v_sub_nc_u32_e32 v5, v0, v1
	s_wait_alu 0xfffe
	s_cbranch_vccnz .LBB6_14
; %bb.4:                                ;   in Loop: Header=BB6_3 Depth=1
	v_mul_lo_u32 v1, v7, s11
	s_delay_alu instid0(VALU_DEP_2) | instskip(SKIP_4) | instid1(VALU_DEP_4)
	v_mul_lo_u32 v8, v5, s12
	v_mov_b32_e32 v3, 0
	v_mov_b32_e32 v4, 0
	s_mov_b32 s2, 0
	s_mov_b64 s[40:41], s[22:23]
	v_subrev_nc_u32_e32 v6, s15, v1
	s_delay_alu instid0(VALU_DEP_4)
	v_subrev_nc_u32_e32 v8, s16, v8
	s_branch .LBB6_6
.LBB6_5:                                ;   in Loop: Header=BB6_6 Depth=2
	s_add_co_i32 s2, s2, 1
	s_add_nc_u64 s[40:41], s[40:41], s[36:37]
	s_wait_alu 0xfffe
	s_cmp_eq_u32 s2, s34
	s_cbranch_scc1 .LBB6_15
.LBB6_6:                                ;   Parent Loop BB6_3 Depth=1
                                        ; =>  This Loop Header: Depth=2
                                        ;       Child Loop BB6_9 Depth 3
                                        ;         Child Loop BB6_12 Depth 4
	s_and_not1_b32 vcc_lo, exec_lo, s49
	s_wait_alu 0xfffe
	s_cbranch_vccnz .LBB6_5
; %bb.7:                                ;   in Loop: Header=BB6_6 Depth=2
	s_mul_u64 s[42:43], s[2:3], s[28:29]
	s_mov_b32 s51, 0
	s_mov_b64 s[44:45], s[40:41]
	s_branch .LBB6_9
.LBB6_8:                                ;   in Loop: Header=BB6_9 Depth=3
	s_add_co_i32 s51, s51, 1
	s_add_nc_u64 s[44:45], s[44:45], s[38:39]
	s_wait_alu 0xfffe
	s_cmp_eq_u32 s51, s6
	s_cbranch_scc1 .LBB6_5
.LBB6_9:                                ;   Parent Loop BB6_3 Depth=1
                                        ;     Parent Loop BB6_6 Depth=2
                                        ; =>    This Loop Header: Depth=3
                                        ;         Child Loop BB6_12 Depth 4
	s_and_not1_b32 vcc_lo, exec_lo, s50
	s_wait_alu 0xfffe
	s_cbranch_vccnz .LBB6_8
; %bb.10:                               ;   in Loop: Header=BB6_9 Depth=3
	v_mad_co_u64_u32 v[9:10], null, s51, s13, v[6:7]
	s_mov_b64 s[46:47], s[44:45]
	s_mov_b32 s52, s18
	v_add_co_u32 v1, s0, s42, v9
	s_wait_alu 0xf1ff
	v_add_co_ci_u32_e64 v10, null, s43, 0, s0
	v_cmp_gt_i32_e32 vcc_lo, 0, v9
	s_delay_alu instid0(VALU_DEP_3) | instskip(SKIP_1) | instid1(VALU_DEP_4)
	v_mul_lo_u32 v13, v1, s31
	v_cmp_le_i32_e64 s0, s28, v9
	v_mul_lo_u32 v12, v10, s30
	v_mad_co_u64_u32 v[10:11], null, v1, s30, 0
	v_mov_b32_e32 v1, v8
	s_delay_alu instid0(VALU_DEP_2) | instskip(NEXT) | instid1(VALU_DEP_1)
	v_add3_u32 v11, v11, v13, v12
	v_lshlrev_b64_e32 v[10:11], 1, v[10:11]
	s_delay_alu instid0(VALU_DEP_1) | instskip(SKIP_1) | instid1(VALU_DEP_2)
	v_add_co_u32 v9, s1, s8, v10
	s_wait_alu 0xf1ff
	v_add_co_ci_u32_e64 v10, null, s9, v11, s1
	s_or_b32 s1, vcc_lo, s0
	s_branch .LBB6_12
.LBB6_11:                               ;   in Loop: Header=BB6_12 Depth=4
	s_wait_alu 0xfffe
	s_or_b32 exec_lo, exec_lo, s0
	v_add_nc_u32_e32 v1, s14, v1
	s_add_co_i32 s52, s52, -1
	s_add_nc_u64 s[46:47], s[46:47], 2
	s_wait_alu 0xfffe
	s_cmp_eq_u32 s52, 0
	s_cbranch_scc1 .LBB6_8
.LBB6_12:                               ;   Parent Loop BB6_3 Depth=1
                                        ;     Parent Loop BB6_6 Depth=2
                                        ;       Parent Loop BB6_9 Depth=3
                                        ; =>      This Inner Loop Header: Depth=4
	v_cmp_gt_i32_e32 vcc_lo, 0, v1
	v_cmp_le_i32_e64 s0, s30, v1
	s_or_b32 s0, vcc_lo, s0
	s_wait_alu 0xfffe
	s_nor_b32 s53, s1, s0
	s_wait_alu 0xfffe
	s_and_saveexec_b32 s0, s53
	s_cbranch_execz .LBB6_11
; %bb.13:                               ;   in Loop: Header=BB6_12 Depth=4
	v_lshlrev_b64_e32 v[11:12], 1, v[1:2]
	s_load_u16 s53, s[46:47], 0x0
	s_delay_alu instid0(VALU_DEP_1) | instskip(SKIP_1) | instid1(VALU_DEP_2)
	v_add_co_u32 v11, vcc_lo, v9, v11
	s_wait_alu 0xfffd
	v_add_co_ci_u32_e64 v12, null, v10, v12, vcc_lo
	global_load_u16 v11, v[11:12], off
	s_wait_kmcnt 0x0
	s_lshl_b32 s53, s53, 16
	s_wait_loadcnt 0x0
	v_lshlrev_b32_e32 v13, 16, v11
	s_wait_alu 0xfffe
	v_cvt_f64_f32_e32 v[11:12], s53
	s_delay_alu instid0(VALU_DEP_2) | instskip(NEXT) | instid1(VALU_DEP_1)
	v_cvt_f64_f32_e32 v[13:14], v13
	v_fma_f64 v[3:4], v[13:14], v[11:12], v[3:4]
	s_branch .LBB6_11
.LBB6_14:                               ;   in Loop: Header=BB6_3 Depth=1
	v_mov_b32_e32 v3, 0
	v_mov_b32_e32 v4, 0
.LBB6_15:                               ;   in Loop: Header=BB6_3 Depth=1
	v_ashrrev_i32_e32 v6, 31, v5
	s_and_b32 vcc_lo, exec_lo, s7
	s_mov_b32 s0, -1
	s_delay_alu instid0(VALU_DEP_1)
	v_mad_co_i64_i32 v[5:6], null, v7, s4, v[5:6]
	s_wait_alu 0xfffe
	s_cbranch_vccz .LBB6_17
; %bb.16:                               ;   in Loop: Header=BB6_3 Depth=1
	s_delay_alu instid0(VALU_DEP_1) | instskip(NEXT) | instid1(VALU_DEP_1)
	v_lshlrev_b64_e32 v[7:8], 1, v[5:6]
	v_add_co_u32 v7, vcc_lo, s20, v7
	s_wait_alu 0xfffd
	s_delay_alu instid0(VALU_DEP_2) | instskip(SKIP_3) | instid1(VALU_DEP_1)
	v_add_co_ci_u32_e64 v8, null, s21, v8, vcc_lo
	global_load_u16 v1, v[7:8], off
	s_wait_loadcnt 0x0
	v_lshlrev_b32_e32 v1, 16, v1
	v_cvt_f64_f32_e32 v[9:10], v1
	s_delay_alu instid0(VALU_DEP_1) | instskip(NEXT) | instid1(VALU_DEP_1)
	v_mul_f64_e32 v[9:10], s[26:27], v[9:10]
	v_fma_f64 v[9:10], s[24:25], v[3:4], v[9:10]
	s_delay_alu instid0(VALU_DEP_1) | instskip(NEXT) | instid1(VALU_DEP_1)
	v_cvt_f32_f64_e32 v1, v[9:10]
	v_and_b32_e32 v9, 0x7f800000, v1
	v_and_b32_e32 v10, 0xffff, v1
	v_lshrrev_b32_e32 v1, 16, v1
	s_delay_alu instid0(VALU_DEP_3) | instskip(NEXT) | instid1(VALU_DEP_3)
	v_cmp_eq_u32_e32 vcc_lo, 0x7f800000, v9
	v_cmp_ne_u32_e64 s0, 0, v10
	s_and_b32 s0, vcc_lo, s0
	s_wait_alu 0xfffe
	v_cndmask_b32_e64 v9, 0, 1, s0
	s_mov_b32 s0, 0
	s_delay_alu instid0(VALU_DEP_1)
	v_or_b32_e32 v1, v1, v9
	global_store_b16 v[7:8], v1, off
.LBB6_17:                               ;   in Loop: Header=BB6_3 Depth=1
	s_wait_alu 0xfffe
	s_and_not1_b32 vcc_lo, exec_lo, s0
	s_wait_alu 0xfffe
	s_cbranch_vccnz .LBB6_2
; %bb.18:                               ;   in Loop: Header=BB6_3 Depth=1
	s_delay_alu instid0(VALU_DEP_3) | instskip(NEXT) | instid1(VALU_DEP_1)
	v_cvt_f32_f64_e32 v1, v[3:4]
	v_and_b32_e32 v3, 0x7f800000, v1
	v_and_b32_e32 v4, 0xffff, v1
	v_lshrrev_b32_e32 v1, 16, v1
	s_delay_alu instid0(VALU_DEP_3) | instskip(NEXT) | instid1(VALU_DEP_3)
	v_cmp_eq_u32_e32 vcc_lo, 0x7f800000, v3
	v_cmp_ne_u32_e64 s0, 0, v4
	v_lshlrev_b64_e32 v[3:4], 1, v[5:6]
	s_and_b32 s0, vcc_lo, s0
	s_wait_alu 0xfffe
	v_cndmask_b32_e64 v7, 0, 1, s0
	s_delay_alu instid0(VALU_DEP_2) | instskip(SKIP_2) | instid1(VALU_DEP_3)
	v_add_co_u32 v3, vcc_lo, s20, v3
	s_wait_alu 0xfffd
	v_add_co_ci_u32_e64 v4, null, s21, v4, vcc_lo
	v_or_b32_e32 v1, v1, v7
	global_store_b16 v[3:4], v1, off
	s_branch .LBB6_2
.LBB6_19:
	s_endpgm
	.section	.rodata,"a",@progbits
	.p2align	6, 0x0
	.amdhsa_kernel naive_conv_ab_packed_fwd_nchw_ushort_double_ushort_0
		.amdhsa_group_segment_fixed_size 0
		.amdhsa_private_segment_fixed_size 0
		.amdhsa_kernarg_size 480
		.amdhsa_user_sgpr_count 2
		.amdhsa_user_sgpr_dispatch_ptr 0
		.amdhsa_user_sgpr_queue_ptr 0
		.amdhsa_user_sgpr_kernarg_segment_ptr 1
		.amdhsa_user_sgpr_dispatch_id 0
		.amdhsa_user_sgpr_private_segment_size 0
		.amdhsa_wavefront_size32 1
		.amdhsa_uses_dynamic_stack 0
		.amdhsa_enable_private_segment 0
		.amdhsa_system_sgpr_workgroup_id_x 1
		.amdhsa_system_sgpr_workgroup_id_y 0
		.amdhsa_system_sgpr_workgroup_id_z 0
		.amdhsa_system_sgpr_workgroup_info 0
		.amdhsa_system_vgpr_workitem_id 0
		.amdhsa_next_free_vgpr 15
		.amdhsa_next_free_sgpr 54
		.amdhsa_reserve_vcc 1
		.amdhsa_float_round_mode_32 0
		.amdhsa_float_round_mode_16_64 0
		.amdhsa_float_denorm_mode_32 3
		.amdhsa_float_denorm_mode_16_64 3
		.amdhsa_fp16_overflow 0
		.amdhsa_workgroup_processor_mode 1
		.amdhsa_memory_ordered 1
		.amdhsa_forward_progress 1
		.amdhsa_inst_pref_size 14
		.amdhsa_round_robin_scheduling 0
		.amdhsa_exception_fp_ieee_invalid_op 0
		.amdhsa_exception_fp_denorm_src 0
		.amdhsa_exception_fp_ieee_div_zero 0
		.amdhsa_exception_fp_ieee_overflow 0
		.amdhsa_exception_fp_ieee_underflow 0
		.amdhsa_exception_fp_ieee_inexact 0
		.amdhsa_exception_int_div_zero 0
	.end_amdhsa_kernel
	.text
.Lfunc_end6:
	.size	naive_conv_ab_packed_fwd_nchw_ushort_double_ushort_0, .Lfunc_end6-naive_conv_ab_packed_fwd_nchw_ushort_double_ushort_0
                                        ; -- End function
	.set naive_conv_ab_packed_fwd_nchw_ushort_double_ushort_0.num_vgpr, 15
	.set naive_conv_ab_packed_fwd_nchw_ushort_double_ushort_0.num_agpr, 0
	.set naive_conv_ab_packed_fwd_nchw_ushort_double_ushort_0.numbered_sgpr, 54
	.set naive_conv_ab_packed_fwd_nchw_ushort_double_ushort_0.num_named_barrier, 0
	.set naive_conv_ab_packed_fwd_nchw_ushort_double_ushort_0.private_seg_size, 0
	.set naive_conv_ab_packed_fwd_nchw_ushort_double_ushort_0.uses_vcc, 1
	.set naive_conv_ab_packed_fwd_nchw_ushort_double_ushort_0.uses_flat_scratch, 0
	.set naive_conv_ab_packed_fwd_nchw_ushort_double_ushort_0.has_dyn_sized_stack, 0
	.set naive_conv_ab_packed_fwd_nchw_ushort_double_ushort_0.has_recursion, 0
	.set naive_conv_ab_packed_fwd_nchw_ushort_double_ushort_0.has_indirect_call, 0
	.section	.AMDGPU.csdata,"",@progbits
; Kernel info:
; codeLenInByte = 1700
; TotalNumSgprs: 56
; NumVgprs: 15
; ScratchSize: 0
; MemoryBound: 0
; FloatMode: 240
; IeeeMode: 1
; LDSByteSize: 0 bytes/workgroup (compile time only)
; SGPRBlocks: 0
; VGPRBlocks: 1
; NumSGPRsForWavesPerEU: 56
; NumVGPRsForWavesPerEU: 15
; Occupancy: 16
; WaveLimiterHint : 0
; COMPUTE_PGM_RSRC2:SCRATCH_EN: 0
; COMPUTE_PGM_RSRC2:USER_SGPR: 2
; COMPUTE_PGM_RSRC2:TRAP_HANDLER: 0
; COMPUTE_PGM_RSRC2:TGID_X_EN: 1
; COMPUTE_PGM_RSRC2:TGID_Y_EN: 0
; COMPUTE_PGM_RSRC2:TGID_Z_EN: 0
; COMPUTE_PGM_RSRC2:TIDIG_COMP_CNT: 0
	.text
	.protected	naive_conv_ab_nonpacked_fwd_nchw_ushort_double_ushort_0 ; -- Begin function naive_conv_ab_nonpacked_fwd_nchw_ushort_double_ushort_0
	.globl	naive_conv_ab_nonpacked_fwd_nchw_ushort_double_ushort_0
	.p2align	8
	.type	naive_conv_ab_nonpacked_fwd_nchw_ushort_double_ushort_0,@function
naive_conv_ab_nonpacked_fwd_nchw_ushort_double_ushort_0: ; @naive_conv_ab_nonpacked_fwd_nchw_ushort_double_ushort_0
; %bb.0:
	s_load_b256 s[20:27], s[0:1], 0xa0
	s_mov_b32 s9, exec_lo
	s_wait_kmcnt 0x0
	s_abs_i32 s3, s23
	s_mul_i32 s25, s26, s25
	s_cvt_f32_u32 s2, s3
	s_delay_alu instid0(SALU_CYCLE_3) | instskip(NEXT) | instid1(TRANS32_DEP_1)
	v_rcp_iflag_f32_e32 v1, s2
	v_readfirstlane_b32 s2, v1
	s_mul_f32 s2, s2, 0x4f7ffffe
	s_wait_alu 0xfffe
	s_delay_alu instid0(SALU_CYCLE_2) | instskip(SKIP_2) | instid1(SALU_CYCLE_1)
	s_cvt_u32_f32 s4, s2
	s_sub_co_i32 s2, 0, s3
	s_wait_alu 0xfffe
	s_mul_i32 s2, s2, s4
	s_wait_alu 0xfffe
	s_mul_hi_u32 s5, s4, s2
	s_abs_i32 s2, ttmp9
	s_add_co_i32 s4, s4, s5
	s_wait_alu 0xfffe
	s_mul_hi_u32 s4, s2, s4
	s_delay_alu instid0(SALU_CYCLE_1) | instskip(SKIP_2) | instid1(SALU_CYCLE_1)
	s_mul_i32 s5, s4, s3
	s_add_co_i32 s6, s4, 1
	s_sub_co_i32 s5, s2, s5
	s_sub_co_i32 s7, s5, s3
	s_cmp_ge_u32 s5, s3
	s_cselect_b32 s4, s6, s4
	s_cselect_b32 s5, s7, s5
	s_add_co_i32 s6, s4, 1
	s_cmp_ge_u32 s5, s3
	s_mul_i32 s5, s23, s22
	s_cselect_b32 s6, s6, s4
	s_abs_i32 s4, s22
	s_abs_i32 s22, s5
	s_cvt_f32_u32 s3, s4
	s_cvt_f32_u32 s7, s22
	s_wait_alu 0xfffe
	s_delay_alu instid0(SALU_CYCLE_1) | instskip(NEXT) | instid1(SALU_CYCLE_1)
	v_rcp_iflag_f32_e32 v1, s3
	v_rcp_iflag_f32_e32 v2, s7
	s_mov_b32 s3, 0
	s_delay_alu instid0(TRANS32_DEP_2) | instskip(NEXT) | instid1(TRANS32_DEP_1)
	v_readfirstlane_b32 s8, v1
	v_readfirstlane_b32 s7, v2
	v_cmpx_gt_i32_e64 s25, v0
	s_cbranch_execz .LBB7_19
; %bb.1:
	s_mul_f32 s8, s8, 0x4f7ffffe
	s_ashr_i32 s33, ttmp9, 31
	s_ashr_i32 s9, s23, 31
	s_sub_co_i32 s10, 0, s4
	s_cvt_u32_f32 s8, s8
	s_xor_b32 s9, s33, s9
	s_mul_f32 s11, s7, 0x4f7ffffe
	s_xor_b32 s6, s6, s9
	s_mul_i32 s10, s10, s8
	s_wait_alu 0xfffe
	s_sub_co_i32 s12, s6, s9
	s_mul_hi_u32 s7, s8, s10
	s_abs_i32 s6, s12
	s_wait_alu 0xfffe
	s_add_co_i32 s8, s8, s7
	s_mov_b32 s7, s3
	s_cvt_u32_f32 s10, s11
	s_mov_b32 s9, s3
	s_sub_co_i32 s11, 0, s22
	s_wait_alu 0xfffe
	s_mul_u64 s[8:9], s[6:7], s[8:9]
	s_mul_i32 s11, s11, s10
	s_ashr_i32 s36, s5, 31
	s_mul_i32 s5, s9, s4
	s_ashr_i32 s35, s12, 31
	s_mul_hi_u32 s7, s10, s11
	s_mul_i32 s12, s12, s23
	s_sub_co_i32 s5, s6, s5
	s_wait_alu 0xfffe
	s_add_co_i32 s8, s10, s7
	s_sub_co_i32 s34, ttmp9, s12
	s_sub_co_i32 s6, s5, s4
	s_cmp_ge_u32 s5, s4
	s_mov_b32 s9, s3
	s_wait_alu 0xfffe
	s_cselect_b32 s5, s6, s5
	s_mul_u64 s[44:45], s[2:3], s[8:9]
	s_sub_co_i32 s6, s5, s4
	s_cmp_ge_u32 s5, s4
	s_clause 0x1
	s_load_b64 s[52:53], s[0:1], 0x98
	s_load_b128 s[28:31], s[0:1], 0x88
	s_cselect_b32 s23, s6, s5
	s_xor_b32 s33, s33, s36
	s_xor_b32 s23, s23, s35
	s_load_b256 s[36:43], s[0:1], 0x0
	s_sub_co_i32 s54, s23, s35
	s_mul_i32 s23, s45, s22
	s_load_b512 s[4:19], s[0:1], 0x28
	s_sub_co_i32 s2, s2, s23
	s_add_co_i32 s23, s45, 1
	s_wait_alu 0xfffe
	s_sub_co_i32 s35, s2, s22
	s_cmp_ge_u32 s2, s22
	s_load_b64 s[64:65], s[0:1], 0x20
	s_cselect_b32 s23, s23, s45
	s_load_b256 s[44:51], s[0:1], 0xc0
	s_cselect_b32 s2, s35, s2
	s_add_co_i32 s35, s23, 1
	s_wait_alu 0xfffe
	s_cmp_ge_u32 s2, s22
	s_load_b32 s67, s[0:1], 0xec
	s_cselect_b32 s2, s35, s23
	s_ashr_i32 s55, s54, 31
	s_wait_alu 0xfffe
	s_xor_b32 s2, s2, s33
	s_ashr_i32 s35, s34, 31
	s_wait_alu 0xfffe
	s_sub_co_i32 s22, s2, s33
	s_wait_kmcnt 0x0
	v_cmp_neq_f64_e64 s2, s[40:41], 1.0
	v_cmp_neq_f64_e64 s66, s[42:43], 0
	s_ashr_i32 s23, s22, 31
	s_mul_u64 s[12:13], s[12:13], s[54:55]
	s_mul_u64 s[10:11], s[10:11], s[22:23]
	;; [unrolled: 1-line block ×5, first 2 shown]
	s_lshl_b64 s[12:13], s[12:13], 1
	s_lshl_b64 s[10:11], s[10:11], 1
	;; [unrolled: 1-line block ×5, first 2 shown]
	s_cmp_gt_i32 s24, 0
	s_add_nc_u64 s[12:13], s[36:37], s[12:13]
	s_cselect_b32 s33, -1, 0
	s_cmp_gt_i32 s49, 0
	s_add_nc_u64 s[10:11], s[12:13], s[10:11]
	s_cselect_b32 s51, -1, 0
	s_cmp_gt_i32 s50, 0
	s_cselect_b32 s60, -1, 0
	s_abs_i32 s61, s26
	s_lshl_b64 s[18:19], s[18:19], 1
	s_cvt_f32_u32 s52, s61
	s_lshl_b64 s[16:17], s[16:17], 1
	s_lshl_b64 s[14:15], s[14:15], 1
	s_delay_alu instid0(SALU_CYCLE_1)
	v_rcp_iflag_f32_e32 v1, s52
	s_load_b256 s[52:59], s[0:1], 0x68
	s_add_nc_u64 s[0:1], s[64:65], s[62:63]
	s_and_b32 s63, s67, 0xffff
	s_add_nc_u64 s[0:1], s[0:1], s[30:31]
	s_ashr_i32 s64, s26, 31
	s_add_nc_u64 s[12:13], s[0:1], s[28:29]
	s_sub_co_i32 s0, 0, s61
	s_delay_alu instid0(TRANS32_DEP_1) | instskip(SKIP_2) | instid1(SALU_CYCLE_3)
	v_readfirstlane_b32 s68, v1
	s_or_b32 s62, s2, s66
	s_mul_f32 s30, s68, 0x4f7ffffe
	s_cvt_u32_f32 s2, s30
	s_wait_kmcnt 0x0
	s_mul_u64 s[22:23], s[54:55], s[22:23]
	s_wait_alu 0xfffe
	s_mul_i32 s28, s0, s2
	s_mul_u64 s[0:1], s[52:53], s[34:35]
	s_lshl_b64 s[22:23], s[22:23], 1
	s_lshl_b64 s[0:1], s[0:1], 1
	s_mul_hi_u32 s28, s2, s28
	s_add_nc_u64 s[0:1], s[0:1], s[22:23]
	s_add_co_i32 s52, s2, s28
	s_add_nc_u64 s[22:23], s[38:39], s[0:1]
	s_mov_b32 s38, 0
	s_branch .LBB7_3
.LBB7_2:                                ;   in Loop: Header=BB7_3 Depth=1
	v_add_nc_u32_e32 v0, s63, v0
	s_delay_alu instid0(VALU_DEP_1)
	v_cmp_le_i32_e32 vcc_lo, s25, v0
	s_or_b32 s38, vcc_lo, s38
	s_wait_alu 0xfffe
	s_and_not1_b32 exec_lo, exec_lo, s38
	s_cbranch_execz .LBB7_19
.LBB7_3:                                ; =>This Loop Header: Depth=1
                                        ;     Child Loop BB7_6 Depth 2
                                        ;       Child Loop BB7_9 Depth 3
                                        ;         Child Loop BB7_12 Depth 4
	v_sub_nc_u32_e32 v1, 0, v0
	s_delay_alu instid0(VALU_DEP_1) | instskip(SKIP_1) | instid1(VALU_DEP_1)
	v_max_i32_e32 v1, v0, v1
	s_wait_alu 0xfffe
	v_mul_hi_u32 v2, v1, s52
	s_delay_alu instid0(VALU_DEP_1) | instskip(NEXT) | instid1(VALU_DEP_1)
	v_mul_lo_u32 v3, v2, s61
	v_sub_nc_u32_e32 v1, v1, v3
	v_add_nc_u32_e32 v3, 1, v2
	s_delay_alu instid0(VALU_DEP_2) | instskip(SKIP_2) | instid1(VALU_DEP_2)
	v_subrev_nc_u32_e32 v4, s61, v1
	v_cmp_le_u32_e32 vcc_lo, s61, v1
	s_wait_alu 0xfffd
	v_dual_cndmask_b32 v2, v2, v3 :: v_dual_cndmask_b32 v1, v1, v4
	v_ashrrev_i32_e32 v3, 31, v0
	s_delay_alu instid0(VALU_DEP_2) | instskip(NEXT) | instid1(VALU_DEP_3)
	v_add_nc_u32_e32 v4, 1, v2
	v_cmp_le_u32_e32 vcc_lo, s61, v1
	s_delay_alu instid0(VALU_DEP_3) | instskip(SKIP_1) | instid1(VALU_DEP_3)
	v_xor_b32_e32 v3, s64, v3
	s_wait_alu 0xfffd
	v_cndmask_b32_e32 v1, v2, v4, vcc_lo
	s_and_not1_b32 vcc_lo, exec_lo, s33
	s_delay_alu instid0(VALU_DEP_1) | instskip(NEXT) | instid1(VALU_DEP_1)
	v_xor_b32_e32 v1, v1, v3
	v_sub_nc_u32_e32 v5, v1, v3
	s_delay_alu instid0(VALU_DEP_1) | instskip(NEXT) | instid1(VALU_DEP_1)
	v_mul_lo_u32 v1, v5, s26
	v_sub_nc_u32_e32 v4, v0, v1
	s_wait_alu 0xfffe
	s_cbranch_vccnz .LBB7_14
; %bb.4:                                ;   in Loop: Header=BB7_3 Depth=1
	v_mul_lo_u32 v3, v5, s27
	s_delay_alu instid0(VALU_DEP_2) | instskip(SKIP_4) | instid1(VALU_DEP_4)
	v_mul_lo_u32 v6, v4, s44
	v_mov_b32_e32 v1, 0
	v_mov_b32_e32 v2, 0
	s_mov_b32 s2, 0
	s_mov_b64 s[28:29], s[22:23]
	v_subrev_nc_u32_e32 v3, s47, v3
	s_delay_alu instid0(VALU_DEP_4)
	v_subrev_nc_u32_e32 v6, s48, v6
	s_branch .LBB7_6
.LBB7_5:                                ;   in Loop: Header=BB7_6 Depth=2
	s_add_co_i32 s2, s2, 1
	s_add_nc_u64 s[28:29], s[28:29], s[18:19]
	s_wait_alu 0xfffe
	s_cmp_eq_u32 s2, s24
	s_cbranch_scc1 .LBB7_15
.LBB7_6:                                ;   Parent Loop BB7_3 Depth=1
                                        ; =>  This Loop Header: Depth=2
                                        ;       Child Loop BB7_9 Depth 3
                                        ;         Child Loop BB7_12 Depth 4
	s_and_not1_b32 vcc_lo, exec_lo, s51
	s_wait_alu 0xfffe
	s_cbranch_vccnz .LBB7_5
; %bb.7:                                ;   in Loop: Header=BB7_6 Depth=2
	s_mul_u64 s[0:1], s[8:9], s[2:3]
	s_mov_b32 s39, 0
	s_wait_alu 0xfffe
	s_lshl_b64 s[0:1], s[0:1], 1
	s_mov_b64 s[34:35], s[28:29]
	s_wait_alu 0xfffe
	s_add_nc_u64 s[30:31], s[10:11], s[0:1]
	s_branch .LBB7_9
.LBB7_8:                                ;   in Loop: Header=BB7_9 Depth=3
	s_add_co_i32 s39, s39, 1
	s_add_nc_u64 s[34:35], s[34:35], s[16:17]
	s_wait_alu 0xfffe
	s_cmp_eq_u32 s39, s49
	s_cbranch_scc1 .LBB7_5
.LBB7_9:                                ;   Parent Loop BB7_3 Depth=1
                                        ;     Parent Loop BB7_6 Depth=2
                                        ; =>    This Loop Header: Depth=3
                                        ;         Child Loop BB7_12 Depth 4
	s_and_not1_b32 vcc_lo, exec_lo, s60
	s_wait_alu 0xfffe
	s_cbranch_vccnz .LBB7_8
; %bb.10:                               ;   in Loop: Header=BB7_9 Depth=3
	v_mad_co_u64_u32 v[7:8], null, s39, s45, v[3:4]
	s_mov_b64 s[36:37], s[34:35]
	s_mov_b32 s53, s50
	v_mad_co_u64_u32 v[8:9], null, s6, v7, 0
	v_cmp_gt_i32_e32 vcc_lo, 0, v7
	v_cmp_le_i32_e64 s0, s20, v7
	s_delay_alu instid0(VALU_DEP_3) | instskip(NEXT) | instid1(VALU_DEP_1)
	v_mad_co_u64_u32 v[9:10], null, s7, v7, v[9:10]
	v_lshlrev_b64_e32 v[8:9], 1, v[8:9]
	s_delay_alu instid0(VALU_DEP_1) | instskip(SKIP_1) | instid1(VALU_DEP_2)
	v_add_co_u32 v7, s1, s30, v8
	s_wait_alu 0xf1ff
	v_add_co_ci_u32_e64 v8, null, s31, v9, s1
	v_mov_b32_e32 v9, v6
	s_or_b32 s1, vcc_lo, s0
	s_branch .LBB7_12
.LBB7_11:                               ;   in Loop: Header=BB7_12 Depth=4
	s_wait_alu 0xfffe
	s_or_b32 exec_lo, exec_lo, s0
	v_add_nc_u32_e32 v9, s46, v9
	s_add_co_i32 s53, s53, -1
	s_add_nc_u64 s[36:37], s[36:37], s[14:15]
	s_wait_alu 0xfffe
	s_cmp_eq_u32 s53, 0
	s_cbranch_scc1 .LBB7_8
.LBB7_12:                               ;   Parent Loop BB7_3 Depth=1
                                        ;     Parent Loop BB7_6 Depth=2
                                        ;       Parent Loop BB7_9 Depth=3
                                        ; =>      This Inner Loop Header: Depth=4
	s_delay_alu instid0(VALU_DEP_1)
	v_cmp_gt_i32_e32 vcc_lo, 0, v9
	v_cmp_le_i32_e64 s0, s21, v9
	s_or_b32 s0, vcc_lo, s0
	s_wait_alu 0xfffe
	s_nor_b32 s54, s1, s0
	s_wait_alu 0xfffe
	s_and_saveexec_b32 s0, s54
	s_cbranch_execz .LBB7_11
; %bb.13:                               ;   in Loop: Header=BB7_12 Depth=4
	v_mad_co_u64_u32 v[10:11], null, s4, v9, 0
	s_load_u16 s54, s[36:37], 0x0
	v_mad_co_u64_u32 v[11:12], null, s5, v9, v[11:12]
	s_delay_alu instid0(VALU_DEP_1) | instskip(SKIP_2) | instid1(VALU_DEP_1)
	v_lshlrev_b64_e32 v[10:11], 1, v[10:11]
	s_wait_kmcnt 0x0
	s_lshl_b32 s54, s54, 16
	v_add_co_u32 v10, vcc_lo, v7, v10
	s_wait_alu 0xfffd
	s_delay_alu instid0(VALU_DEP_2)
	v_add_co_ci_u32_e64 v11, null, v8, v11, vcc_lo
	s_wait_alu 0xfffe
	v_cvt_f64_f32_e32 v[12:13], s54
	global_load_u16 v10, v[10:11], off
	s_wait_loadcnt 0x0
	v_lshlrev_b32_e32 v10, 16, v10
	s_delay_alu instid0(VALU_DEP_1) | instskip(NEXT) | instid1(VALU_DEP_1)
	v_cvt_f64_f32_e32 v[10:11], v10
	v_fma_f64 v[1:2], v[10:11], v[12:13], v[1:2]
	s_branch .LBB7_11
.LBB7_14:                               ;   in Loop: Header=BB7_3 Depth=1
	v_mov_b32_e32 v1, 0
	v_mov_b32_e32 v2, 0
.LBB7_15:                               ;   in Loop: Header=BB7_3 Depth=1
	v_ashrrev_i32_e32 v3, 31, v5
	v_mul_lo_u32 v7, s59, v5
	v_mad_co_u64_u32 v[5:6], null, s58, v5, 0
	v_ashrrev_i32_e32 v8, 31, v4
	s_delay_alu instid0(VALU_DEP_4) | instskip(SKIP_2) | instid1(VALU_DEP_2)
	v_mul_lo_u32 v3, s58, v3
	s_and_b32 vcc_lo, exec_lo, s62
	s_mov_b32 s0, -1
	v_mul_lo_u32 v8, s56, v8
	s_delay_alu instid0(VALU_DEP_2) | instskip(SKIP_1) | instid1(VALU_DEP_2)
	v_add3_u32 v6, v6, v3, v7
	v_mul_lo_u32 v7, s57, v4
	v_mad_co_u64_u32 v[3:4], null, s56, v4, v[5:6]
	s_delay_alu instid0(VALU_DEP_1)
	v_add3_u32 v4, v7, v4, v8
	s_wait_alu 0xfffe
	s_cbranch_vccz .LBB7_17
; %bb.16:                               ;   in Loop: Header=BB7_3 Depth=1
	s_delay_alu instid0(VALU_DEP_1) | instskip(NEXT) | instid1(VALU_DEP_1)
	v_lshlrev_b64_e32 v[5:6], 1, v[3:4]
	v_add_co_u32 v5, vcc_lo, s12, v5
	s_wait_alu 0xfffd
	s_delay_alu instid0(VALU_DEP_2) | instskip(SKIP_3) | instid1(VALU_DEP_1)
	v_add_co_ci_u32_e64 v6, null, s13, v6, vcc_lo
	global_load_u16 v7, v[5:6], off
	s_wait_loadcnt 0x0
	v_lshlrev_b32_e32 v7, 16, v7
	v_cvt_f64_f32_e32 v[7:8], v7
	s_delay_alu instid0(VALU_DEP_1) | instskip(NEXT) | instid1(VALU_DEP_1)
	v_mul_f64_e32 v[7:8], s[42:43], v[7:8]
	v_fma_f64 v[7:8], s[40:41], v[1:2], v[7:8]
	s_delay_alu instid0(VALU_DEP_1) | instskip(NEXT) | instid1(VALU_DEP_1)
	v_cvt_f32_f64_e32 v7, v[7:8]
	v_and_b32_e32 v8, 0x7f800000, v7
	v_and_b32_e32 v9, 0xffff, v7
	v_lshrrev_b32_e32 v7, 16, v7
	s_delay_alu instid0(VALU_DEP_3) | instskip(NEXT) | instid1(VALU_DEP_3)
	v_cmp_eq_u32_e32 vcc_lo, 0x7f800000, v8
	v_cmp_ne_u32_e64 s0, 0, v9
	s_and_b32 s0, vcc_lo, s0
	s_wait_alu 0xfffe
	v_cndmask_b32_e64 v8, 0, 1, s0
	s_mov_b32 s0, 0
	s_delay_alu instid0(VALU_DEP_1)
	v_or_b32_e32 v7, v7, v8
	global_store_b16 v[5:6], v7, off
.LBB7_17:                               ;   in Loop: Header=BB7_3 Depth=1
	s_wait_alu 0xfffe
	s_and_not1_b32 vcc_lo, exec_lo, s0
	s_wait_alu 0xfffe
	s_cbranch_vccnz .LBB7_2
; %bb.18:                               ;   in Loop: Header=BB7_3 Depth=1
	v_cvt_f32_f64_e32 v1, v[1:2]
	s_delay_alu instid0(VALU_DEP_1) | instskip(SKIP_1) | instid1(VALU_DEP_2)
	v_and_b32_e32 v2, 0x7f800000, v1
	v_and_b32_e32 v5, 0xffff, v1
	v_cmp_eq_u32_e32 vcc_lo, 0x7f800000, v2
	s_delay_alu instid0(VALU_DEP_2)
	v_cmp_ne_u32_e64 s0, 0, v5
	v_lshrrev_b32_e32 v5, 16, v1
	v_lshlrev_b64_e32 v[1:2], 1, v[3:4]
	s_and_b32 s0, vcc_lo, s0
	s_wait_alu 0xfffe
	v_cndmask_b32_e64 v6, 0, 1, s0
	s_delay_alu instid0(VALU_DEP_2) | instskip(SKIP_2) | instid1(VALU_DEP_3)
	v_add_co_u32 v1, vcc_lo, s12, v1
	s_wait_alu 0xfffd
	v_add_co_ci_u32_e64 v2, null, s13, v2, vcc_lo
	v_or_b32_e32 v3, v5, v6
	global_store_b16 v[1:2], v3, off
	s_branch .LBB7_2
.LBB7_19:
	s_endpgm
	.section	.rodata,"a",@progbits
	.p2align	6, 0x0
	.amdhsa_kernel naive_conv_ab_nonpacked_fwd_nchw_ushort_double_ushort_0
		.amdhsa_group_segment_fixed_size 0
		.amdhsa_private_segment_fixed_size 0
		.amdhsa_kernarg_size 480
		.amdhsa_user_sgpr_count 2
		.amdhsa_user_sgpr_dispatch_ptr 0
		.amdhsa_user_sgpr_queue_ptr 0
		.amdhsa_user_sgpr_kernarg_segment_ptr 1
		.amdhsa_user_sgpr_dispatch_id 0
		.amdhsa_user_sgpr_private_segment_size 0
		.amdhsa_wavefront_size32 1
		.amdhsa_uses_dynamic_stack 0
		.amdhsa_enable_private_segment 0
		.amdhsa_system_sgpr_workgroup_id_x 1
		.amdhsa_system_sgpr_workgroup_id_y 0
		.amdhsa_system_sgpr_workgroup_id_z 0
		.amdhsa_system_sgpr_workgroup_info 0
		.amdhsa_system_vgpr_workitem_id 0
		.amdhsa_next_free_vgpr 14
		.amdhsa_next_free_sgpr 69
		.amdhsa_reserve_vcc 1
		.amdhsa_float_round_mode_32 0
		.amdhsa_float_round_mode_16_64 0
		.amdhsa_float_denorm_mode_32 3
		.amdhsa_float_denorm_mode_16_64 3
		.amdhsa_fp16_overflow 0
		.amdhsa_workgroup_processor_mode 1
		.amdhsa_memory_ordered 1
		.amdhsa_forward_progress 1
		.amdhsa_inst_pref_size 14
		.amdhsa_round_robin_scheduling 0
		.amdhsa_exception_fp_ieee_invalid_op 0
		.amdhsa_exception_fp_denorm_src 0
		.amdhsa_exception_fp_ieee_div_zero 0
		.amdhsa_exception_fp_ieee_overflow 0
		.amdhsa_exception_fp_ieee_underflow 0
		.amdhsa_exception_fp_ieee_inexact 0
		.amdhsa_exception_int_div_zero 0
	.end_amdhsa_kernel
	.text
.Lfunc_end7:
	.size	naive_conv_ab_nonpacked_fwd_nchw_ushort_double_ushort_0, .Lfunc_end7-naive_conv_ab_nonpacked_fwd_nchw_ushort_double_ushort_0
                                        ; -- End function
	.set naive_conv_ab_nonpacked_fwd_nchw_ushort_double_ushort_0.num_vgpr, 14
	.set naive_conv_ab_nonpacked_fwd_nchw_ushort_double_ushort_0.num_agpr, 0
	.set naive_conv_ab_nonpacked_fwd_nchw_ushort_double_ushort_0.numbered_sgpr, 69
	.set naive_conv_ab_nonpacked_fwd_nchw_ushort_double_ushort_0.num_named_barrier, 0
	.set naive_conv_ab_nonpacked_fwd_nchw_ushort_double_ushort_0.private_seg_size, 0
	.set naive_conv_ab_nonpacked_fwd_nchw_ushort_double_ushort_0.uses_vcc, 1
	.set naive_conv_ab_nonpacked_fwd_nchw_ushort_double_ushort_0.uses_flat_scratch, 0
	.set naive_conv_ab_nonpacked_fwd_nchw_ushort_double_ushort_0.has_dyn_sized_stack, 0
	.set naive_conv_ab_nonpacked_fwd_nchw_ushort_double_ushort_0.has_recursion, 0
	.set naive_conv_ab_nonpacked_fwd_nchw_ushort_double_ushort_0.has_indirect_call, 0
	.section	.AMDGPU.csdata,"",@progbits
; Kernel info:
; codeLenInByte = 1740
; TotalNumSgprs: 71
; NumVgprs: 14
; ScratchSize: 0
; MemoryBound: 0
; FloatMode: 240
; IeeeMode: 1
; LDSByteSize: 0 bytes/workgroup (compile time only)
; SGPRBlocks: 0
; VGPRBlocks: 1
; NumSGPRsForWavesPerEU: 71
; NumVGPRsForWavesPerEU: 14
; Occupancy: 16
; WaveLimiterHint : 0
; COMPUTE_PGM_RSRC2:SCRATCH_EN: 0
; COMPUTE_PGM_RSRC2:USER_SGPR: 2
; COMPUTE_PGM_RSRC2:TRAP_HANDLER: 0
; COMPUTE_PGM_RSRC2:TGID_X_EN: 1
; COMPUTE_PGM_RSRC2:TGID_Y_EN: 0
; COMPUTE_PGM_RSRC2:TGID_Z_EN: 0
; COMPUTE_PGM_RSRC2:TIDIG_COMP_CNT: 0
	.text
	.protected	naive_conv_ab_packed_fwd_nchw_int8_t_int32_t_int8_t_0 ; -- Begin function naive_conv_ab_packed_fwd_nchw_int8_t_int32_t_int8_t_0
	.globl	naive_conv_ab_packed_fwd_nchw_int8_t_int32_t_int8_t_0
	.p2align	8
	.type	naive_conv_ab_packed_fwd_nchw_int8_t_int32_t_int8_t_0,@function
naive_conv_ab_packed_fwd_nchw_int8_t_int32_t_int8_t_0: ; @naive_conv_ab_packed_fwd_nchw_int8_t_int32_t_int8_t_0
; %bb.0:
	s_load_b512 s[4:19], s[0:1], 0xa0
	s_mov_b32 s25, exec_lo
	s_wait_kmcnt 0x0
	s_abs_i32 s3, s7
	s_mul_i32 s33, s10, s9
	s_cvt_f32_u32 s2, s3
	s_delay_alu instid0(SALU_CYCLE_3) | instskip(NEXT) | instid1(TRANS32_DEP_1)
	v_rcp_iflag_f32_e32 v1, s2
	v_readfirstlane_b32 s2, v1
	s_mul_f32 s2, s2, 0x4f7ffffe
	s_wait_alu 0xfffe
	s_delay_alu instid0(SALU_CYCLE_2) | instskip(SKIP_2) | instid1(SALU_CYCLE_1)
	s_cvt_u32_f32 s20, s2
	s_sub_co_i32 s2, 0, s3
	s_wait_alu 0xfffe
	s_mul_i32 s2, s2, s20
	s_wait_alu 0xfffe
	s_mul_hi_u32 s21, s20, s2
	s_abs_i32 s2, ttmp9
	s_add_co_i32 s20, s20, s21
	s_wait_alu 0xfffe
	s_mul_hi_u32 s20, s2, s20
	s_delay_alu instid0(SALU_CYCLE_1) | instskip(SKIP_2) | instid1(SALU_CYCLE_1)
	s_mul_i32 s21, s20, s3
	s_add_co_i32 s22, s20, 1
	s_sub_co_i32 s21, s2, s21
	s_sub_co_i32 s23, s21, s3
	s_cmp_ge_u32 s21, s3
	s_cselect_b32 s20, s22, s20
	s_cselect_b32 s21, s23, s21
	s_add_co_i32 s22, s20, 1
	s_cmp_ge_u32 s21, s3
	s_mul_i32 s21, s7, s6
	s_cselect_b32 s22, s22, s20
	s_abs_i32 s20, s6
	s_abs_i32 s6, s21
	s_cvt_f32_u32 s3, s20
	s_cvt_f32_u32 s23, s6
	s_wait_alu 0xfffe
	s_delay_alu instid0(SALU_CYCLE_1) | instskip(NEXT) | instid1(SALU_CYCLE_1)
	v_rcp_iflag_f32_e32 v1, s3
	v_rcp_iflag_f32_e32 v2, s23
	s_mov_b32 s3, 0
	s_delay_alu instid0(TRANS32_DEP_2) | instskip(NEXT) | instid1(TRANS32_DEP_1)
	v_readfirstlane_b32 s24, v1
	v_readfirstlane_b32 s23, v2
	v_cmpx_gt_i32_e64 s33, v0
	s_cbranch_execz .LBB8_16
; %bb.1:
	s_mul_f32 s24, s24, 0x4f7ffffe
	s_ashr_i32 s26, ttmp9, 31
	s_ashr_i32 s41, s7, 31
	s_sub_co_i32 s25, 0, s20
	s_cvt_u32_f32 s24, s24
	s_xor_b32 s27, s26, s41
	s_mul_f32 s28, s23, 0x4f7ffffe
	s_xor_b32 s22, s22, s27
	s_mul_i32 s25, s25, s24
	s_wait_alu 0xfffe
	s_sub_co_i32 s27, s22, s27
	s_mul_hi_u32 s23, s24, s25
	s_abs_i32 s22, s27
	s_wait_alu 0xfffe
	s_add_co_i32 s24, s24, s23
	s_mov_b32 s23, s3
	s_cvt_u32_f32 s28, s28
	s_mov_b32 s25, s3
	s_sub_co_i32 s29, 0, s6
	s_wait_alu 0xfffe
	s_mul_u64 s[24:25], s[22:23], s[24:25]
	s_mul_i32 s29, s29, s28
	s_mul_i32 s25, s25, s20
	s_ashr_i32 s23, s27, 31
	s_mul_hi_u32 s24, s28, s29
	s_mul_i32 s27, s27, s7
	s_sub_co_i32 s22, s22, s25
	s_ashr_i32 s21, s21, 31
	s_add_co_i32 s24, s28, s24
	s_sub_co_i32 s42, ttmp9, s27
	s_wait_alu 0xfffe
	s_sub_co_i32 s25, s22, s20
	s_cmp_ge_u32 s22, s20
	s_mul_i32 s50, s19, s7
	s_cselect_b32 s22, s25, s22
	s_mov_b32 s25, s3
	s_wait_alu 0xfffe
	s_sub_co_i32 s27, s22, s20
	s_cmp_ge_u32 s22, s20
	s_mul_u64 s[28:29], s[2:3], s[24:25]
	s_cselect_b32 s20, s27, s22
	s_xor_b32 s30, s26, s21
	s_xor_b32 s20, s20, s23
	s_add_co_i32 s28, s29, 1
	s_sub_co_i32 s48, s20, s23
	s_mul_i32 s20, s29, s6
	s_mov_b32 s34, s8
	s_sub_co_i32 s2, s2, s20
	s_load_b256 s[20:27], s[0:1], 0x0
	s_sub_co_i32 s31, s2, s6
	s_cmp_ge_u32 s2, s6
	s_mov_b32 s40, s7
	s_cselect_b32 s28, s28, s29
	s_cselect_b32 s2, s31, s2
	s_add_co_i32 s29, s28, 1
	s_wait_alu 0xfffe
	s_cmp_ge_u32 s2, s6
	s_mov_b32 s56, s9
	s_cselect_b32 s2, s29, s28
	s_mul_i32 s28, s19, s8
	s_wait_alu 0xfffe
	s_xor_b32 s2, s2, s30
	s_ashr_i32 s49, s48, 31
	s_ashr_i32 s29, s28, 31
	s_wait_alu 0xfffe
	s_sub_co_i32 s52, s2, s30
	s_mul_u64 s[54:55], s[48:49], s[28:29]
	s_ashr_i32 s29, s4, 31
	s_ashr_i32 s31, s5, 31
	s_ashr_i32 s53, s52, 31
	s_ashr_i32 s35, s8, 31
	s_ashr_i32 s37, s17, 31
	s_ashr_i32 s19, s18, 31
	s_ashr_i32 s43, s42, 31
	s_ashr_i32 s51, s50, 31
	s_ashr_i32 s57, s9, 31
	s_ashr_i32 s39, s10, 31
	s_cmp_gt_i32 s8, 0
	s_wait_kmcnt 0x0
	v_cmp_neq_f64_e64 s2, s[24:25], 1.0
	v_cmp_neq_f64_e64 s60, s[26:27], 0
	s_cselect_b32 s44, -1, 0
	s_cmp_gt_i32 s17, 0
	v_cvt_i32_f64_e32 v5, s[24:25]
	v_cvt_i32_f64_e32 v6, s[26:27]
	s_cselect_b32 s45, -1, 0
	s_cmp_gt_i32 s18, 0
	s_clause 0x1
	s_load_b64 s[24:25], s[0:1], 0x20
	s_load_b32 s61, s[0:1], 0xec
	s_cselect_b32 s46, -1, 0
	s_abs_i32 s47, s10
	s_mov_b32 s28, s4
	s_cvt_f32_u32 s6, s47
	s_mov_b32 s30, s5
	s_mul_u64 s[4:5], s[52:53], s[34:35]
	s_mul_u64 s[58:59], s[30:31], s[28:29]
	v_rcp_iflag_f32_e32 v1, s6
	s_add_nc_u64 s[0:1], s[4:5], s[54:55]
	s_mul_u64 s[6:7], s[52:53], s[40:41]
	s_mul_u64 s[0:1], s[58:59], s[0:1]
	;; [unrolled: 1-line block ×3, first 2 shown]
	s_mov_b32 s38, s10
	s_add_nc_u64 s[4:5], s[20:21], s[0:1]
	s_wait_alu 0xfffe
	s_add_nc_u64 s[20:21], s[6:7], s[42:43]
	s_mul_u64 s[0:1], s[38:39], s[56:57]
	s_add_nc_u64 s[6:7], s[20:21], s[26:27]
	v_readfirstlane_b32 s8, v1
	s_mov_b32 s36, s17
	s_wait_alu 0xfffe
	s_mul_u64 s[0:1], s[0:1], s[6:7]
	s_mul_u64 s[6:7], s[18:19], s[36:37]
	s_mul_f32 s8, s8, 0x4f7ffffe
	s_wait_alu 0xfffe
	s_mul_u64 s[20:21], s[6:7], s[20:21]
	s_delay_alu instid0(SALU_CYCLE_1)
	s_mul_u64 s[20:21], s[20:21], s[34:35]
	s_cvt_u32_f32 s17, s8
	s_wait_kmcnt 0x0
	s_add_nc_u64 s[8:9], s[24:25], s[0:1]
	s_sub_co_i32 s0, 0, s47
	s_and_b32 s1, s61, 0xffff
	s_mul_i32 s0, s0, s17
	s_or_b32 s10, s2, s60
	s_mul_hi_u32 s0, s17, s0
	s_add_nc_u64 s[20:21], s[22:23], s[20:21]
	s_add_co_i32 s17, s17, s0
	s_mov_b32 s35, 0
	s_branch .LBB8_3
.LBB8_2:                                ;   in Loop: Header=BB8_3 Depth=1
	v_add_nc_u32_e32 v0, s1, v0
	global_store_b8 v[3:4], v1, off
	v_cmp_le_i32_e32 vcc_lo, s33, v0
	s_or_b32 s35, vcc_lo, s35
	s_delay_alu instid0(SALU_CYCLE_1)
	s_and_not1_b32 exec_lo, exec_lo, s35
	s_cbranch_execz .LBB8_16
.LBB8_3:                                ; =>This Loop Header: Depth=1
                                        ;     Child Loop BB8_6 Depth 2
                                        ;       Child Loop BB8_9 Depth 3
                                        ;         Child Loop BB8_12 Depth 4
	v_sub_nc_u32_e32 v1, 0, v0
	s_delay_alu instid0(VALU_DEP_1) | instskip(NEXT) | instid1(VALU_DEP_1)
	v_max_i32_e32 v1, v0, v1
	v_mul_hi_u32 v2, v1, s17
	s_delay_alu instid0(VALU_DEP_1) | instskip(NEXT) | instid1(VALU_DEP_1)
	v_mul_lo_u32 v3, v2, s47
	v_sub_nc_u32_e32 v1, v1, v3
	v_add_nc_u32_e32 v3, 1, v2
	s_delay_alu instid0(VALU_DEP_2) | instskip(SKIP_2) | instid1(VALU_DEP_2)
	v_subrev_nc_u32_e32 v4, s47, v1
	v_cmp_le_u32_e32 vcc_lo, s47, v1
	s_wait_alu 0xfffd
	v_dual_cndmask_b32 v2, v2, v3 :: v_dual_cndmask_b32 v1, v1, v4
	v_ashrrev_i32_e32 v3, 31, v0
	s_delay_alu instid0(VALU_DEP_2) | instskip(NEXT) | instid1(VALU_DEP_3)
	v_add_nc_u32_e32 v4, 1, v2
	v_cmp_le_u32_e32 vcc_lo, s47, v1
	s_delay_alu instid0(VALU_DEP_3) | instskip(SKIP_1) | instid1(VALU_DEP_3)
	v_xor_b32_e32 v3, s39, v3
	s_wait_alu 0xfffd
	v_cndmask_b32_e32 v1, v2, v4, vcc_lo
	s_and_not1_b32 vcc_lo, exec_lo, s44
	s_delay_alu instid0(VALU_DEP_1) | instskip(NEXT) | instid1(VALU_DEP_1)
	v_xor_b32_e32 v1, v1, v3
	v_sub_nc_u32_e32 v8, v1, v3
	s_delay_alu instid0(VALU_DEP_1) | instskip(NEXT) | instid1(VALU_DEP_1)
	v_mul_lo_u32 v1, v8, s38
	v_sub_nc_u32_e32 v7, v0, v1
	v_mov_b32_e32 v1, 0
	s_wait_alu 0xfffe
	s_cbranch_vccnz .LBB8_14
; %bb.4:                                ;   in Loop: Header=BB8_3 Depth=1
	v_mul_lo_u32 v1, v8, s11
	v_mul_lo_u32 v3, v7, s12
	s_mov_b32 s2, 0
	s_mov_b64 s[22:23], s[20:21]
	s_delay_alu instid0(VALU_DEP_2) | instskip(NEXT) | instid1(VALU_DEP_2)
	v_subrev_nc_u32_e32 v2, s15, v1
	v_subrev_nc_u32_e32 v9, s16, v3
	v_mov_b32_e32 v1, 0
	s_branch .LBB8_6
.LBB8_5:                                ;   in Loop: Header=BB8_6 Depth=2
	s_add_co_i32 s2, s2, 1
	s_add_nc_u64 s[22:23], s[22:23], s[6:7]
	s_wait_alu 0xfffe
	s_cmp_eq_u32 s2, s34
	s_cbranch_scc1 .LBB8_14
.LBB8_6:                                ;   Parent Loop BB8_3 Depth=1
                                        ; =>  This Loop Header: Depth=2
                                        ;       Child Loop BB8_9 Depth 3
                                        ;         Child Loop BB8_12 Depth 4
	s_and_not1_b32 vcc_lo, exec_lo, s45
	s_wait_alu 0xfffe
	s_cbranch_vccnz .LBB8_5
; %bb.7:                                ;   in Loop: Header=BB8_6 Depth=2
	s_mul_u64 s[24:25], s[2:3], s[28:29]
	s_mov_b32 s37, 0
	s_mov_b64 s[26:27], s[22:23]
	s_branch .LBB8_9
.LBB8_8:                                ;   in Loop: Header=BB8_9 Depth=3
	s_add_co_i32 s37, s37, 1
	s_add_nc_u64 s[26:27], s[26:27], s[18:19]
	s_wait_alu 0xfffe
	s_cmp_eq_u32 s37, s36
	s_cbranch_scc1 .LBB8_5
.LBB8_9:                                ;   Parent Loop BB8_3 Depth=1
                                        ;     Parent Loop BB8_6 Depth=2
                                        ; =>    This Loop Header: Depth=3
                                        ;         Child Loop BB8_12 Depth 4
	s_and_not1_b32 vcc_lo, exec_lo, s46
	s_wait_alu 0xfffe
	s_cbranch_vccnz .LBB8_8
; %bb.10:                               ;   in Loop: Header=BB8_9 Depth=3
	v_mad_co_u64_u32 v[10:11], null, s37, s13, v[2:3]
	s_mov_b64 s[40:41], s[26:27]
	s_mov_b32 s43, s18
	v_add_co_u32 v3, s0, s24, v10
	s_wait_alu 0xf1ff
	v_add_co_ci_u32_e64 v4, null, s25, 0, s0
	v_cmp_gt_i32_e32 vcc_lo, 0, v10
	s_delay_alu instid0(VALU_DEP_3) | instskip(SKIP_1) | instid1(VALU_DEP_4)
	v_mul_lo_u32 v11, v3, s31
	v_cmp_le_i32_e64 s0, s28, v10
	v_mul_lo_u32 v12, v4, s30
	v_mad_co_u64_u32 v[3:4], null, v3, s30, s[4:5]
	v_mov_b32_e32 v10, v9
	s_delay_alu instid0(VALU_DEP_4) | instskip(NEXT) | instid1(VALU_DEP_2)
	s_or_b32 s42, vcc_lo, s0
	v_add3_u32 v4, v12, v4, v11
	s_branch .LBB8_12
.LBB8_11:                               ;   in Loop: Header=BB8_12 Depth=4
	s_wait_alu 0xfffe
	s_or_b32 exec_lo, exec_lo, s0
	v_add_nc_u32_e32 v10, s14, v10
	s_add_co_i32 s43, s43, -1
	s_add_nc_u64 s[40:41], s[40:41], 1
	s_cmp_eq_u32 s43, 0
	s_cbranch_scc1 .LBB8_8
.LBB8_12:                               ;   Parent Loop BB8_3 Depth=1
                                        ;     Parent Loop BB8_6 Depth=2
                                        ;       Parent Loop BB8_9 Depth=3
                                        ; =>      This Inner Loop Header: Depth=4
	s_delay_alu instid0(VALU_DEP_2)
	v_cmp_gt_i32_e32 vcc_lo, 0, v10
	v_cmp_le_i32_e64 s0, s30, v10
	s_or_b32 s0, vcc_lo, s0
	s_wait_alu 0xfffe
	s_nor_b32 s48, s42, s0
	s_wait_alu 0xfffe
	s_and_saveexec_b32 s0, s48
	s_cbranch_execz .LBB8_11
; %bb.13:                               ;   in Loop: Header=BB8_12 Depth=4
	v_add_co_u32 v11, vcc_lo, v3, v10
	s_wait_alu 0xfffd
	v_add_co_ci_u32_e64 v12, null, 0, v4, vcc_lo
	s_load_u8 s48, s[40:41], 0x0
	global_load_u8 v11, v[11:12], off
	s_wait_loadcnt 0x0
	s_wait_kmcnt 0x0
	v_mad_u32_u24 v1, s48, v11, v1
	s_branch .LBB8_11
.LBB8_14:                               ;   in Loop: Header=BB8_3 Depth=1
	v_mad_co_i64_i32 v[3:4], null, v8, s38, s[8:9]
	v_ashrrev_i32_e32 v2, 31, v7
	s_delay_alu instid0(VALU_DEP_2) | instskip(SKIP_1) | instid1(VALU_DEP_2)
	v_add_co_u32 v3, vcc_lo, v3, v7
	s_wait_alu 0xfffd
	v_add_co_ci_u32_e64 v4, null, v4, v2, vcc_lo
	s_and_not1_b32 vcc_lo, exec_lo, s10
	s_wait_alu 0xfffe
	s_cbranch_vccnz .LBB8_2
; %bb.15:                               ;   in Loop: Header=BB8_3 Depth=1
	global_load_u8 v2, v[3:4], off
	v_mul_lo_u32 v1, v1, v5
	s_wait_loadcnt 0x0
	s_delay_alu instid0(VALU_DEP_1)
	v_mad_co_u64_u32 v[1:2], null, v2, v6, v[1:2]
	s_branch .LBB8_2
.LBB8_16:
	s_endpgm
	.section	.rodata,"a",@progbits
	.p2align	6, 0x0
	.amdhsa_kernel naive_conv_ab_packed_fwd_nchw_int8_t_int32_t_int8_t_0
		.amdhsa_group_segment_fixed_size 0
		.amdhsa_private_segment_fixed_size 0
		.amdhsa_kernarg_size 480
		.amdhsa_user_sgpr_count 2
		.amdhsa_user_sgpr_dispatch_ptr 0
		.amdhsa_user_sgpr_queue_ptr 0
		.amdhsa_user_sgpr_kernarg_segment_ptr 1
		.amdhsa_user_sgpr_dispatch_id 0
		.amdhsa_user_sgpr_private_segment_size 0
		.amdhsa_wavefront_size32 1
		.amdhsa_uses_dynamic_stack 0
		.amdhsa_enable_private_segment 0
		.amdhsa_system_sgpr_workgroup_id_x 1
		.amdhsa_system_sgpr_workgroup_id_y 0
		.amdhsa_system_sgpr_workgroup_id_z 0
		.amdhsa_system_sgpr_workgroup_info 0
		.amdhsa_system_vgpr_workitem_id 0
		.amdhsa_next_free_vgpr 13
		.amdhsa_next_free_sgpr 62
		.amdhsa_reserve_vcc 1
		.amdhsa_float_round_mode_32 0
		.amdhsa_float_round_mode_16_64 0
		.amdhsa_float_denorm_mode_32 3
		.amdhsa_float_denorm_mode_16_64 3
		.amdhsa_fp16_overflow 0
		.amdhsa_workgroup_processor_mode 1
		.amdhsa_memory_ordered 1
		.amdhsa_forward_progress 1
		.amdhsa_inst_pref_size 11
		.amdhsa_round_robin_scheduling 0
		.amdhsa_exception_fp_ieee_invalid_op 0
		.amdhsa_exception_fp_denorm_src 0
		.amdhsa_exception_fp_ieee_div_zero 0
		.amdhsa_exception_fp_ieee_overflow 0
		.amdhsa_exception_fp_ieee_underflow 0
		.amdhsa_exception_fp_ieee_inexact 0
		.amdhsa_exception_int_div_zero 0
	.end_amdhsa_kernel
	.text
.Lfunc_end8:
	.size	naive_conv_ab_packed_fwd_nchw_int8_t_int32_t_int8_t_0, .Lfunc_end8-naive_conv_ab_packed_fwd_nchw_int8_t_int32_t_int8_t_0
                                        ; -- End function
	.set naive_conv_ab_packed_fwd_nchw_int8_t_int32_t_int8_t_0.num_vgpr, 13
	.set naive_conv_ab_packed_fwd_nchw_int8_t_int32_t_int8_t_0.num_agpr, 0
	.set naive_conv_ab_packed_fwd_nchw_int8_t_int32_t_int8_t_0.numbered_sgpr, 62
	.set naive_conv_ab_packed_fwd_nchw_int8_t_int32_t_int8_t_0.num_named_barrier, 0
	.set naive_conv_ab_packed_fwd_nchw_int8_t_int32_t_int8_t_0.private_seg_size, 0
	.set naive_conv_ab_packed_fwd_nchw_int8_t_int32_t_int8_t_0.uses_vcc, 1
	.set naive_conv_ab_packed_fwd_nchw_int8_t_int32_t_int8_t_0.uses_flat_scratch, 0
	.set naive_conv_ab_packed_fwd_nchw_int8_t_int32_t_int8_t_0.has_dyn_sized_stack, 0
	.set naive_conv_ab_packed_fwd_nchw_int8_t_int32_t_int8_t_0.has_recursion, 0
	.set naive_conv_ab_packed_fwd_nchw_int8_t_int32_t_int8_t_0.has_indirect_call, 0
	.section	.AMDGPU.csdata,"",@progbits
; Kernel info:
; codeLenInByte = 1380
; TotalNumSgprs: 64
; NumVgprs: 13
; ScratchSize: 0
; MemoryBound: 0
; FloatMode: 240
; IeeeMode: 1
; LDSByteSize: 0 bytes/workgroup (compile time only)
; SGPRBlocks: 0
; VGPRBlocks: 1
; NumSGPRsForWavesPerEU: 64
; NumVGPRsForWavesPerEU: 13
; Occupancy: 16
; WaveLimiterHint : 0
; COMPUTE_PGM_RSRC2:SCRATCH_EN: 0
; COMPUTE_PGM_RSRC2:USER_SGPR: 2
; COMPUTE_PGM_RSRC2:TRAP_HANDLER: 0
; COMPUTE_PGM_RSRC2:TGID_X_EN: 1
; COMPUTE_PGM_RSRC2:TGID_Y_EN: 0
; COMPUTE_PGM_RSRC2:TGID_Z_EN: 0
; COMPUTE_PGM_RSRC2:TIDIG_COMP_CNT: 0
	.text
	.protected	naive_conv_ab_nonpacked_fwd_nchw_int8_t_int32_t_int8_t_0 ; -- Begin function naive_conv_ab_nonpacked_fwd_nchw_int8_t_int32_t_int8_t_0
	.globl	naive_conv_ab_nonpacked_fwd_nchw_int8_t_int32_t_int8_t_0
	.p2align	8
	.type	naive_conv_ab_nonpacked_fwd_nchw_int8_t_int32_t_int8_t_0,@function
naive_conv_ab_nonpacked_fwd_nchw_int8_t_int32_t_int8_t_0: ; @naive_conv_ab_nonpacked_fwd_nchw_int8_t_int32_t_int8_t_0
; %bb.0:
	s_load_b256 s[20:27], s[0:1], 0xa0
	s_mov_b32 s10, exec_lo
	s_wait_kmcnt 0x0
	s_abs_i32 s3, s23
	s_mul_i32 s25, s26, s25
	s_cvt_f32_u32 s2, s3
	s_delay_alu instid0(SALU_CYCLE_3) | instskip(NEXT) | instid1(TRANS32_DEP_1)
	v_rcp_iflag_f32_e32 v1, s2
	v_readfirstlane_b32 s2, v1
	s_mul_f32 s2, s2, 0x4f7ffffe
	s_wait_alu 0xfffe
	s_delay_alu instid0(SALU_CYCLE_2) | instskip(SKIP_2) | instid1(SALU_CYCLE_1)
	s_cvt_u32_f32 s4, s2
	s_sub_co_i32 s2, 0, s3
	s_wait_alu 0xfffe
	s_mul_i32 s2, s2, s4
	s_wait_alu 0xfffe
	s_mul_hi_u32 s5, s4, s2
	s_abs_i32 s2, ttmp9
	s_add_co_i32 s4, s4, s5
	s_wait_alu 0xfffe
	s_mul_hi_u32 s4, s2, s4
	s_delay_alu instid0(SALU_CYCLE_1) | instskip(SKIP_2) | instid1(SALU_CYCLE_1)
	s_mul_i32 s5, s4, s3
	s_add_co_i32 s6, s4, 1
	s_sub_co_i32 s5, s2, s5
	s_sub_co_i32 s7, s5, s3
	s_cmp_ge_u32 s5, s3
	s_cselect_b32 s4, s6, s4
	s_cselect_b32 s5, s7, s5
	s_add_co_i32 s7, s4, 1
	s_cmp_ge_u32 s5, s3
	s_mul_i32 s6, s23, s22
	s_cselect_b32 s7, s7, s4
	s_abs_i32 s5, s22
	s_abs_i32 s4, s6
	s_cvt_f32_u32 s3, s5
	s_cvt_f32_u32 s8, s4
	s_wait_alu 0xfffe
	s_delay_alu instid0(SALU_CYCLE_1) | instskip(NEXT) | instid1(SALU_CYCLE_1)
	v_rcp_iflag_f32_e32 v1, s3
	v_rcp_iflag_f32_e32 v2, s8
	s_mov_b32 s3, 0
	s_delay_alu instid0(TRANS32_DEP_2) | instskip(NEXT) | instid1(TRANS32_DEP_1)
	v_readfirstlane_b32 s9, v1
	v_readfirstlane_b32 s8, v2
	v_cmpx_gt_i32_e64 s25, v0
	s_cbranch_execz .LBB9_16
; %bb.1:
	s_mul_f32 s9, s9, 0x4f7ffffe
	s_ashr_i32 s12, ttmp9, 31
	s_ashr_i32 s10, s23, 31
	s_mul_f32 s13, s8, 0x4f7ffffe
	s_wait_alu 0xfffe
	s_cvt_u32_f32 s9, s9
	s_sub_co_i32 s11, 0, s5
	s_xor_b32 s10, s12, s10
	s_cvt_u32_f32 s13, s13
	s_xor_b32 s7, s7, s10
	s_wait_alu 0xfffe
	s_mul_i32 s11, s11, s9
	s_sub_co_i32 s7, s7, s10
	s_mul_hi_u32 s10, s9, s11
	s_sub_co_i32 s14, 0, s4
	s_abs_i32 s8, s7
	s_add_co_i32 s10, s9, s10
	s_mov_b32 s9, s3
	s_mov_b32 s11, s3
	s_mul_i32 s14, s14, s13
	s_wait_alu 0xfffe
	s_mul_u64 s[10:11], s[8:9], s[10:11]
	s_mul_hi_u32 s10, s13, s14
	s_ashr_i32 s14, s6, 31
	s_add_co_i32 s6, s13, s10
	s_mul_i32 s10, s11, s5
	s_ashr_i32 s9, s7, 31
	s_mul_i32 s7, s7, s23
	s_sub_co_i32 s8, s8, s10
	s_sub_co_i32 s22, ttmp9, s7
	s_wait_alu 0xfffe
	s_sub_co_i32 s7, s8, s5
	s_cmp_ge_u32 s8, s5
	s_load_b256 s[52:59], s[0:1], 0x0
	s_cselect_b32 s8, s7, s8
	s_mov_b32 s7, s3
	s_wait_alu 0xfffe
	s_sub_co_i32 s10, s8, s5
	s_cmp_ge_u32 s8, s5
	s_mul_u64 s[6:7], s[2:3], s[6:7]
	s_cselect_b32 s5, s10, s8
	s_load_b256 s[36:43], s[0:1], 0xc0
	s_xor_b32 s5, s5, s9
	s_xor_b32 s23, s12, s14
	s_sub_co_i32 s34, s5, s9
	s_mul_i32 s5, s7, s4
	s_clause 0x1
	s_load_b64 s[64:65], s[0:1], 0x98
	s_load_b128 s[28:31], s[0:1], 0x88
	s_sub_co_i32 s2, s2, s5
	s_add_co_i32 s5, s7, 1
	s_wait_alu 0xfffe
	s_sub_co_i32 s6, s2, s4
	s_cmp_ge_u32 s2, s4
	s_load_b64 s[66:67], s[0:1], 0x20
	s_cselect_b32 s5, s5, s7
	s_cselect_b32 s2, s6, s2
	s_add_co_i32 s6, s5, 1
	s_wait_alu 0xfffe
	s_cmp_ge_u32 s2, s4
	s_wait_kmcnt 0x0
	v_cmp_neq_f64_e64 s68, s[58:59], 0
	s_cselect_b32 s2, s6, s5
	s_ashr_i32 s35, s34, 31
	s_wait_alu 0xfffe
	s_xor_b32 s2, s2, s23
	s_load_b512 s[4:19], s[0:1], 0x28
	s_sub_co_i32 s62, s2, s23
	s_ashr_i32 s23, s22, 31
	s_ashr_i32 s63, s62, 31
	s_cmp_gt_i32 s24, 0
	v_cmp_neq_f64_e64 s2, s[56:57], 1.0
	s_cselect_b32 s33, -1, 0
	s_cmp_gt_i32 s41, 0
	v_cvt_i32_f64_e32 v5, s[56:57]
	v_cvt_i32_f64_e32 v6, s[58:59]
	s_cselect_b32 s43, -1, 0
	s_cmp_gt_i32 s42, 0
	s_load_b256 s[44:51], s[0:1], 0x68
	s_cselect_b32 s60, -1, 0
	s_abs_i32 s61, s26
	s_load_b32 s56, s[0:1], 0xec
	s_cvt_f32_u32 s69, s61
	s_delay_alu instid0(SALU_CYCLE_3)
	v_rcp_iflag_f32_e32 v1, s69
	s_wait_kmcnt 0x0
	s_mul_u64 s[0:1], s[12:13], s[34:35]
	s_mul_u64 s[10:11], s[10:11], s[62:63]
	s_add_nc_u64 s[0:1], s[52:53], s[0:1]
	s_mul_u64 s[12:13], s[30:31], s[62:63]
	s_add_nc_u64 s[10:11], s[0:1], s[10:11]
	s_mul_u64 s[0:1], s[64:65], s[34:35]
	s_delay_alu instid0(SALU_CYCLE_1) | instskip(NEXT) | instid1(TRANS32_DEP_1)
	s_add_nc_u64 s[0:1], s[66:67], s[0:1]
	v_readfirstlane_b32 s57, v1
	s_add_nc_u64 s[0:1], s[0:1], s[12:13]
	s_mul_u64 s[44:45], s[44:45], s[22:23]
	s_mul_u64 s[22:23], s[28:29], s[22:23]
	;; [unrolled: 1-line block ×3, first 2 shown]
	s_mul_f32 s30, s57, 0x4f7ffffe
	s_add_nc_u64 s[12:13], s[0:1], s[22:23]
	s_sub_co_i32 s0, 0, s61
	s_add_nc_u64 s[22:23], s[44:45], s[52:53]
	s_cvt_u32_f32 s28, s30
	s_and_b32 s1, s56, 0xffff
	s_ashr_i32 s46, s26, 31
	s_add_nc_u64 s[22:23], s[54:55], s[22:23]
	s_mul_i32 s0, s0, s28
	s_or_b32 s47, s2, s68
	s_mul_hi_u32 s0, s28, s0
	s_mov_b32 s53, 0
	s_add_co_i32 s52, s28, s0
	s_branch .LBB9_3
.LBB9_2:                                ;   in Loop: Header=BB9_3 Depth=1
	v_add_nc_u32_e32 v0, s1, v0
	global_store_b8 v[3:4], v1, off
	v_cmp_le_i32_e32 vcc_lo, s25, v0
	s_or_b32 s53, vcc_lo, s53
	s_wait_alu 0xfffe
	s_and_not1_b32 exec_lo, exec_lo, s53
	s_cbranch_execz .LBB9_16
.LBB9_3:                                ; =>This Loop Header: Depth=1
                                        ;     Child Loop BB9_6 Depth 2
                                        ;       Child Loop BB9_9 Depth 3
                                        ;         Child Loop BB9_12 Depth 4
	v_sub_nc_u32_e32 v1, 0, v0
	s_delay_alu instid0(VALU_DEP_1) | instskip(NEXT) | instid1(VALU_DEP_1)
	v_max_i32_e32 v1, v0, v1
	v_mul_hi_u32 v2, v1, s52
	s_delay_alu instid0(VALU_DEP_1) | instskip(NEXT) | instid1(VALU_DEP_1)
	v_mul_lo_u32 v3, v2, s61
	v_sub_nc_u32_e32 v1, v1, v3
	v_add_nc_u32_e32 v3, 1, v2
	s_delay_alu instid0(VALU_DEP_2) | instskip(SKIP_2) | instid1(VALU_DEP_2)
	v_subrev_nc_u32_e32 v4, s61, v1
	v_cmp_le_u32_e32 vcc_lo, s61, v1
	s_wait_alu 0xfffd
	v_dual_cndmask_b32 v2, v2, v3 :: v_dual_cndmask_b32 v1, v1, v4
	v_ashrrev_i32_e32 v3, 31, v0
	s_delay_alu instid0(VALU_DEP_2) | instskip(NEXT) | instid1(VALU_DEP_3)
	v_add_nc_u32_e32 v4, 1, v2
	v_cmp_le_u32_e32 vcc_lo, s61, v1
	s_delay_alu instid0(VALU_DEP_3) | instskip(SKIP_1) | instid1(VALU_DEP_3)
	v_xor_b32_e32 v3, s46, v3
	s_wait_alu 0xfffd
	v_cndmask_b32_e32 v1, v2, v4, vcc_lo
	s_and_not1_b32 vcc_lo, exec_lo, s33
	s_delay_alu instid0(VALU_DEP_1) | instskip(NEXT) | instid1(VALU_DEP_1)
	v_xor_b32_e32 v1, v1, v3
	v_sub_nc_u32_e32 v7, v1, v3
	v_mov_b32_e32 v1, 0
	s_delay_alu instid0(VALU_DEP_2) | instskip(NEXT) | instid1(VALU_DEP_1)
	v_mul_lo_u32 v2, v7, s26
	v_sub_nc_u32_e32 v8, v0, v2
	s_wait_alu 0xfffe
	s_cbranch_vccnz .LBB9_14
; %bb.4:                                ;   in Loop: Header=BB9_3 Depth=1
	v_mul_lo_u32 v1, v7, s27
	s_delay_alu instid0(VALU_DEP_2) | instskip(SKIP_2) | instid1(VALU_DEP_2)
	v_mul_lo_u32 v3, v8, s36
	s_mov_b32 s2, 0
	s_mov_b64 s[28:29], s[22:23]
	v_subrev_nc_u32_e32 v2, s39, v1
	s_delay_alu instid0(VALU_DEP_2)
	v_subrev_nc_u32_e32 v9, s40, v3
	v_mov_b32_e32 v1, 0
	s_branch .LBB9_6
.LBB9_5:                                ;   in Loop: Header=BB9_6 Depth=2
	s_add_co_i32 s2, s2, 1
	s_add_nc_u64 s[28:29], s[28:29], s[18:19]
	s_wait_alu 0xfffe
	s_cmp_eq_u32 s2, s24
	s_cbranch_scc1 .LBB9_14
.LBB9_6:                                ;   Parent Loop BB9_3 Depth=1
                                        ; =>  This Loop Header: Depth=2
                                        ;       Child Loop BB9_9 Depth 3
                                        ;         Child Loop BB9_12 Depth 4
	s_and_not1_b32 vcc_lo, exec_lo, s43
	s_wait_alu 0xfffe
	s_cbranch_vccnz .LBB9_5
; %bb.7:                                ;   in Loop: Header=BB9_6 Depth=2
	s_mul_u64 s[30:31], s[8:9], s[2:3]
	s_mov_b32 s54, 0
	s_wait_alu 0xfffe
	s_add_nc_u64 s[30:31], s[10:11], s[30:31]
	s_mov_b64 s[34:35], s[28:29]
	s_branch .LBB9_9
.LBB9_8:                                ;   in Loop: Header=BB9_9 Depth=3
	s_add_co_i32 s54, s54, 1
	s_add_nc_u64 s[34:35], s[34:35], s[16:17]
	s_wait_alu 0xfffe
	s_cmp_eq_u32 s54, s41
	s_cbranch_scc1 .LBB9_5
.LBB9_9:                                ;   Parent Loop BB9_3 Depth=1
                                        ;     Parent Loop BB9_6 Depth=2
                                        ; =>    This Loop Header: Depth=3
                                        ;         Child Loop BB9_12 Depth 4
	s_and_not1_b32 vcc_lo, exec_lo, s60
	s_wait_alu 0xfffe
	s_cbranch_vccnz .LBB9_8
; %bb.10:                               ;   in Loop: Header=BB9_9 Depth=3
	v_mad_co_u64_u32 v[10:11], null, s54, s37, v[2:3]
	s_mov_b64 s[44:45], s[34:35]
	s_mov_b32 s56, s42
	v_mad_co_u64_u32 v[3:4], null, s6, v10, s[30:31]
	v_cmp_gt_i32_e32 vcc_lo, 0, v10
	v_cmp_le_i32_e64 s0, s20, v10
	s_or_b32 s55, vcc_lo, s0
	v_mad_co_u64_u32 v[11:12], null, s7, v10, v[4:5]
	v_mov_b32_e32 v10, v9
	s_delay_alu instid0(VALU_DEP_2)
	v_mov_b32_e32 v4, v11
	s_branch .LBB9_12
.LBB9_11:                               ;   in Loop: Header=BB9_12 Depth=4
	s_wait_alu 0xfffe
	s_or_b32 exec_lo, exec_lo, s0
	v_add_nc_u32_e32 v10, s38, v10
	s_add_co_i32 s56, s56, -1
	s_add_nc_u64 s[44:45], s[44:45], s[14:15]
	s_wait_alu 0xfffe
	s_cmp_eq_u32 s56, 0
	s_cbranch_scc1 .LBB9_8
.LBB9_12:                               ;   Parent Loop BB9_3 Depth=1
                                        ;     Parent Loop BB9_6 Depth=2
                                        ;       Parent Loop BB9_9 Depth=3
                                        ; =>      This Inner Loop Header: Depth=4
	s_delay_alu instid0(VALU_DEP_2)
	v_cmp_gt_i32_e32 vcc_lo, 0, v10
	v_cmp_le_i32_e64 s0, s21, v10
	s_or_b32 s0, vcc_lo, s0
	s_wait_alu 0xfffe
	s_nor_b32 s57, s55, s0
	s_wait_alu 0xfffe
	s_and_saveexec_b32 s0, s57
	s_cbranch_execz .LBB9_11
; %bb.13:                               ;   in Loop: Header=BB9_12 Depth=4
	v_mad_co_u64_u32 v[11:12], null, s4, v10, v[3:4]
	s_load_u8 s57, s[44:45], 0x0
	v_mad_co_u64_u32 v[12:13], null, s5, v10, v[12:13]
	global_load_u8 v11, v[11:12], off
	s_wait_loadcnt 0x0
	s_wait_kmcnt 0x0
	v_mad_u32_u24 v1, s57, v11, v1
	s_branch .LBB9_11
.LBB9_14:                               ;   in Loop: Header=BB9_3 Depth=1
	s_delay_alu instid0(VALU_DEP_1) | instskip(SKIP_3) | instid1(VALU_DEP_4)
	v_ashrrev_i32_e32 v4, 31, v8
	v_mad_co_u64_u32 v[2:3], null, s48, v8, s[12:13]
	v_mul_lo_u32 v8, s49, v8
	v_mul_lo_u32 v9, s51, v7
	;; [unrolled: 1-line block ×3, first 2 shown]
	s_and_not1_b32 vcc_lo, exec_lo, s47
	s_delay_alu instid0(VALU_DEP_1) | instskip(SKIP_1) | instid1(VALU_DEP_2)
	v_add3_u32 v3, v8, v3, v4
	v_ashrrev_i32_e32 v8, 31, v7
	v_mad_co_u64_u32 v[3:4], null, s50, v7, v[2:3]
	s_delay_alu instid0(VALU_DEP_2) | instskip(NEXT) | instid1(VALU_DEP_1)
	v_mul_lo_u32 v2, s50, v8
	v_add3_u32 v4, v9, v4, v2
	s_wait_alu 0xfffe
	s_cbranch_vccnz .LBB9_2
; %bb.15:                               ;   in Loop: Header=BB9_3 Depth=1
	global_load_u8 v2, v[3:4], off
	v_mul_lo_u32 v1, v1, v5
	s_wait_loadcnt 0x0
	s_delay_alu instid0(VALU_DEP_1)
	v_mad_co_u64_u32 v[1:2], null, v2, v6, v[1:2]
	s_branch .LBB9_2
.LBB9_16:
	s_endpgm
	.section	.rodata,"a",@progbits
	.p2align	6, 0x0
	.amdhsa_kernel naive_conv_ab_nonpacked_fwd_nchw_int8_t_int32_t_int8_t_0
		.amdhsa_group_segment_fixed_size 0
		.amdhsa_private_segment_fixed_size 0
		.amdhsa_kernarg_size 480
		.amdhsa_user_sgpr_count 2
		.amdhsa_user_sgpr_dispatch_ptr 0
		.amdhsa_user_sgpr_queue_ptr 0
		.amdhsa_user_sgpr_kernarg_segment_ptr 1
		.amdhsa_user_sgpr_dispatch_id 0
		.amdhsa_user_sgpr_private_segment_size 0
		.amdhsa_wavefront_size32 1
		.amdhsa_uses_dynamic_stack 0
		.amdhsa_enable_private_segment 0
		.amdhsa_system_sgpr_workgroup_id_x 1
		.amdhsa_system_sgpr_workgroup_id_y 0
		.amdhsa_system_sgpr_workgroup_id_z 0
		.amdhsa_system_sgpr_workgroup_info 0
		.amdhsa_system_vgpr_workitem_id 0
		.amdhsa_next_free_vgpr 14
		.amdhsa_next_free_sgpr 70
		.amdhsa_reserve_vcc 1
		.amdhsa_float_round_mode_32 0
		.amdhsa_float_round_mode_16_64 0
		.amdhsa_float_denorm_mode_32 3
		.amdhsa_float_denorm_mode_16_64 3
		.amdhsa_fp16_overflow 0
		.amdhsa_workgroup_processor_mode 1
		.amdhsa_memory_ordered 1
		.amdhsa_forward_progress 1
		.amdhsa_inst_pref_size 11
		.amdhsa_round_robin_scheduling 0
		.amdhsa_exception_fp_ieee_invalid_op 0
		.amdhsa_exception_fp_denorm_src 0
		.amdhsa_exception_fp_ieee_div_zero 0
		.amdhsa_exception_fp_ieee_overflow 0
		.amdhsa_exception_fp_ieee_underflow 0
		.amdhsa_exception_fp_ieee_inexact 0
		.amdhsa_exception_int_div_zero 0
	.end_amdhsa_kernel
	.text
.Lfunc_end9:
	.size	naive_conv_ab_nonpacked_fwd_nchw_int8_t_int32_t_int8_t_0, .Lfunc_end9-naive_conv_ab_nonpacked_fwd_nchw_int8_t_int32_t_int8_t_0
                                        ; -- End function
	.set naive_conv_ab_nonpacked_fwd_nchw_int8_t_int32_t_int8_t_0.num_vgpr, 14
	.set naive_conv_ab_nonpacked_fwd_nchw_int8_t_int32_t_int8_t_0.num_agpr, 0
	.set naive_conv_ab_nonpacked_fwd_nchw_int8_t_int32_t_int8_t_0.numbered_sgpr, 70
	.set naive_conv_ab_nonpacked_fwd_nchw_int8_t_int32_t_int8_t_0.num_named_barrier, 0
	.set naive_conv_ab_nonpacked_fwd_nchw_int8_t_int32_t_int8_t_0.private_seg_size, 0
	.set naive_conv_ab_nonpacked_fwd_nchw_int8_t_int32_t_int8_t_0.uses_vcc, 1
	.set naive_conv_ab_nonpacked_fwd_nchw_int8_t_int32_t_int8_t_0.uses_flat_scratch, 0
	.set naive_conv_ab_nonpacked_fwd_nchw_int8_t_int32_t_int8_t_0.has_dyn_sized_stack, 0
	.set naive_conv_ab_nonpacked_fwd_nchw_int8_t_int32_t_int8_t_0.has_recursion, 0
	.set naive_conv_ab_nonpacked_fwd_nchw_int8_t_int32_t_int8_t_0.has_indirect_call, 0
	.section	.AMDGPU.csdata,"",@progbits
; Kernel info:
; codeLenInByte = 1356
; TotalNumSgprs: 72
; NumVgprs: 14
; ScratchSize: 0
; MemoryBound: 0
; FloatMode: 240
; IeeeMode: 1
; LDSByteSize: 0 bytes/workgroup (compile time only)
; SGPRBlocks: 0
; VGPRBlocks: 1
; NumSGPRsForWavesPerEU: 72
; NumVGPRsForWavesPerEU: 14
; Occupancy: 16
; WaveLimiterHint : 0
; COMPUTE_PGM_RSRC2:SCRATCH_EN: 0
; COMPUTE_PGM_RSRC2:USER_SGPR: 2
; COMPUTE_PGM_RSRC2:TRAP_HANDLER: 0
; COMPUTE_PGM_RSRC2:TGID_X_EN: 1
; COMPUTE_PGM_RSRC2:TGID_Y_EN: 0
; COMPUTE_PGM_RSRC2:TGID_Z_EN: 0
; COMPUTE_PGM_RSRC2:TIDIG_COMP_CNT: 0
	.text
	.protected	naive_conv_ab_packed_fwd_nchw_int8_t_int32_t_int32_t_0 ; -- Begin function naive_conv_ab_packed_fwd_nchw_int8_t_int32_t_int32_t_0
	.globl	naive_conv_ab_packed_fwd_nchw_int8_t_int32_t_int32_t_0
	.p2align	8
	.type	naive_conv_ab_packed_fwd_nchw_int8_t_int32_t_int32_t_0,@function
naive_conv_ab_packed_fwd_nchw_int8_t_int32_t_int32_t_0: ; @naive_conv_ab_packed_fwd_nchw_int8_t_int32_t_int32_t_0
; %bb.0:
	s_load_b512 s[4:19], s[0:1], 0xa0
	s_mov_b32 s25, exec_lo
	s_wait_kmcnt 0x0
	s_abs_i32 s3, s7
	s_mul_i32 s33, s10, s9
	s_cvt_f32_u32 s2, s3
	s_delay_alu instid0(SALU_CYCLE_3) | instskip(NEXT) | instid1(TRANS32_DEP_1)
	v_rcp_iflag_f32_e32 v1, s2
	v_readfirstlane_b32 s2, v1
	s_mul_f32 s2, s2, 0x4f7ffffe
	s_wait_alu 0xfffe
	s_delay_alu instid0(SALU_CYCLE_2) | instskip(SKIP_2) | instid1(SALU_CYCLE_1)
	s_cvt_u32_f32 s20, s2
	s_sub_co_i32 s2, 0, s3
	s_wait_alu 0xfffe
	s_mul_i32 s2, s2, s20
	s_wait_alu 0xfffe
	s_mul_hi_u32 s21, s20, s2
	s_abs_i32 s2, ttmp9
	s_add_co_i32 s20, s20, s21
	s_wait_alu 0xfffe
	s_mul_hi_u32 s20, s2, s20
	s_delay_alu instid0(SALU_CYCLE_1) | instskip(SKIP_2) | instid1(SALU_CYCLE_1)
	s_mul_i32 s21, s20, s3
	s_add_co_i32 s22, s20, 1
	s_sub_co_i32 s21, s2, s21
	s_sub_co_i32 s23, s21, s3
	s_cmp_ge_u32 s21, s3
	s_cselect_b32 s20, s22, s20
	s_cselect_b32 s21, s23, s21
	s_add_co_i32 s22, s20, 1
	s_cmp_ge_u32 s21, s3
	s_mul_i32 s21, s7, s6
	s_cselect_b32 s22, s22, s20
	s_abs_i32 s20, s6
	s_abs_i32 s6, s21
	s_cvt_f32_u32 s3, s20
	s_cvt_f32_u32 s23, s6
	s_wait_alu 0xfffe
	s_delay_alu instid0(SALU_CYCLE_1) | instskip(NEXT) | instid1(SALU_CYCLE_1)
	v_rcp_iflag_f32_e32 v1, s3
	v_rcp_iflag_f32_e32 v2, s23
	s_mov_b32 s3, 0
	s_delay_alu instid0(TRANS32_DEP_2) | instskip(NEXT) | instid1(TRANS32_DEP_1)
	v_readfirstlane_b32 s24, v1
	v_readfirstlane_b32 s23, v2
	v_cmpx_gt_i32_e64 s33, v0
	s_cbranch_execz .LBB10_18
; %bb.1:
	s_mul_f32 s24, s24, 0x4f7ffffe
	s_ashr_i32 s26, ttmp9, 31
	s_ashr_i32 s37, s7, 31
	s_sub_co_i32 s25, 0, s20
	s_cvt_u32_f32 s24, s24
	s_xor_b32 s27, s26, s37
	s_mul_f32 s28, s23, 0x4f7ffffe
	s_xor_b32 s22, s22, s27
	s_mul_i32 s25, s25, s24
	s_wait_alu 0xfffe
	s_sub_co_i32 s27, s22, s27
	s_mul_hi_u32 s23, s24, s25
	s_cvt_u32_f32 s28, s28
	s_abs_i32 s22, s27
	s_wait_alu 0xfffe
	s_add_co_i32 s24, s24, s23
	s_mov_b32 s23, s3
	s_mov_b32 s25, s3
	s_sub_co_i32 s29, 0, s6
	s_wait_alu 0xfffe
	s_mul_u64 s[24:25], s[22:23], s[24:25]
	s_mul_i32 s29, s29, s28
	s_ashr_i32 s23, s27, 31
	s_mul_hi_u32 s24, s28, s29
	s_ashr_i32 s29, s21, 31
	s_mul_i32 s21, s25, s20
	s_mul_i32 s27, s27, s7
	s_sub_co_i32 s21, s22, s21
	s_add_co_i32 s24, s28, s24
	s_sub_co_i32 s38, ttmp9, s27
	s_sub_co_i32 s22, s21, s20
	s_cmp_ge_u32 s21, s20
	s_mov_b32 s25, s3
	s_wait_alu 0xfffe
	s_cselect_b32 s22, s22, s21
	s_mov_b32 s36, s7
	s_wait_alu 0xfffe
	s_sub_co_i32 s27, s22, s20
	s_cmp_ge_u32 s22, s20
	s_mul_u64 s[20:21], s[2:3], s[24:25]
	s_cselect_b32 s20, s27, s22
	s_xor_b32 s28, s26, s29
	s_xor_b32 s20, s20, s23
	s_mov_b32 s44, s9
	s_sub_co_i32 s40, s20, s23
	s_mul_i32 s20, s21, s6
	s_mul_i32 s46, s19, s8
	s_sub_co_i32 s2, s2, s20
	s_add_co_i32 s20, s21, 1
	s_wait_alu 0xfffe
	s_sub_co_i32 s22, s2, s6
	s_cmp_ge_u32 s2, s6
	s_mov_b32 s34, s8
	s_cselect_b32 s29, s20, s21
	s_wait_alu 0xfffe
	s_cselect_b32 s2, s22, s2
	s_load_b256 s[20:27], s[0:1], 0x0
	s_add_co_i32 s30, s29, 1
	s_cmp_ge_u32 s2, s6
	s_mul_i32 s6, s19, s7
	s_cselect_b32 s2, s30, s29
	s_ashr_i32 s41, s40, 31
	s_wait_alu 0xfffe
	s_xor_b32 s2, s2, s28
	s_ashr_i32 s7, s6, 31
	s_wait_alu 0xfffe
	s_sub_co_i32 s48, s2, s28
	s_ashr_i32 s39, s38, 31
	s_ashr_i32 s49, s48, 31
	s_mul_u64 s[42:43], s[40:41], s[6:7]
	s_mul_u64 s[36:37], s[48:49], s[36:37]
	s_ashr_i32 s45, s9, 31
	s_ashr_i32 s7, s10, 31
	s_mov_b32 s6, s10
	s_add_nc_u64 s[36:37], s[36:37], s[38:39]
	s_mul_u64 s[44:45], s[6:7], s[44:45]
	s_add_nc_u64 s[38:39], s[36:37], s[42:43]
	s_ashr_i32 s47, s46, 31
	s_mul_u64 s[38:39], s[44:45], s[38:39]
	s_wait_kmcnt 0x0
	v_cmp_neq_f64_e64 s2, s[24:25], 1.0
	v_cmp_neq_f64_e64 s45, s[26:27], 0
	s_ashr_i32 s29, s4, 31
	s_ashr_i32 s31, s5, 31
	;; [unrolled: 1-line block ×5, first 2 shown]
	s_lshl_b64 s[38:39], s[38:39], 2
	s_cmp_gt_i32 s8, 0
	v_cvt_i32_f64_e32 v5, s[24:25]
	s_cselect_b32 s42, -1, 0
	s_cmp_gt_i32 s17, 0
	v_cvt_i32_f64_e32 v6, s[26:27]
	s_cselect_b32 s43, -1, 0
	s_cmp_gt_i32 s18, 0
	s_load_b64 s[24:25], s[0:1], 0x20
	s_cselect_b32 s44, -1, 0
	s_abs_i32 s10, s10
	s_mul_u64 s[26:27], s[40:41], s[46:47]
	s_cvt_f32_u32 s28, s10
	s_load_b32 s40, s[0:1], 0xec
	s_mov_b32 s30, s5
	s_mul_u64 s[0:1], s[48:49], s[34:35]
	v_rcp_iflag_f32_e32 v1, s28
	s_mov_b32 s28, s4
	s_add_nc_u64 s[0:1], s[0:1], s[26:27]
	s_wait_alu 0xfffe
	s_mul_u64 s[4:5], s[30:31], s[28:29]
	s_delay_alu instid0(SALU_CYCLE_1) | instskip(NEXT) | instid1(SALU_CYCLE_1)
	s_mul_u64 s[0:1], s[4:5], s[0:1]
	s_add_nc_u64 s[4:5], s[20:21], s[0:1]
	s_delay_alu instid0(TRANS32_DEP_1)
	v_readfirstlane_b32 s8, v1
	s_wait_kmcnt 0x0
	s_add_nc_u64 s[20:21], s[24:25], s[38:39]
	s_mul_f32 s26, s8, 0x4f7ffffe
	s_mov_b32 s8, s17
	s_or_b32 s1, s2, s45
	s_mul_u64 s[24:25], s[18:19], s[8:9]
	s_wait_alu 0xfffe
	s_cvt_u32_f32 s0, s26
	s_sub_co_i32 s2, 0, s10
	s_mul_u64 s[26:27], s[24:25], s[36:37]
	s_and_b32 s9, s40, 0xffff
	s_wait_alu 0xfffe
	s_mul_i32 s2, s2, s0
	s_mul_u64 s[26:27], s[26:27], s[34:35]
	s_wait_alu 0xfffe
	s_mul_hi_u32 s2, s0, s2
	s_add_nc_u64 s[22:23], s[22:23], s[26:27]
	s_wait_alu 0xfffe
	s_add_co_i32 s17, s0, s2
	s_mov_b32 s35, 0
	s_branch .LBB10_3
.LBB10_2:                               ;   in Loop: Header=BB10_3 Depth=1
	v_add_nc_u32_e32 v0, s9, v0
	s_delay_alu instid0(VALU_DEP_1) | instskip(SKIP_1) | instid1(SALU_CYCLE_1)
	v_cmp_le_i32_e32 vcc_lo, s33, v0
	s_or_b32 s35, vcc_lo, s35
	s_and_not1_b32 exec_lo, exec_lo, s35
	s_cbranch_execz .LBB10_18
.LBB10_3:                               ; =>This Loop Header: Depth=1
                                        ;     Child Loop BB10_6 Depth 2
                                        ;       Child Loop BB10_9 Depth 3
                                        ;         Child Loop BB10_12 Depth 4
	v_sub_nc_u32_e32 v1, 0, v0
	v_mov_b32_e32 v7, 0
	s_delay_alu instid0(VALU_DEP_2) | instskip(NEXT) | instid1(VALU_DEP_1)
	v_max_i32_e32 v1, v0, v1
	v_mul_hi_u32 v2, v1, s17
	s_delay_alu instid0(VALU_DEP_1) | instskip(NEXT) | instid1(VALU_DEP_1)
	v_mul_lo_u32 v3, v2, s10
	v_sub_nc_u32_e32 v1, v1, v3
	v_add_nc_u32_e32 v3, 1, v2
	s_delay_alu instid0(VALU_DEP_2) | instskip(SKIP_2) | instid1(VALU_DEP_2)
	v_subrev_nc_u32_e32 v4, s10, v1
	v_cmp_le_u32_e32 vcc_lo, s10, v1
	s_wait_alu 0xfffd
	v_dual_cndmask_b32 v2, v2, v3 :: v_dual_cndmask_b32 v1, v1, v4
	v_ashrrev_i32_e32 v3, 31, v0
	s_delay_alu instid0(VALU_DEP_2) | instskip(NEXT) | instid1(VALU_DEP_3)
	v_add_nc_u32_e32 v4, 1, v2
	v_cmp_le_u32_e32 vcc_lo, s10, v1
	s_delay_alu instid0(VALU_DEP_3) | instskip(SKIP_1) | instid1(VALU_DEP_3)
	v_xor_b32_e32 v3, s7, v3
	s_wait_alu 0xfffd
	v_cndmask_b32_e32 v1, v2, v4, vcc_lo
	s_and_not1_b32 vcc_lo, exec_lo, s42
	s_delay_alu instid0(VALU_DEP_1) | instskip(NEXT) | instid1(VALU_DEP_1)
	v_xor_b32_e32 v1, v1, v3
	v_sub_nc_u32_e32 v8, v1, v3
	s_delay_alu instid0(VALU_DEP_1) | instskip(NEXT) | instid1(VALU_DEP_1)
	v_mul_lo_u32 v1, v8, s6
	v_sub_nc_u32_e32 v1, v0, v1
	s_wait_alu 0xfffe
	s_cbranch_vccnz .LBB10_14
; %bb.4:                                ;   in Loop: Header=BB10_3 Depth=1
	v_mul_lo_u32 v2, v8, s11
	s_delay_alu instid0(VALU_DEP_2) | instskip(SKIP_3) | instid1(VALU_DEP_3)
	v_mul_lo_u32 v3, v1, s12
	v_mov_b32_e32 v7, 0
	s_mov_b32 s2, 0
	s_mov_b64 s[26:27], s[22:23]
	v_subrev_nc_u32_e32 v2, s15, v2
	s_delay_alu instid0(VALU_DEP_3)
	v_subrev_nc_u32_e32 v9, s16, v3
	s_branch .LBB10_6
.LBB10_5:                               ;   in Loop: Header=BB10_6 Depth=2
	s_add_co_i32 s2, s2, 1
	s_add_nc_u64 s[26:27], s[26:27], s[24:25]
	s_wait_alu 0xfffe
	s_cmp_eq_u32 s2, s34
	s_cbranch_scc1 .LBB10_14
.LBB10_6:                               ;   Parent Loop BB10_3 Depth=1
                                        ; =>  This Loop Header: Depth=2
                                        ;       Child Loop BB10_9 Depth 3
                                        ;         Child Loop BB10_12 Depth 4
	s_and_not1_b32 vcc_lo, exec_lo, s43
	s_wait_alu 0xfffe
	s_cbranch_vccnz .LBB10_5
; %bb.7:                                ;   in Loop: Header=BB10_6 Depth=2
	s_mul_u64 s[36:37], s[2:3], s[28:29]
	s_mov_b32 s45, 0
	s_mov_b64 s[38:39], s[26:27]
	s_branch .LBB10_9
.LBB10_8:                               ;   in Loop: Header=BB10_9 Depth=3
	s_add_co_i32 s45, s45, 1
	s_add_nc_u64 s[38:39], s[38:39], s[18:19]
	s_wait_alu 0xfffe
	s_cmp_eq_u32 s45, s8
	s_cbranch_scc1 .LBB10_5
.LBB10_9:                               ;   Parent Loop BB10_3 Depth=1
                                        ;     Parent Loop BB10_6 Depth=2
                                        ; =>    This Loop Header: Depth=3
                                        ;         Child Loop BB10_12 Depth 4
	s_and_not1_b32 vcc_lo, exec_lo, s44
	s_wait_alu 0xfffe
	s_cbranch_vccnz .LBB10_8
; %bb.10:                               ;   in Loop: Header=BB10_9 Depth=3
	v_mad_co_u64_u32 v[10:11], null, s45, s13, v[2:3]
	s_mov_b64 s[40:41], s[38:39]
	s_mov_b32 s47, s18
	v_add_co_u32 v3, s0, s36, v10
	s_wait_alu 0xf1ff
	v_add_co_ci_u32_e64 v4, null, s37, 0, s0
	v_cmp_gt_i32_e32 vcc_lo, 0, v10
	s_delay_alu instid0(VALU_DEP_3) | instskip(SKIP_1) | instid1(VALU_DEP_4)
	v_mul_lo_u32 v11, v3, s31
	v_cmp_le_i32_e64 s0, s28, v10
	v_mul_lo_u32 v12, v4, s30
	v_mad_co_u64_u32 v[3:4], null, v3, s30, s[4:5]
	v_mov_b32_e32 v10, v9
	s_delay_alu instid0(VALU_DEP_4) | instskip(NEXT) | instid1(VALU_DEP_2)
	s_or_b32 s46, vcc_lo, s0
	v_add3_u32 v4, v12, v4, v11
	s_branch .LBB10_12
.LBB10_11:                              ;   in Loop: Header=BB10_12 Depth=4
	s_wait_alu 0xfffe
	s_or_b32 exec_lo, exec_lo, s0
	v_add_nc_u32_e32 v10, s14, v10
	s_add_co_i32 s47, s47, -1
	s_add_nc_u64 s[40:41], s[40:41], 1
	s_cmp_eq_u32 s47, 0
	s_cbranch_scc1 .LBB10_8
.LBB10_12:                              ;   Parent Loop BB10_3 Depth=1
                                        ;     Parent Loop BB10_6 Depth=2
                                        ;       Parent Loop BB10_9 Depth=3
                                        ; =>      This Inner Loop Header: Depth=4
	s_delay_alu instid0(VALU_DEP_2)
	v_cmp_gt_i32_e32 vcc_lo, 0, v10
	v_cmp_le_i32_e64 s0, s30, v10
	s_or_b32 s0, vcc_lo, s0
	s_wait_alu 0xfffe
	s_nor_b32 s48, s46, s0
	s_wait_alu 0xfffe
	s_and_saveexec_b32 s0, s48
	s_cbranch_execz .LBB10_11
; %bb.13:                               ;   in Loop: Header=BB10_12 Depth=4
	v_add_co_u32 v11, vcc_lo, v3, v10
	s_wait_alu 0xfffd
	v_add_co_ci_u32_e64 v12, null, 0, v4, vcc_lo
	s_load_i8 s48, s[40:41], 0x0
	global_load_i8 v11, v[11:12], off
	s_wait_loadcnt 0x0
	s_wait_kmcnt 0x0
	v_mad_i32_i24 v7, s48, v11, v7
	s_branch .LBB10_11
.LBB10_14:                              ;   in Loop: Header=BB10_3 Depth=1
	s_delay_alu instid0(VALU_DEP_1) | instskip(SKIP_2) | instid1(VALU_DEP_1)
	v_ashrrev_i32_e32 v2, 31, v1
	s_and_b32 vcc_lo, exec_lo, s1
	s_mov_b32 s0, -1
	v_mad_co_i64_i32 v[1:2], null, v8, s6, v[1:2]
	s_wait_alu 0xfffe
	s_cbranch_vccz .LBB10_16
; %bb.15:                               ;   in Loop: Header=BB10_3 Depth=1
	s_delay_alu instid0(VALU_DEP_1) | instskip(SKIP_2) | instid1(VALU_DEP_2)
	v_lshlrev_b64_e32 v[3:4], 2, v[1:2]
	v_mul_lo_u32 v8, v7, v5
	s_mov_b32 s0, 0
	v_add_co_u32 v3, vcc_lo, s20, v3
	s_wait_alu 0xfffd
	s_delay_alu instid0(VALU_DEP_3)
	v_add_co_ci_u32_e64 v4, null, s21, v4, vcc_lo
	global_load_b32 v9, v[3:4], off
	s_wait_loadcnt 0x0
	v_mad_co_u64_u32 v[8:9], null, v9, v6, v[8:9]
	global_store_b32 v[3:4], v8, off
.LBB10_16:                              ;   in Loop: Header=BB10_3 Depth=1
	s_wait_alu 0xfffe
	s_and_not1_b32 vcc_lo, exec_lo, s0
	s_wait_alu 0xfffe
	s_cbranch_vccnz .LBB10_2
; %bb.17:                               ;   in Loop: Header=BB10_3 Depth=1
	s_delay_alu instid0(VALU_DEP_1) | instskip(NEXT) | instid1(VALU_DEP_1)
	v_lshlrev_b64_e32 v[1:2], 2, v[1:2]
	v_add_co_u32 v1, vcc_lo, s20, v1
	s_wait_alu 0xfffd
	s_delay_alu instid0(VALU_DEP_2)
	v_add_co_ci_u32_e64 v2, null, s21, v2, vcc_lo
	global_store_b32 v[1:2], v7, off
	s_branch .LBB10_2
.LBB10_18:
	s_endpgm
	.section	.rodata,"a",@progbits
	.p2align	6, 0x0
	.amdhsa_kernel naive_conv_ab_packed_fwd_nchw_int8_t_int32_t_int32_t_0
		.amdhsa_group_segment_fixed_size 0
		.amdhsa_private_segment_fixed_size 0
		.amdhsa_kernarg_size 480
		.amdhsa_user_sgpr_count 2
		.amdhsa_user_sgpr_dispatch_ptr 0
		.amdhsa_user_sgpr_queue_ptr 0
		.amdhsa_user_sgpr_kernarg_segment_ptr 1
		.amdhsa_user_sgpr_dispatch_id 0
		.amdhsa_user_sgpr_private_segment_size 0
		.amdhsa_wavefront_size32 1
		.amdhsa_uses_dynamic_stack 0
		.amdhsa_enable_private_segment 0
		.amdhsa_system_sgpr_workgroup_id_x 1
		.amdhsa_system_sgpr_workgroup_id_y 0
		.amdhsa_system_sgpr_workgroup_id_z 0
		.amdhsa_system_sgpr_workgroup_info 0
		.amdhsa_system_vgpr_workitem_id 0
		.amdhsa_next_free_vgpr 13
		.amdhsa_next_free_sgpr 50
		.amdhsa_reserve_vcc 1
		.amdhsa_float_round_mode_32 0
		.amdhsa_float_round_mode_16_64 0
		.amdhsa_float_denorm_mode_32 3
		.amdhsa_float_denorm_mode_16_64 3
		.amdhsa_fp16_overflow 0
		.amdhsa_workgroup_processor_mode 1
		.amdhsa_memory_ordered 1
		.amdhsa_forward_progress 1
		.amdhsa_inst_pref_size 12
		.amdhsa_round_robin_scheduling 0
		.amdhsa_exception_fp_ieee_invalid_op 0
		.amdhsa_exception_fp_denorm_src 0
		.amdhsa_exception_fp_ieee_div_zero 0
		.amdhsa_exception_fp_ieee_overflow 0
		.amdhsa_exception_fp_ieee_underflow 0
		.amdhsa_exception_fp_ieee_inexact 0
		.amdhsa_exception_int_div_zero 0
	.end_amdhsa_kernel
	.text
.Lfunc_end10:
	.size	naive_conv_ab_packed_fwd_nchw_int8_t_int32_t_int32_t_0, .Lfunc_end10-naive_conv_ab_packed_fwd_nchw_int8_t_int32_t_int32_t_0
                                        ; -- End function
	.set naive_conv_ab_packed_fwd_nchw_int8_t_int32_t_int32_t_0.num_vgpr, 13
	.set naive_conv_ab_packed_fwd_nchw_int8_t_int32_t_int32_t_0.num_agpr, 0
	.set naive_conv_ab_packed_fwd_nchw_int8_t_int32_t_int32_t_0.numbered_sgpr, 50
	.set naive_conv_ab_packed_fwd_nchw_int8_t_int32_t_int32_t_0.num_named_barrier, 0
	.set naive_conv_ab_packed_fwd_nchw_int8_t_int32_t_int32_t_0.private_seg_size, 0
	.set naive_conv_ab_packed_fwd_nchw_int8_t_int32_t_int32_t_0.uses_vcc, 1
	.set naive_conv_ab_packed_fwd_nchw_int8_t_int32_t_int32_t_0.uses_flat_scratch, 0
	.set naive_conv_ab_packed_fwd_nchw_int8_t_int32_t_int32_t_0.has_dyn_sized_stack, 0
	.set naive_conv_ab_packed_fwd_nchw_int8_t_int32_t_int32_t_0.has_recursion, 0
	.set naive_conv_ab_packed_fwd_nchw_int8_t_int32_t_int32_t_0.has_indirect_call, 0
	.section	.AMDGPU.csdata,"",@progbits
; Kernel info:
; codeLenInByte = 1476
; TotalNumSgprs: 52
; NumVgprs: 13
; ScratchSize: 0
; MemoryBound: 0
; FloatMode: 240
; IeeeMode: 1
; LDSByteSize: 0 bytes/workgroup (compile time only)
; SGPRBlocks: 0
; VGPRBlocks: 1
; NumSGPRsForWavesPerEU: 52
; NumVGPRsForWavesPerEU: 13
; Occupancy: 16
; WaveLimiterHint : 0
; COMPUTE_PGM_RSRC2:SCRATCH_EN: 0
; COMPUTE_PGM_RSRC2:USER_SGPR: 2
; COMPUTE_PGM_RSRC2:TRAP_HANDLER: 0
; COMPUTE_PGM_RSRC2:TGID_X_EN: 1
; COMPUTE_PGM_RSRC2:TGID_Y_EN: 0
; COMPUTE_PGM_RSRC2:TGID_Z_EN: 0
; COMPUTE_PGM_RSRC2:TIDIG_COMP_CNT: 0
	.text
	.protected	naive_conv_ab_nonpacked_fwd_nchw_int8_t_int32_t_int32_t_0 ; -- Begin function naive_conv_ab_nonpacked_fwd_nchw_int8_t_int32_t_int32_t_0
	.globl	naive_conv_ab_nonpacked_fwd_nchw_int8_t_int32_t_int32_t_0
	.p2align	8
	.type	naive_conv_ab_nonpacked_fwd_nchw_int8_t_int32_t_int32_t_0,@function
naive_conv_ab_nonpacked_fwd_nchw_int8_t_int32_t_int32_t_0: ; @naive_conv_ab_nonpacked_fwd_nchw_int8_t_int32_t_int32_t_0
; %bb.0:
	s_load_b256 s[20:27], s[0:1], 0xa0
	s_mov_b32 s10, exec_lo
	s_wait_kmcnt 0x0
	s_abs_i32 s3, s23
	s_mul_i32 s25, s26, s25
	s_cvt_f32_u32 s2, s3
	s_delay_alu instid0(SALU_CYCLE_3) | instskip(NEXT) | instid1(TRANS32_DEP_1)
	v_rcp_iflag_f32_e32 v1, s2
	v_readfirstlane_b32 s2, v1
	s_mul_f32 s2, s2, 0x4f7ffffe
	s_wait_alu 0xfffe
	s_delay_alu instid0(SALU_CYCLE_2) | instskip(SKIP_2) | instid1(SALU_CYCLE_1)
	s_cvt_u32_f32 s4, s2
	s_sub_co_i32 s2, 0, s3
	s_wait_alu 0xfffe
	s_mul_i32 s2, s2, s4
	s_wait_alu 0xfffe
	s_mul_hi_u32 s5, s4, s2
	s_abs_i32 s2, ttmp9
	s_add_co_i32 s4, s4, s5
	s_wait_alu 0xfffe
	s_mul_hi_u32 s4, s2, s4
	s_delay_alu instid0(SALU_CYCLE_1) | instskip(SKIP_2) | instid1(SALU_CYCLE_1)
	s_mul_i32 s5, s4, s3
	s_add_co_i32 s6, s4, 1
	s_sub_co_i32 s5, s2, s5
	s_sub_co_i32 s7, s5, s3
	s_cmp_ge_u32 s5, s3
	s_cselect_b32 s4, s6, s4
	s_cselect_b32 s5, s7, s5
	s_add_co_i32 s7, s4, 1
	s_cmp_ge_u32 s5, s3
	s_mul_i32 s6, s23, s22
	s_cselect_b32 s7, s7, s4
	s_abs_i32 s5, s22
	s_abs_i32 s4, s6
	s_cvt_f32_u32 s3, s5
	s_cvt_f32_u32 s8, s4
	s_wait_alu 0xfffe
	s_delay_alu instid0(SALU_CYCLE_1) | instskip(NEXT) | instid1(SALU_CYCLE_1)
	v_rcp_iflag_f32_e32 v1, s3
	v_rcp_iflag_f32_e32 v2, s8
	s_mov_b32 s3, 0
	s_delay_alu instid0(TRANS32_DEP_2) | instskip(NEXT) | instid1(TRANS32_DEP_1)
	v_readfirstlane_b32 s9, v1
	v_readfirstlane_b32 s8, v2
	v_cmpx_gt_i32_e64 s25, v0
	s_cbranch_execz .LBB11_18
; %bb.1:
	s_mul_f32 s9, s9, 0x4f7ffffe
	s_ashr_i32 s14, ttmp9, 31
	s_ashr_i32 s10, s23, 31
	s_mul_f32 s12, s8, 0x4f7ffffe
	s_wait_alu 0xfffe
	s_cvt_u32_f32 s9, s9
	s_sub_co_i32 s11, 0, s5
	s_xor_b32 s10, s14, s10
	s_cvt_u32_f32 s12, s12
	s_xor_b32 s7, s7, s10
	s_wait_alu 0xfffe
	s_mul_i32 s11, s11, s9
	s_sub_co_i32 s7, s7, s10
	s_mul_hi_u32 s10, s9, s11
	s_sub_co_i32 s13, 0, s4
	s_abs_i32 s8, s7
	s_add_co_i32 s10, s9, s10
	s_mov_b32 s9, s3
	s_mov_b32 s11, s3
	s_mul_i32 s13, s13, s12
	s_wait_alu 0xfffe
	s_mul_u64 s[10:11], s[8:9], s[10:11]
	s_mul_hi_u32 s9, s12, s13
	s_ashr_i32 s16, s6, 31
	s_wait_alu 0xfffe
	s_add_co_i32 s6, s12, s9
	s_mul_i32 s9, s11, s5
	s_ashr_i32 s15, s7, 31
	s_mul_i32 s7, s7, s23
	s_wait_alu 0xfffe
	s_sub_co_i32 s8, s8, s9
	s_sub_co_i32 s22, ttmp9, s7
	s_wait_alu 0xfffe
	s_sub_co_i32 s7, s8, s5
	s_cmp_ge_u32 s8, s5
	s_load_b256 s[52:59], s[0:1], 0x0
	s_cselect_b32 s8, s7, s8
	s_mov_b32 s7, s3
	s_wait_alu 0xfffe
	s_sub_co_i32 s9, s8, s5
	s_cmp_ge_u32 s8, s5
	s_mul_u64 s[6:7], s[2:3], s[6:7]
	s_wait_alu 0xfffe
	s_cselect_b32 s5, s9, s8
	s_clause 0x1
	s_load_b64 s[12:13], s[0:1], 0x98
	s_load_b128 s[8:11], s[0:1], 0x88
	s_xor_b32 s5, s5, s15
	s_xor_b32 s6, s14, s16
	s_sub_co_i32 s28, s5, s15
	s_mul_i32 s5, s7, s4
	s_load_b256 s[36:43], s[0:1], 0xc0
	s_sub_co_i32 s2, s2, s5
	s_add_co_i32 s5, s7, 1
	s_wait_alu 0xfffe
	s_sub_co_i32 s14, s2, s4
	s_cmp_ge_u32 s2, s4
	s_load_b64 s[66:67], s[0:1], 0x20
	s_cselect_b32 s5, s5, s7
	s_cselect_b32 s2, s14, s2
	s_add_co_i32 s7, s5, 1
	s_wait_alu 0xfffe
	s_cmp_ge_u32 s2, s4
	s_wait_kmcnt 0x0
	v_cmp_neq_f64_e64 s61, s[58:59], 0
	s_cselect_b32 s2, s7, s5
	s_ashr_i32 s29, s28, 31
	s_wait_alu 0xfffe
	s_xor_b32 s2, s2, s6
	s_ashr_i32 s23, s22, 31
	s_wait_alu 0xfffe
	s_sub_co_i32 s30, s2, s6
	v_cmp_neq_f64_e64 s2, s[56:57], 1.0
	s_ashr_i32 s31, s30, 31
	s_mul_u64 s[4:5], s[12:13], s[28:29]
	s_mul_u64 s[6:7], s[10:11], s[30:31]
	;; [unrolled: 1-line block ×3, first 2 shown]
	s_lshl_b64 s[34:35], s[4:5], 2
	s_lshl_b64 s[62:63], s[6:7], 2
	s_wait_alu 0xfffe
	s_lshl_b64 s[64:65], s[8:9], 2
	s_cmp_gt_i32 s24, 0
	s_load_b512 s[4:19], s[0:1], 0x28
	s_cselect_b32 s33, -1, 0
	s_cmp_gt_i32 s41, 0
	v_cvt_i32_f64_e32 v4, s[56:57]
	v_cvt_i32_f64_e32 v5, s[58:59]
	s_cselect_b32 s43, -1, 0
	s_cmp_gt_i32 s42, 0
	s_load_b256 s[44:51], s[0:1], 0x68
	s_cselect_b32 s60, -1, 0
	s_abs_i32 s56, s26
	s_wait_alu 0xfffe
	s_cvt_f32_u32 s57, s56
	s_wait_alu 0xfffe
	s_delay_alu instid0(SALU_CYCLE_2)
	v_rcp_iflag_f32_e32 v1, s57
	s_load_b32 s57, s[0:1], 0xec
	s_wait_kmcnt 0x0
	s_mul_u64 s[0:1], s[12:13], s[28:29]
	s_mul_u64 s[10:11], s[10:11], s[30:31]
	s_add_nc_u64 s[0:1], s[52:53], s[0:1]
	s_mov_b32 s53, 0
	s_add_nc_u64 s[10:11], s[0:1], s[10:11]
	s_delay_alu instid0(TRANS32_DEP_1)
	v_readfirstlane_b32 s12, v1
	s_add_nc_u64 s[0:1], s[66:67], s[34:35]
	s_mul_u64 s[28:29], s[46:47], s[30:31]
	s_add_nc_u64 s[0:1], s[0:1], s[62:63]
	s_mul_u64 s[22:23], s[44:45], s[22:23]
	s_mul_f32 s30, s12, 0x4f7ffffe
	s_add_nc_u64 s[12:13], s[0:1], s[64:65]
	s_or_b32 s1, s2, s61
	s_sub_co_i32 s2, 0, s56
	s_cvt_u32_f32 s0, s30
	s_add_nc_u64 s[22:23], s[22:23], s[28:29]
	s_and_b32 s46, s57, 0xffff
	s_ashr_i32 s47, s26, 31
	s_wait_alu 0xfffe
	s_mul_i32 s2, s2, s0
	s_add_nc_u64 s[22:23], s[54:55], s[22:23]
	s_wait_alu 0xfffe
	s_mul_hi_u32 s2, s0, s2
	s_wait_alu 0xfffe
	s_add_co_i32 s52, s0, s2
	s_branch .LBB11_3
.LBB11_2:                               ;   in Loop: Header=BB11_3 Depth=1
	v_add_nc_u32_e32 v0, s46, v0
	s_delay_alu instid0(VALU_DEP_1)
	v_cmp_le_i32_e32 vcc_lo, s25, v0
	s_or_b32 s53, vcc_lo, s53
	s_wait_alu 0xfffe
	s_and_not1_b32 exec_lo, exec_lo, s53
	s_cbranch_execz .LBB11_18
.LBB11_3:                               ; =>This Loop Header: Depth=1
                                        ;     Child Loop BB11_6 Depth 2
                                        ;       Child Loop BB11_9 Depth 3
                                        ;         Child Loop BB11_12 Depth 4
	v_sub_nc_u32_e32 v1, 0, v0
	s_delay_alu instid0(VALU_DEP_1) | instskip(NEXT) | instid1(VALU_DEP_1)
	v_max_i32_e32 v1, v0, v1
	v_mul_hi_u32 v2, v1, s52
	s_delay_alu instid0(VALU_DEP_1) | instskip(NEXT) | instid1(VALU_DEP_1)
	v_mul_lo_u32 v3, v2, s56
	v_sub_nc_u32_e32 v1, v1, v3
	v_add_nc_u32_e32 v3, 1, v2
	s_delay_alu instid0(VALU_DEP_2) | instskip(SKIP_2) | instid1(VALU_DEP_2)
	v_subrev_nc_u32_e32 v6, s56, v1
	v_cmp_le_u32_e32 vcc_lo, s56, v1
	s_wait_alu 0xfffd
	v_dual_cndmask_b32 v2, v2, v3 :: v_dual_cndmask_b32 v1, v1, v6
	v_ashrrev_i32_e32 v3, 31, v0
	s_delay_alu instid0(VALU_DEP_2) | instskip(NEXT) | instid1(VALU_DEP_3)
	v_add_nc_u32_e32 v6, 1, v2
	v_cmp_le_u32_e32 vcc_lo, s56, v1
	s_delay_alu instid0(VALU_DEP_3) | instskip(SKIP_1) | instid1(VALU_DEP_3)
	v_xor_b32_e32 v3, s47, v3
	s_wait_alu 0xfffd
	v_dual_cndmask_b32 v1, v2, v6 :: v_dual_mov_b32 v6, 0
	s_and_not1_b32 vcc_lo, exec_lo, s33
	s_delay_alu instid0(VALU_DEP_1) | instskip(NEXT) | instid1(VALU_DEP_1)
	v_xor_b32_e32 v1, v1, v3
	v_sub_nc_u32_e32 v8, v1, v3
	s_delay_alu instid0(VALU_DEP_1) | instskip(NEXT) | instid1(VALU_DEP_1)
	v_mul_lo_u32 v1, v8, s26
	v_sub_nc_u32_e32 v7, v0, v1
	s_wait_alu 0xfffe
	s_cbranch_vccnz .LBB11_14
; %bb.4:                                ;   in Loop: Header=BB11_3 Depth=1
	v_mul_lo_u32 v1, v8, s27
	s_delay_alu instid0(VALU_DEP_2) | instskip(SKIP_3) | instid1(VALU_DEP_3)
	v_mul_lo_u32 v2, v7, s36
	v_mov_b32_e32 v6, 0
	s_mov_b32 s2, 0
	s_mov_b64 s[28:29], s[22:23]
	v_subrev_nc_u32_e32 v1, s39, v1
	s_delay_alu instid0(VALU_DEP_3)
	v_subrev_nc_u32_e32 v9, s40, v2
	s_branch .LBB11_6
.LBB11_5:                               ;   in Loop: Header=BB11_6 Depth=2
	s_add_co_i32 s2, s2, 1
	s_add_nc_u64 s[28:29], s[28:29], s[18:19]
	s_wait_alu 0xfffe
	s_cmp_eq_u32 s2, s24
	s_cbranch_scc1 .LBB11_14
.LBB11_6:                               ;   Parent Loop BB11_3 Depth=1
                                        ; =>  This Loop Header: Depth=2
                                        ;       Child Loop BB11_9 Depth 3
                                        ;         Child Loop BB11_12 Depth 4
	s_and_not1_b32 vcc_lo, exec_lo, s43
	s_wait_alu 0xfffe
	s_cbranch_vccnz .LBB11_5
; %bb.7:                                ;   in Loop: Header=BB11_6 Depth=2
	s_mul_u64 s[30:31], s[8:9], s[2:3]
	s_mov_b32 s54, 0
	s_wait_alu 0xfffe
	s_add_nc_u64 s[30:31], s[10:11], s[30:31]
	s_mov_b64 s[34:35], s[28:29]
	s_branch .LBB11_9
.LBB11_8:                               ;   in Loop: Header=BB11_9 Depth=3
	s_add_co_i32 s54, s54, 1
	s_add_nc_u64 s[34:35], s[34:35], s[16:17]
	s_wait_alu 0xfffe
	s_cmp_eq_u32 s54, s41
	s_cbranch_scc1 .LBB11_5
.LBB11_9:                               ;   Parent Loop BB11_3 Depth=1
                                        ;     Parent Loop BB11_6 Depth=2
                                        ; =>    This Loop Header: Depth=3
                                        ;         Child Loop BB11_12 Depth 4
	s_and_not1_b32 vcc_lo, exec_lo, s60
	s_wait_alu 0xfffe
	s_cbranch_vccnz .LBB11_8
; %bb.10:                               ;   in Loop: Header=BB11_9 Depth=3
	v_mad_co_u64_u32 v[10:11], null, s54, s37, v[1:2]
	s_mov_b64 s[44:45], s[34:35]
	s_mov_b32 s57, s42
	v_mad_co_u64_u32 v[2:3], null, s6, v10, s[30:31]
	v_cmp_gt_i32_e32 vcc_lo, 0, v10
	v_cmp_le_i32_e64 s0, s20, v10
	s_or_b32 s55, vcc_lo, s0
	v_mad_co_u64_u32 v[11:12], null, s7, v10, v[3:4]
	s_delay_alu instid0(VALU_DEP_1)
	v_dual_mov_b32 v10, v9 :: v_dual_mov_b32 v3, v11
	s_branch .LBB11_12
.LBB11_11:                              ;   in Loop: Header=BB11_12 Depth=4
	s_or_b32 exec_lo, exec_lo, s0
	v_add_nc_u32_e32 v10, s38, v10
	s_add_co_i32 s57, s57, -1
	s_add_nc_u64 s[44:45], s[44:45], s[14:15]
	s_wait_alu 0xfffe
	s_cmp_eq_u32 s57, 0
	s_cbranch_scc1 .LBB11_8
.LBB11_12:                              ;   Parent Loop BB11_3 Depth=1
                                        ;     Parent Loop BB11_6 Depth=2
                                        ;       Parent Loop BB11_9 Depth=3
                                        ; =>      This Inner Loop Header: Depth=4
	s_delay_alu instid0(VALU_DEP_1)
	v_cmp_gt_i32_e32 vcc_lo, 0, v10
	v_cmp_le_i32_e64 s0, s21, v10
	s_or_b32 s0, vcc_lo, s0
	s_wait_alu 0xfffe
	s_nor_b32 s58, s55, s0
	s_wait_alu 0xfffe
	s_and_saveexec_b32 s0, s58
	s_cbranch_execz .LBB11_11
; %bb.13:                               ;   in Loop: Header=BB11_12 Depth=4
	v_mad_co_u64_u32 v[11:12], null, s4, v10, v[2:3]
	s_load_i8 s58, s[44:45], 0x0
	v_mad_co_u64_u32 v[12:13], null, s5, v10, v[12:13]
	global_load_i8 v11, v[11:12], off
	s_wait_loadcnt 0x0
	s_wait_kmcnt 0x0
	v_mad_i32_i24 v6, s58, v11, v6
	s_branch .LBB11_11
.LBB11_14:                              ;   in Loop: Header=BB11_3 Depth=1
	v_ashrrev_i32_e32 v3, 31, v8
	v_mul_lo_u32 v9, s51, v8
	v_mad_co_u64_u32 v[1:2], null, s50, v8, 0
	v_ashrrev_i32_e32 v8, 31, v7
	s_delay_alu instid0(VALU_DEP_4) | instskip(SKIP_2) | instid1(VALU_DEP_2)
	v_mul_lo_u32 v3, s50, v3
	s_and_b32 vcc_lo, exec_lo, s1
	s_mov_b32 s0, -1
	v_mul_lo_u32 v8, s48, v8
	s_delay_alu instid0(VALU_DEP_2) | instskip(SKIP_1) | instid1(VALU_DEP_2)
	v_add3_u32 v2, v2, v3, v9
	v_mul_lo_u32 v3, s49, v7
	v_mad_co_u64_u32 v[1:2], null, s48, v7, v[1:2]
	s_delay_alu instid0(VALU_DEP_1)
	v_add3_u32 v2, v3, v2, v8
	s_wait_alu 0xfffe
	s_cbranch_vccz .LBB11_16
; %bb.15:                               ;   in Loop: Header=BB11_3 Depth=1
	s_delay_alu instid0(VALU_DEP_1) | instskip(SKIP_2) | instid1(VALU_DEP_2)
	v_lshlrev_b64_e32 v[7:8], 2, v[1:2]
	v_mul_lo_u32 v3, v6, v4
	s_mov_b32 s0, 0
	v_add_co_u32 v7, vcc_lo, s12, v7
	s_wait_alu 0xfffd
	s_delay_alu instid0(VALU_DEP_3)
	v_add_co_ci_u32_e64 v8, null, s13, v8, vcc_lo
	global_load_b32 v9, v[7:8], off
	s_wait_loadcnt 0x0
	v_mad_co_u64_u32 v[9:10], null, v9, v5, v[3:4]
	global_store_b32 v[7:8], v9, off
.LBB11_16:                              ;   in Loop: Header=BB11_3 Depth=1
	s_and_not1_b32 vcc_lo, exec_lo, s0
	s_wait_alu 0xfffe
	s_cbranch_vccnz .LBB11_2
; %bb.17:                               ;   in Loop: Header=BB11_3 Depth=1
	s_delay_alu instid0(VALU_DEP_2) | instskip(NEXT) | instid1(VALU_DEP_1)
	v_lshlrev_b64_e32 v[1:2], 2, v[1:2]
	v_add_co_u32 v1, vcc_lo, s12, v1
	s_wait_alu 0xfffd
	s_delay_alu instid0(VALU_DEP_2)
	v_add_co_ci_u32_e64 v2, null, s13, v2, vcc_lo
	global_store_b32 v[1:2], v6, off
	s_branch .LBB11_2
.LBB11_18:
	s_endpgm
	.section	.rodata,"a",@progbits
	.p2align	6, 0x0
	.amdhsa_kernel naive_conv_ab_nonpacked_fwd_nchw_int8_t_int32_t_int32_t_0
		.amdhsa_group_segment_fixed_size 0
		.amdhsa_private_segment_fixed_size 0
		.amdhsa_kernarg_size 480
		.amdhsa_user_sgpr_count 2
		.amdhsa_user_sgpr_dispatch_ptr 0
		.amdhsa_user_sgpr_queue_ptr 0
		.amdhsa_user_sgpr_kernarg_segment_ptr 1
		.amdhsa_user_sgpr_dispatch_id 0
		.amdhsa_user_sgpr_private_segment_size 0
		.amdhsa_wavefront_size32 1
		.amdhsa_uses_dynamic_stack 0
		.amdhsa_enable_private_segment 0
		.amdhsa_system_sgpr_workgroup_id_x 1
		.amdhsa_system_sgpr_workgroup_id_y 0
		.amdhsa_system_sgpr_workgroup_id_z 0
		.amdhsa_system_sgpr_workgroup_info 0
		.amdhsa_system_vgpr_workitem_id 0
		.amdhsa_next_free_vgpr 14
		.amdhsa_next_free_sgpr 68
		.amdhsa_reserve_vcc 1
		.amdhsa_float_round_mode_32 0
		.amdhsa_float_round_mode_16_64 0
		.amdhsa_float_denorm_mode_32 3
		.amdhsa_float_denorm_mode_16_64 3
		.amdhsa_fp16_overflow 0
		.amdhsa_workgroup_processor_mode 1
		.amdhsa_memory_ordered 1
		.amdhsa_forward_progress 1
		.amdhsa_inst_pref_size 12
		.amdhsa_round_robin_scheduling 0
		.amdhsa_exception_fp_ieee_invalid_op 0
		.amdhsa_exception_fp_denorm_src 0
		.amdhsa_exception_fp_ieee_div_zero 0
		.amdhsa_exception_fp_ieee_overflow 0
		.amdhsa_exception_fp_ieee_underflow 0
		.amdhsa_exception_fp_ieee_inexact 0
		.amdhsa_exception_int_div_zero 0
	.end_amdhsa_kernel
	.text
.Lfunc_end11:
	.size	naive_conv_ab_nonpacked_fwd_nchw_int8_t_int32_t_int32_t_0, .Lfunc_end11-naive_conv_ab_nonpacked_fwd_nchw_int8_t_int32_t_int32_t_0
                                        ; -- End function
	.set naive_conv_ab_nonpacked_fwd_nchw_int8_t_int32_t_int32_t_0.num_vgpr, 14
	.set naive_conv_ab_nonpacked_fwd_nchw_int8_t_int32_t_int32_t_0.num_agpr, 0
	.set naive_conv_ab_nonpacked_fwd_nchw_int8_t_int32_t_int32_t_0.numbered_sgpr, 68
	.set naive_conv_ab_nonpacked_fwd_nchw_int8_t_int32_t_int32_t_0.num_named_barrier, 0
	.set naive_conv_ab_nonpacked_fwd_nchw_int8_t_int32_t_int32_t_0.private_seg_size, 0
	.set naive_conv_ab_nonpacked_fwd_nchw_int8_t_int32_t_int32_t_0.uses_vcc, 1
	.set naive_conv_ab_nonpacked_fwd_nchw_int8_t_int32_t_int32_t_0.uses_flat_scratch, 0
	.set naive_conv_ab_nonpacked_fwd_nchw_int8_t_int32_t_int32_t_0.has_dyn_sized_stack, 0
	.set naive_conv_ab_nonpacked_fwd_nchw_int8_t_int32_t_int32_t_0.has_recursion, 0
	.set naive_conv_ab_nonpacked_fwd_nchw_int8_t_int32_t_int32_t_0.has_indirect_call, 0
	.section	.AMDGPU.csdata,"",@progbits
; Kernel info:
; codeLenInByte = 1500
; TotalNumSgprs: 70
; NumVgprs: 14
; ScratchSize: 0
; MemoryBound: 0
; FloatMode: 240
; IeeeMode: 1
; LDSByteSize: 0 bytes/workgroup (compile time only)
; SGPRBlocks: 0
; VGPRBlocks: 1
; NumSGPRsForWavesPerEU: 70
; NumVGPRsForWavesPerEU: 14
; Occupancy: 16
; WaveLimiterHint : 0
; COMPUTE_PGM_RSRC2:SCRATCH_EN: 0
; COMPUTE_PGM_RSRC2:USER_SGPR: 2
; COMPUTE_PGM_RSRC2:TRAP_HANDLER: 0
; COMPUTE_PGM_RSRC2:TGID_X_EN: 1
; COMPUTE_PGM_RSRC2:TGID_Y_EN: 0
; COMPUTE_PGM_RSRC2:TGID_Z_EN: 0
; COMPUTE_PGM_RSRC2:TIDIG_COMP_CNT: 0
	.text
	.protected	naive_conv_ab_packed_fwd_nchw_int8_t_int32_t_float_0 ; -- Begin function naive_conv_ab_packed_fwd_nchw_int8_t_int32_t_float_0
	.globl	naive_conv_ab_packed_fwd_nchw_int8_t_int32_t_float_0
	.p2align	8
	.type	naive_conv_ab_packed_fwd_nchw_int8_t_int32_t_float_0,@function
naive_conv_ab_packed_fwd_nchw_int8_t_int32_t_float_0: ; @naive_conv_ab_packed_fwd_nchw_int8_t_int32_t_float_0
; %bb.0:
	s_load_b512 s[4:19], s[0:1], 0xa0
	s_mov_b32 s25, exec_lo
	s_wait_kmcnt 0x0
	s_abs_i32 s3, s7
	s_mul_i32 s33, s10, s9
	s_cvt_f32_u32 s2, s3
	s_delay_alu instid0(SALU_CYCLE_3) | instskip(NEXT) | instid1(TRANS32_DEP_1)
	v_rcp_iflag_f32_e32 v1, s2
	v_readfirstlane_b32 s2, v1
	s_mul_f32 s2, s2, 0x4f7ffffe
	s_wait_alu 0xfffe
	s_delay_alu instid0(SALU_CYCLE_2) | instskip(SKIP_2) | instid1(SALU_CYCLE_1)
	s_cvt_u32_f32 s20, s2
	s_sub_co_i32 s2, 0, s3
	s_wait_alu 0xfffe
	s_mul_i32 s2, s2, s20
	s_wait_alu 0xfffe
	s_mul_hi_u32 s21, s20, s2
	s_abs_i32 s2, ttmp9
	s_add_co_i32 s20, s20, s21
	s_wait_alu 0xfffe
	s_mul_hi_u32 s20, s2, s20
	s_delay_alu instid0(SALU_CYCLE_1) | instskip(SKIP_2) | instid1(SALU_CYCLE_1)
	s_mul_i32 s21, s20, s3
	s_add_co_i32 s22, s20, 1
	s_sub_co_i32 s21, s2, s21
	s_sub_co_i32 s23, s21, s3
	s_cmp_ge_u32 s21, s3
	s_cselect_b32 s20, s22, s20
	s_cselect_b32 s21, s23, s21
	s_add_co_i32 s22, s20, 1
	s_cmp_ge_u32 s21, s3
	s_mul_i32 s21, s7, s6
	s_cselect_b32 s22, s22, s20
	s_abs_i32 s20, s6
	s_abs_i32 s6, s21
	s_cvt_f32_u32 s3, s20
	s_cvt_f32_u32 s23, s6
	s_wait_alu 0xfffe
	s_delay_alu instid0(SALU_CYCLE_1) | instskip(NEXT) | instid1(SALU_CYCLE_1)
	v_rcp_iflag_f32_e32 v1, s3
	v_rcp_iflag_f32_e32 v2, s23
	s_mov_b32 s3, 0
	s_delay_alu instid0(TRANS32_DEP_2) | instskip(NEXT) | instid1(TRANS32_DEP_1)
	v_readfirstlane_b32 s24, v1
	v_readfirstlane_b32 s23, v2
	v_cmpx_gt_i32_e64 s33, v0
	s_cbranch_execz .LBB12_16
; %bb.1:
	s_mul_f32 s24, s24, 0x4f7ffffe
	s_ashr_i32 s26, ttmp9, 31
	s_ashr_i32 s35, s7, 31
	s_sub_co_i32 s25, 0, s20
	s_cvt_u32_f32 s24, s24
	s_xor_b32 s27, s26, s35
	s_mul_f32 s28, s23, 0x4f7ffffe
	s_xor_b32 s22, s22, s27
	s_mul_i32 s25, s25, s24
	s_wait_alu 0xfffe
	s_sub_co_i32 s27, s22, s27
	s_mul_hi_u32 s23, s24, s25
	s_cvt_u32_f32 s28, s28
	s_abs_i32 s22, s27
	s_wait_alu 0xfffe
	s_add_co_i32 s24, s24, s23
	s_mov_b32 s23, s3
	s_mov_b32 s25, s3
	s_sub_co_i32 s29, 0, s6
	s_wait_alu 0xfffe
	s_mul_u64 s[24:25], s[22:23], s[24:25]
	s_mul_i32 s29, s29, s28
	s_ashr_i32 s23, s27, 31
	s_mul_hi_u32 s24, s28, s29
	s_ashr_i32 s29, s21, 31
	s_mul_i32 s21, s25, s20
	s_mul_i32 s27, s27, s7
	s_sub_co_i32 s21, s22, s21
	s_add_co_i32 s24, s28, s24
	s_sub_co_i32 s36, ttmp9, s27
	s_sub_co_i32 s22, s21, s20
	s_cmp_ge_u32 s21, s20
	s_mov_b32 s25, s3
	s_wait_alu 0xfffe
	s_cselect_b32 s22, s22, s21
	s_mov_b32 s34, s7
	s_wait_alu 0xfffe
	s_sub_co_i32 s27, s22, s20
	s_cmp_ge_u32 s22, s20
	s_mul_u64 s[20:21], s[2:3], s[24:25]
	s_cselect_b32 s20, s27, s22
	s_xor_b32 s28, s26, s29
	s_xor_b32 s20, s20, s23
	s_mov_b32 s44, s9
	s_sub_co_i32 s38, s20, s23
	s_mul_i32 s20, s21, s6
	s_mul_i32 s40, s19, s8
	s_sub_co_i32 s2, s2, s20
	s_add_co_i32 s20, s21, 1
	s_wait_alu 0xfffe
	s_sub_co_i32 s22, s2, s6
	s_cmp_ge_u32 s2, s6
	s_cselect_b32 s29, s20, s21
	s_wait_alu 0xfffe
	s_cselect_b32 s2, s22, s2
	s_add_co_i32 s30, s29, 1
	s_wait_alu 0xfffe
	s_cmp_ge_u32 s2, s6
	s_load_b256 s[20:27], s[0:1], 0x0
	s_cselect_b32 s2, s30, s29
	s_mul_i32 s6, s19, s7
	s_wait_alu 0xfffe
	s_xor_b32 s2, s2, s28
	s_ashr_i32 s39, s38, 31
	s_wait_alu 0xfffe
	s_sub_co_i32 s46, s2, s28
	s_ashr_i32 s7, s6, 31
	s_ashr_i32 s47, s46, 31
	;; [unrolled: 1-line block ×3, first 2 shown]
	s_mul_u64 s[34:35], s[46:47], s[34:35]
	s_mul_u64 s[42:43], s[38:39], s[6:7]
	s_ashr_i32 s45, s9, 31
	s_ashr_i32 s7, s10, 31
	s_mov_b32 s6, s10
	s_add_nc_u64 s[36:37], s[34:35], s[36:37]
	s_mul_u64 s[44:45], s[6:7], s[44:45]
	s_add_nc_u64 s[42:43], s[36:37], s[42:43]
	s_ashr_i32 s41, s40, 31
	s_mul_u64 s[42:43], s[44:45], s[42:43]
	s_ashr_i32 s29, s4, 31
	s_ashr_i32 s31, s5, 31
	;; [unrolled: 1-line block ×5, first 2 shown]
	s_lshl_b64 s[48:49], s[42:43], 2
	s_cmp_gt_i32 s8, 0
	s_wait_kmcnt 0x0
	v_cmp_neq_f64_e64 s2, s[24:25], 1.0
	v_cmp_neq_f64_e64 s45, s[26:27], 0
	s_cselect_b32 s42, -1, 0
	s_cmp_gt_i32 s17, 0
	v_cvt_i32_f64_e32 v6, s[24:25]
	v_cvt_i32_f64_e32 v7, s[26:27]
	s_cselect_b32 s43, -1, 0
	s_cmp_gt_i32 s18, 0
	s_load_b64 s[24:25], s[0:1], 0x20
	s_cselect_b32 s44, -1, 0
	s_abs_i32 s10, s10
	s_mul_u64 s[26:27], s[38:39], s[40:41]
	s_cvt_f32_u32 s28, s10
	s_load_b32 s38, s[0:1], 0xec
	s_mov_b32 s30, s5
	s_mul_u64 s[0:1], s[46:47], s[8:9]
	v_rcp_iflag_f32_e32 v1, s28
	s_mov_b32 s28, s4
	s_add_nc_u64 s[0:1], s[0:1], s[26:27]
	s_wait_alu 0xfffe
	s_mul_u64 s[4:5], s[30:31], s[28:29]
	s_delay_alu instid0(SALU_CYCLE_1) | instskip(NEXT) | instid1(SALU_CYCLE_1)
	s_mul_u64 s[0:1], s[4:5], s[0:1]
	s_add_nc_u64 s[4:5], s[20:21], s[0:1]
	s_delay_alu instid0(TRANS32_DEP_1)
	v_readfirstlane_b32 s34, v1
	s_wait_kmcnt 0x0
	s_add_nc_u64 s[24:25], s[24:25], s[48:49]
	s_mul_f32 s26, s34, 0x4f7ffffe
	s_mov_b32 s34, s17
	s_sub_co_i32 s17, 0, s10
	s_mul_u64 s[20:21], s[18:19], s[34:35]
	s_wait_alu 0xfffe
	s_cvt_u32_f32 s0, s26
	s_mul_u64 s[26:27], s[20:21], s[36:37]
	s_and_b32 s1, s38, 0xffff
	s_wait_alu 0xfffe
	s_mul_u64 s[26:27], s[26:27], s[8:9]
	s_mul_i32 s17, s17, s0
	s_or_b32 s9, s2, s45
	s_mul_hi_u32 s17, s0, s17
	s_wait_alu 0xfffe
	s_add_nc_u64 s[22:23], s[22:23], s[26:27]
	s_add_co_i32 s17, s0, s17
	s_mov_b32 s35, 0
	s_branch .LBB12_3
.LBB12_2:                               ;   in Loop: Header=BB12_3 Depth=1
	v_add_nc_u32_e32 v0, s1, v0
	s_delay_alu instid0(VALU_DEP_2) | instskip(NEXT) | instid1(VALU_DEP_2)
	v_cvt_f32_i32_e32 v1, v1
	v_cmp_le_i32_e32 vcc_lo, s33, v0
	global_store_b32 v[3:4], v1, off
	s_or_b32 s35, vcc_lo, s35
	s_delay_alu instid0(SALU_CYCLE_1)
	s_and_not1_b32 exec_lo, exec_lo, s35
	s_cbranch_execz .LBB12_16
.LBB12_3:                               ; =>This Loop Header: Depth=1
                                        ;     Child Loop BB12_6 Depth 2
                                        ;       Child Loop BB12_9 Depth 3
                                        ;         Child Loop BB12_12 Depth 4
	v_sub_nc_u32_e32 v1, 0, v0
	s_delay_alu instid0(VALU_DEP_1) | instskip(NEXT) | instid1(VALU_DEP_1)
	v_max_i32_e32 v1, v0, v1
	v_mul_hi_u32 v2, v1, s17
	s_delay_alu instid0(VALU_DEP_1) | instskip(NEXT) | instid1(VALU_DEP_1)
	v_mul_lo_u32 v3, v2, s10
	v_sub_nc_u32_e32 v1, v1, v3
	v_add_nc_u32_e32 v3, 1, v2
	s_delay_alu instid0(VALU_DEP_2) | instskip(SKIP_2) | instid1(VALU_DEP_2)
	v_subrev_nc_u32_e32 v4, s10, v1
	v_cmp_le_u32_e32 vcc_lo, s10, v1
	s_wait_alu 0xfffd
	v_dual_cndmask_b32 v2, v2, v3 :: v_dual_cndmask_b32 v1, v1, v4
	v_ashrrev_i32_e32 v3, 31, v0
	s_delay_alu instid0(VALU_DEP_2) | instskip(NEXT) | instid1(VALU_DEP_3)
	v_add_nc_u32_e32 v4, 1, v2
	v_cmp_le_u32_e32 vcc_lo, s10, v1
	s_delay_alu instid0(VALU_DEP_3) | instskip(SKIP_1) | instid1(VALU_DEP_3)
	v_xor_b32_e32 v3, s7, v3
	s_wait_alu 0xfffd
	v_cndmask_b32_e32 v1, v2, v4, vcc_lo
	s_and_not1_b32 vcc_lo, exec_lo, s42
	s_delay_alu instid0(VALU_DEP_1) | instskip(NEXT) | instid1(VALU_DEP_1)
	v_xor_b32_e32 v1, v1, v3
	v_sub_nc_u32_e32 v8, v1, v3
	s_delay_alu instid0(VALU_DEP_1) | instskip(NEXT) | instid1(VALU_DEP_1)
	v_mul_lo_u32 v1, v8, s6
	v_sub_nc_u32_e32 v2, v0, v1
	v_mov_b32_e32 v1, 0
	s_wait_alu 0xfffe
	s_cbranch_vccnz .LBB12_14
; %bb.4:                                ;   in Loop: Header=BB12_3 Depth=1
	v_mul_lo_u32 v1, v8, s11
	v_mul_lo_u32 v4, v2, s12
	s_mov_b32 s2, 0
	s_mov_b64 s[26:27], s[22:23]
	s_delay_alu instid0(VALU_DEP_2) | instskip(NEXT) | instid1(VALU_DEP_2)
	v_subrev_nc_u32_e32 v3, s15, v1
	v_subrev_nc_u32_e32 v9, s16, v4
	v_mov_b32_e32 v1, 0
	s_branch .LBB12_6
.LBB12_5:                               ;   in Loop: Header=BB12_6 Depth=2
	s_add_co_i32 s2, s2, 1
	s_add_nc_u64 s[26:27], s[26:27], s[20:21]
	s_wait_alu 0xfffe
	s_cmp_eq_u32 s2, s8
	s_cbranch_scc1 .LBB12_14
.LBB12_6:                               ;   Parent Loop BB12_3 Depth=1
                                        ; =>  This Loop Header: Depth=2
                                        ;       Child Loop BB12_9 Depth 3
                                        ;         Child Loop BB12_12 Depth 4
	s_and_not1_b32 vcc_lo, exec_lo, s43
	s_wait_alu 0xfffe
	s_cbranch_vccnz .LBB12_5
; %bb.7:                                ;   in Loop: Header=BB12_6 Depth=2
	s_mul_u64 s[36:37], s[2:3], s[28:29]
	s_mov_b32 s45, 0
	s_mov_b64 s[38:39], s[26:27]
	s_branch .LBB12_9
.LBB12_8:                               ;   in Loop: Header=BB12_9 Depth=3
	s_add_co_i32 s45, s45, 1
	s_add_nc_u64 s[38:39], s[38:39], s[18:19]
	s_wait_alu 0xfffe
	s_cmp_eq_u32 s45, s34
	s_cbranch_scc1 .LBB12_5
.LBB12_9:                               ;   Parent Loop BB12_3 Depth=1
                                        ;     Parent Loop BB12_6 Depth=2
                                        ; =>    This Loop Header: Depth=3
                                        ;         Child Loop BB12_12 Depth 4
	s_and_not1_b32 vcc_lo, exec_lo, s44
	s_wait_alu 0xfffe
	s_cbranch_vccnz .LBB12_8
; %bb.10:                               ;   in Loop: Header=BB12_9 Depth=3
	v_mad_co_u64_u32 v[10:11], null, s45, s13, v[3:4]
	s_mov_b64 s[40:41], s[38:39]
	s_mov_b32 s47, s18
	v_add_co_u32 v4, s0, s36, v10
	s_wait_alu 0xf1ff
	v_add_co_ci_u32_e64 v5, null, s37, 0, s0
	v_cmp_gt_i32_e32 vcc_lo, 0, v10
	s_delay_alu instid0(VALU_DEP_3) | instskip(SKIP_1) | instid1(VALU_DEP_4)
	v_mul_lo_u32 v11, v4, s31
	v_cmp_le_i32_e64 s0, s28, v10
	v_mul_lo_u32 v12, v5, s30
	v_mad_co_u64_u32 v[4:5], null, v4, s30, s[4:5]
	v_mov_b32_e32 v10, v9
	s_delay_alu instid0(VALU_DEP_4) | instskip(NEXT) | instid1(VALU_DEP_2)
	s_or_b32 s46, vcc_lo, s0
	v_add3_u32 v5, v12, v5, v11
	s_branch .LBB12_12
.LBB12_11:                              ;   in Loop: Header=BB12_12 Depth=4
	s_wait_alu 0xfffe
	s_or_b32 exec_lo, exec_lo, s0
	v_add_nc_u32_e32 v10, s14, v10
	s_add_co_i32 s47, s47, -1
	s_add_nc_u64 s[40:41], s[40:41], 1
	s_cmp_eq_u32 s47, 0
	s_cbranch_scc1 .LBB12_8
.LBB12_12:                              ;   Parent Loop BB12_3 Depth=1
                                        ;     Parent Loop BB12_6 Depth=2
                                        ;       Parent Loop BB12_9 Depth=3
                                        ; =>      This Inner Loop Header: Depth=4
	s_delay_alu instid0(VALU_DEP_2)
	v_cmp_gt_i32_e32 vcc_lo, 0, v10
	v_cmp_le_i32_e64 s0, s30, v10
	s_or_b32 s0, vcc_lo, s0
	s_wait_alu 0xfffe
	s_nor_b32 s48, s46, s0
	s_wait_alu 0xfffe
	s_and_saveexec_b32 s0, s48
	s_cbranch_execz .LBB12_11
; %bb.13:                               ;   in Loop: Header=BB12_12 Depth=4
	v_add_co_u32 v11, vcc_lo, v4, v10
	s_wait_alu 0xfffd
	v_add_co_ci_u32_e64 v12, null, 0, v5, vcc_lo
	s_load_i8 s48, s[40:41], 0x0
	global_load_i8 v11, v[11:12], off
	s_wait_loadcnt 0x0
	s_wait_kmcnt 0x0
	v_mad_i32_i24 v1, s48, v11, v1
	s_branch .LBB12_11
.LBB12_14:                              ;   in Loop: Header=BB12_3 Depth=1
	v_mad_co_i64_i32 v[4:5], null, v8, s6, 0
	v_ashrrev_i32_e32 v3, 31, v2
	s_delay_alu instid0(VALU_DEP_1) | instskip(NEXT) | instid1(VALU_DEP_3)
	v_lshlrev_b64_e32 v[8:9], 2, v[2:3]
	v_lshlrev_b64_e32 v[4:5], 2, v[4:5]
	s_delay_alu instid0(VALU_DEP_1) | instskip(SKIP_1) | instid1(VALU_DEP_2)
	v_add_co_u32 v2, vcc_lo, s24, v4
	s_wait_alu 0xfffd
	v_add_co_ci_u32_e64 v4, null, s25, v5, vcc_lo
	s_delay_alu instid0(VALU_DEP_2) | instskip(SKIP_1) | instid1(VALU_DEP_2)
	v_add_co_u32 v3, vcc_lo, v2, v8
	s_wait_alu 0xfffd
	v_add_co_ci_u32_e64 v4, null, v4, v9, vcc_lo
	s_and_not1_b32 vcc_lo, exec_lo, s9
	s_wait_alu 0xfffe
	s_cbranch_vccnz .LBB12_2
; %bb.15:                               ;   in Loop: Header=BB12_3 Depth=1
	global_load_b32 v2, v[3:4], off
	v_mul_lo_u32 v1, v1, v6
	s_wait_loadcnt 0x0
	v_cvt_i32_f32_e32 v2, v2
	s_delay_alu instid0(VALU_DEP_1)
	v_mad_co_u64_u32 v[1:2], null, v2, v7, v[1:2]
	s_branch .LBB12_2
.LBB12_16:
	s_endpgm
	.section	.rodata,"a",@progbits
	.p2align	6, 0x0
	.amdhsa_kernel naive_conv_ab_packed_fwd_nchw_int8_t_int32_t_float_0
		.amdhsa_group_segment_fixed_size 0
		.amdhsa_private_segment_fixed_size 0
		.amdhsa_kernarg_size 480
		.amdhsa_user_sgpr_count 2
		.amdhsa_user_sgpr_dispatch_ptr 0
		.amdhsa_user_sgpr_queue_ptr 0
		.amdhsa_user_sgpr_kernarg_segment_ptr 1
		.amdhsa_user_sgpr_dispatch_id 0
		.amdhsa_user_sgpr_private_segment_size 0
		.amdhsa_wavefront_size32 1
		.amdhsa_uses_dynamic_stack 0
		.amdhsa_enable_private_segment 0
		.amdhsa_system_sgpr_workgroup_id_x 1
		.amdhsa_system_sgpr_workgroup_id_y 0
		.amdhsa_system_sgpr_workgroup_id_z 0
		.amdhsa_system_sgpr_workgroup_info 0
		.amdhsa_system_vgpr_workitem_id 0
		.amdhsa_next_free_vgpr 13
		.amdhsa_next_free_sgpr 50
		.amdhsa_reserve_vcc 1
		.amdhsa_float_round_mode_32 0
		.amdhsa_float_round_mode_16_64 0
		.amdhsa_float_denorm_mode_32 3
		.amdhsa_float_denorm_mode_16_64 3
		.amdhsa_fp16_overflow 0
		.amdhsa_workgroup_processor_mode 1
		.amdhsa_memory_ordered 1
		.amdhsa_forward_progress 1
		.amdhsa_inst_pref_size 12
		.amdhsa_round_robin_scheduling 0
		.amdhsa_exception_fp_ieee_invalid_op 0
		.amdhsa_exception_fp_denorm_src 0
		.amdhsa_exception_fp_ieee_div_zero 0
		.amdhsa_exception_fp_ieee_overflow 0
		.amdhsa_exception_fp_ieee_underflow 0
		.amdhsa_exception_fp_ieee_inexact 0
		.amdhsa_exception_int_div_zero 0
	.end_amdhsa_kernel
	.text
.Lfunc_end12:
	.size	naive_conv_ab_packed_fwd_nchw_int8_t_int32_t_float_0, .Lfunc_end12-naive_conv_ab_packed_fwd_nchw_int8_t_int32_t_float_0
                                        ; -- End function
	.set naive_conv_ab_packed_fwd_nchw_int8_t_int32_t_float_0.num_vgpr, 13
	.set naive_conv_ab_packed_fwd_nchw_int8_t_int32_t_float_0.num_agpr, 0
	.set naive_conv_ab_packed_fwd_nchw_int8_t_int32_t_float_0.numbered_sgpr, 50
	.set naive_conv_ab_packed_fwd_nchw_int8_t_int32_t_float_0.num_named_barrier, 0
	.set naive_conv_ab_packed_fwd_nchw_int8_t_int32_t_float_0.private_seg_size, 0
	.set naive_conv_ab_packed_fwd_nchw_int8_t_int32_t_float_0.uses_vcc, 1
	.set naive_conv_ab_packed_fwd_nchw_int8_t_int32_t_float_0.uses_flat_scratch, 0
	.set naive_conv_ab_packed_fwd_nchw_int8_t_int32_t_float_0.has_dyn_sized_stack, 0
	.set naive_conv_ab_packed_fwd_nchw_int8_t_int32_t_float_0.has_recursion, 0
	.set naive_conv_ab_packed_fwd_nchw_int8_t_int32_t_float_0.has_indirect_call, 0
	.section	.AMDGPU.csdata,"",@progbits
; Kernel info:
; codeLenInByte = 1440
; TotalNumSgprs: 52
; NumVgprs: 13
; ScratchSize: 0
; MemoryBound: 0
; FloatMode: 240
; IeeeMode: 1
; LDSByteSize: 0 bytes/workgroup (compile time only)
; SGPRBlocks: 0
; VGPRBlocks: 1
; NumSGPRsForWavesPerEU: 52
; NumVGPRsForWavesPerEU: 13
; Occupancy: 16
; WaveLimiterHint : 0
; COMPUTE_PGM_RSRC2:SCRATCH_EN: 0
; COMPUTE_PGM_RSRC2:USER_SGPR: 2
; COMPUTE_PGM_RSRC2:TRAP_HANDLER: 0
; COMPUTE_PGM_RSRC2:TGID_X_EN: 1
; COMPUTE_PGM_RSRC2:TGID_Y_EN: 0
; COMPUTE_PGM_RSRC2:TGID_Z_EN: 0
; COMPUTE_PGM_RSRC2:TIDIG_COMP_CNT: 0
	.text
	.protected	naive_conv_ab_nonpacked_fwd_nchw_int8_t_int32_t_float_0 ; -- Begin function naive_conv_ab_nonpacked_fwd_nchw_int8_t_int32_t_float_0
	.globl	naive_conv_ab_nonpacked_fwd_nchw_int8_t_int32_t_float_0
	.p2align	8
	.type	naive_conv_ab_nonpacked_fwd_nchw_int8_t_int32_t_float_0,@function
naive_conv_ab_nonpacked_fwd_nchw_int8_t_int32_t_float_0: ; @naive_conv_ab_nonpacked_fwd_nchw_int8_t_int32_t_float_0
; %bb.0:
	s_load_b256 s[20:27], s[0:1], 0xa0
	s_mov_b32 s10, exec_lo
	s_wait_kmcnt 0x0
	s_abs_i32 s3, s23
	s_mul_i32 s25, s26, s25
	s_cvt_f32_u32 s2, s3
	s_delay_alu instid0(SALU_CYCLE_3) | instskip(NEXT) | instid1(TRANS32_DEP_1)
	v_rcp_iflag_f32_e32 v1, s2
	v_readfirstlane_b32 s2, v1
	s_mul_f32 s2, s2, 0x4f7ffffe
	s_wait_alu 0xfffe
	s_delay_alu instid0(SALU_CYCLE_2) | instskip(SKIP_2) | instid1(SALU_CYCLE_1)
	s_cvt_u32_f32 s4, s2
	s_sub_co_i32 s2, 0, s3
	s_wait_alu 0xfffe
	s_mul_i32 s2, s2, s4
	s_wait_alu 0xfffe
	s_mul_hi_u32 s5, s4, s2
	s_abs_i32 s2, ttmp9
	s_add_co_i32 s4, s4, s5
	s_wait_alu 0xfffe
	s_mul_hi_u32 s4, s2, s4
	s_delay_alu instid0(SALU_CYCLE_1) | instskip(SKIP_2) | instid1(SALU_CYCLE_1)
	s_mul_i32 s5, s4, s3
	s_add_co_i32 s6, s4, 1
	s_sub_co_i32 s5, s2, s5
	s_sub_co_i32 s7, s5, s3
	s_cmp_ge_u32 s5, s3
	s_cselect_b32 s4, s6, s4
	s_cselect_b32 s5, s7, s5
	s_add_co_i32 s7, s4, 1
	s_cmp_ge_u32 s5, s3
	s_mul_i32 s6, s23, s22
	s_cselect_b32 s7, s7, s4
	s_abs_i32 s5, s22
	s_abs_i32 s4, s6
	s_cvt_f32_u32 s3, s5
	s_cvt_f32_u32 s8, s4
	s_wait_alu 0xfffe
	s_delay_alu instid0(SALU_CYCLE_1) | instskip(NEXT) | instid1(SALU_CYCLE_1)
	v_rcp_iflag_f32_e32 v1, s3
	v_rcp_iflag_f32_e32 v2, s8
	s_mov_b32 s3, 0
	s_delay_alu instid0(TRANS32_DEP_2) | instskip(NEXT) | instid1(TRANS32_DEP_1)
	v_readfirstlane_b32 s9, v1
	v_readfirstlane_b32 s8, v2
	v_cmpx_gt_i32_e64 s25, v0
	s_cbranch_execz .LBB13_16
; %bb.1:
	s_mul_f32 s9, s9, 0x4f7ffffe
	s_ashr_i32 s14, ttmp9, 31
	s_ashr_i32 s10, s23, 31
	s_mul_f32 s12, s8, 0x4f7ffffe
	s_wait_alu 0xfffe
	s_cvt_u32_f32 s9, s9
	s_sub_co_i32 s11, 0, s5
	s_xor_b32 s10, s14, s10
	s_cvt_u32_f32 s12, s12
	s_xor_b32 s7, s7, s10
	s_wait_alu 0xfffe
	s_mul_i32 s11, s11, s9
	s_sub_co_i32 s7, s7, s10
	s_mul_hi_u32 s10, s9, s11
	s_sub_co_i32 s13, 0, s4
	s_abs_i32 s8, s7
	s_add_co_i32 s10, s9, s10
	s_mov_b32 s9, s3
	s_mov_b32 s11, s3
	s_mul_i32 s13, s13, s12
	s_wait_alu 0xfffe
	s_mul_u64 s[10:11], s[8:9], s[10:11]
	s_mul_hi_u32 s9, s12, s13
	s_ashr_i32 s16, s6, 31
	s_wait_alu 0xfffe
	s_add_co_i32 s6, s12, s9
	s_mul_i32 s9, s11, s5
	s_ashr_i32 s15, s7, 31
	s_mul_i32 s7, s7, s23
	s_wait_alu 0xfffe
	s_sub_co_i32 s8, s8, s9
	s_sub_co_i32 s22, ttmp9, s7
	s_wait_alu 0xfffe
	s_sub_co_i32 s7, s8, s5
	s_cmp_ge_u32 s8, s5
	s_load_b256 s[52:59], s[0:1], 0x0
	s_cselect_b32 s8, s7, s8
	s_mov_b32 s7, s3
	s_wait_alu 0xfffe
	s_sub_co_i32 s9, s8, s5
	s_cmp_ge_u32 s8, s5
	s_mul_u64 s[6:7], s[2:3], s[6:7]
	s_wait_alu 0xfffe
	s_cselect_b32 s5, s9, s8
	s_clause 0x1
	s_load_b64 s[12:13], s[0:1], 0x98
	s_load_b128 s[8:11], s[0:1], 0x88
	s_xor_b32 s5, s5, s15
	s_xor_b32 s6, s14, s16
	s_sub_co_i32 s28, s5, s15
	s_mul_i32 s5, s7, s4
	s_load_b256 s[36:43], s[0:1], 0xc0
	s_sub_co_i32 s2, s2, s5
	s_add_co_i32 s5, s7, 1
	s_wait_alu 0xfffe
	s_sub_co_i32 s14, s2, s4
	s_cmp_ge_u32 s2, s4
	s_load_b64 s[66:67], s[0:1], 0x20
	s_cselect_b32 s5, s5, s7
	s_cselect_b32 s2, s14, s2
	s_add_co_i32 s7, s5, 1
	s_wait_alu 0xfffe
	s_cmp_ge_u32 s2, s4
	s_wait_kmcnt 0x0
	v_cmp_neq_f64_e64 s68, s[58:59], 0
	s_cselect_b32 s2, s7, s5
	s_ashr_i32 s29, s28, 31
	s_wait_alu 0xfffe
	s_xor_b32 s2, s2, s6
	s_ashr_i32 s23, s22, 31
	s_wait_alu 0xfffe
	s_sub_co_i32 s30, s2, s6
	s_mul_u64 s[4:5], s[12:13], s[28:29]
	s_ashr_i32 s31, s30, 31
	s_mul_u64 s[8:9], s[8:9], s[22:23]
	s_mul_u64 s[6:7], s[10:11], s[30:31]
	s_lshl_b64 s[34:35], s[4:5], 2
	s_lshl_b64 s[62:63], s[6:7], 2
	s_wait_alu 0xfffe
	s_lshl_b64 s[64:65], s[8:9], 2
	s_cmp_gt_i32 s24, 0
	v_cmp_neq_f64_e64 s2, s[56:57], 1.0
	s_load_b512 s[4:19], s[0:1], 0x28
	s_cselect_b32 s33, -1, 0
	s_cmp_gt_i32 s41, 0
	v_cvt_i32_f64_e32 v5, s[56:57]
	v_cvt_i32_f64_e32 v6, s[58:59]
	s_cselect_b32 s43, -1, 0
	s_cmp_gt_i32 s42, 0
	s_load_b256 s[44:51], s[0:1], 0x68
	s_cselect_b32 s60, -1, 0
	s_abs_i32 s61, s26
	s_load_b32 s56, s[0:1], 0xec
	s_cvt_f32_u32 s69, s61
	s_delay_alu instid0(SALU_CYCLE_3)
	v_rcp_iflag_f32_e32 v1, s69
	s_wait_kmcnt 0x0
	s_mul_u64 s[0:1], s[12:13], s[28:29]
	s_mul_u64 s[10:11], s[10:11], s[30:31]
	s_add_nc_u64 s[0:1], s[52:53], s[0:1]
	s_mov_b32 s53, 0
	s_add_nc_u64 s[10:11], s[0:1], s[10:11]
	s_delay_alu instid0(TRANS32_DEP_1)
	v_readfirstlane_b32 s12, v1
	s_add_nc_u64 s[0:1], s[66:67], s[34:35]
	s_mul_u64 s[28:29], s[46:47], s[30:31]
	s_add_nc_u64 s[0:1], s[0:1], s[62:63]
	s_mul_u64 s[22:23], s[44:45], s[22:23]
	s_mul_f32 s12, s12, 0x4f7ffffe
	s_add_nc_u64 s[22:23], s[22:23], s[28:29]
	s_ashr_i32 s46, s26, 31
	s_add_nc_u64 s[22:23], s[54:55], s[22:23]
	s_cvt_u32_f32 s30, s12
	s_add_nc_u64 s[12:13], s[0:1], s[64:65]
	s_sub_co_i32 s0, 0, s61
	s_and_b32 s1, s56, 0xffff
	s_mul_i32 s0, s0, s30
	s_or_b32 s47, s2, s68
	s_mul_hi_u32 s0, s30, s0
	s_delay_alu instid0(SALU_CYCLE_1)
	s_add_co_i32 s52, s30, s0
	s_branch .LBB13_3
.LBB13_2:                               ;   in Loop: Header=BB13_3 Depth=1
	v_add_nc_u32_e32 v0, s1, v0
	s_delay_alu instid0(VALU_DEP_2) | instskip(NEXT) | instid1(VALU_DEP_2)
	v_cvt_f32_i32_e32 v1, v1
	v_cmp_le_i32_e32 vcc_lo, s25, v0
	global_store_b32 v[3:4], v1, off
	s_or_b32 s53, vcc_lo, s53
	s_wait_alu 0xfffe
	s_and_not1_b32 exec_lo, exec_lo, s53
	s_cbranch_execz .LBB13_16
.LBB13_3:                               ; =>This Loop Header: Depth=1
                                        ;     Child Loop BB13_6 Depth 2
                                        ;       Child Loop BB13_9 Depth 3
                                        ;         Child Loop BB13_12 Depth 4
	v_sub_nc_u32_e32 v1, 0, v0
	s_delay_alu instid0(VALU_DEP_1) | instskip(NEXT) | instid1(VALU_DEP_1)
	v_max_i32_e32 v1, v0, v1
	v_mul_hi_u32 v2, v1, s52
	s_delay_alu instid0(VALU_DEP_1) | instskip(NEXT) | instid1(VALU_DEP_1)
	v_mul_lo_u32 v3, v2, s61
	v_sub_nc_u32_e32 v1, v1, v3
	v_add_nc_u32_e32 v3, 1, v2
	s_delay_alu instid0(VALU_DEP_2) | instskip(SKIP_2) | instid1(VALU_DEP_2)
	v_subrev_nc_u32_e32 v4, s61, v1
	v_cmp_le_u32_e32 vcc_lo, s61, v1
	s_wait_alu 0xfffd
	v_dual_cndmask_b32 v2, v2, v3 :: v_dual_cndmask_b32 v1, v1, v4
	v_ashrrev_i32_e32 v3, 31, v0
	s_delay_alu instid0(VALU_DEP_2) | instskip(NEXT) | instid1(VALU_DEP_3)
	v_add_nc_u32_e32 v4, 1, v2
	v_cmp_le_u32_e32 vcc_lo, s61, v1
	s_delay_alu instid0(VALU_DEP_3) | instskip(SKIP_1) | instid1(VALU_DEP_3)
	v_xor_b32_e32 v3, s46, v3
	s_wait_alu 0xfffd
	v_cndmask_b32_e32 v1, v2, v4, vcc_lo
	s_and_not1_b32 vcc_lo, exec_lo, s33
	s_delay_alu instid0(VALU_DEP_1) | instskip(NEXT) | instid1(VALU_DEP_1)
	v_xor_b32_e32 v1, v1, v3
	v_sub_nc_u32_e32 v7, v1, v3
	v_mov_b32_e32 v1, 0
	s_delay_alu instid0(VALU_DEP_2) | instskip(NEXT) | instid1(VALU_DEP_1)
	v_mul_lo_u32 v2, v7, s26
	v_sub_nc_u32_e32 v8, v0, v2
	s_wait_alu 0xfffe
	s_cbranch_vccnz .LBB13_14
; %bb.4:                                ;   in Loop: Header=BB13_3 Depth=1
	v_mul_lo_u32 v1, v7, s27
	s_delay_alu instid0(VALU_DEP_2) | instskip(SKIP_2) | instid1(VALU_DEP_2)
	v_mul_lo_u32 v3, v8, s36
	s_mov_b32 s2, 0
	s_mov_b64 s[28:29], s[22:23]
	v_subrev_nc_u32_e32 v2, s39, v1
	s_delay_alu instid0(VALU_DEP_2)
	v_subrev_nc_u32_e32 v9, s40, v3
	v_mov_b32_e32 v1, 0
	s_branch .LBB13_6
.LBB13_5:                               ;   in Loop: Header=BB13_6 Depth=2
	s_add_co_i32 s2, s2, 1
	s_add_nc_u64 s[28:29], s[28:29], s[18:19]
	s_wait_alu 0xfffe
	s_cmp_eq_u32 s2, s24
	s_cbranch_scc1 .LBB13_14
.LBB13_6:                               ;   Parent Loop BB13_3 Depth=1
                                        ; =>  This Loop Header: Depth=2
                                        ;       Child Loop BB13_9 Depth 3
                                        ;         Child Loop BB13_12 Depth 4
	s_and_not1_b32 vcc_lo, exec_lo, s43
	s_wait_alu 0xfffe
	s_cbranch_vccnz .LBB13_5
; %bb.7:                                ;   in Loop: Header=BB13_6 Depth=2
	s_mul_u64 s[30:31], s[8:9], s[2:3]
	s_mov_b32 s54, 0
	s_wait_alu 0xfffe
	s_add_nc_u64 s[30:31], s[10:11], s[30:31]
	s_mov_b64 s[34:35], s[28:29]
	s_branch .LBB13_9
.LBB13_8:                               ;   in Loop: Header=BB13_9 Depth=3
	s_add_co_i32 s54, s54, 1
	s_add_nc_u64 s[34:35], s[34:35], s[16:17]
	s_wait_alu 0xfffe
	s_cmp_eq_u32 s54, s41
	s_cbranch_scc1 .LBB13_5
.LBB13_9:                               ;   Parent Loop BB13_3 Depth=1
                                        ;     Parent Loop BB13_6 Depth=2
                                        ; =>    This Loop Header: Depth=3
                                        ;         Child Loop BB13_12 Depth 4
	s_and_not1_b32 vcc_lo, exec_lo, s60
	s_wait_alu 0xfffe
	s_cbranch_vccnz .LBB13_8
; %bb.10:                               ;   in Loop: Header=BB13_9 Depth=3
	v_mad_co_u64_u32 v[10:11], null, s54, s37, v[2:3]
	s_mov_b64 s[44:45], s[34:35]
	s_mov_b32 s56, s42
	v_mad_co_u64_u32 v[3:4], null, s6, v10, s[30:31]
	v_cmp_gt_i32_e32 vcc_lo, 0, v10
	v_cmp_le_i32_e64 s0, s20, v10
	s_or_b32 s55, vcc_lo, s0
	v_mad_co_u64_u32 v[11:12], null, s7, v10, v[4:5]
	v_mov_b32_e32 v10, v9
	s_delay_alu instid0(VALU_DEP_2)
	v_mov_b32_e32 v4, v11
	s_branch .LBB13_12
.LBB13_11:                              ;   in Loop: Header=BB13_12 Depth=4
	s_wait_alu 0xfffe
	s_or_b32 exec_lo, exec_lo, s0
	v_add_nc_u32_e32 v10, s38, v10
	s_add_co_i32 s56, s56, -1
	s_add_nc_u64 s[44:45], s[44:45], s[14:15]
	s_wait_alu 0xfffe
	s_cmp_eq_u32 s56, 0
	s_cbranch_scc1 .LBB13_8
.LBB13_12:                              ;   Parent Loop BB13_3 Depth=1
                                        ;     Parent Loop BB13_6 Depth=2
                                        ;       Parent Loop BB13_9 Depth=3
                                        ; =>      This Inner Loop Header: Depth=4
	s_delay_alu instid0(VALU_DEP_2)
	v_cmp_gt_i32_e32 vcc_lo, 0, v10
	v_cmp_le_i32_e64 s0, s21, v10
	s_or_b32 s0, vcc_lo, s0
	s_wait_alu 0xfffe
	s_nor_b32 s57, s55, s0
	s_wait_alu 0xfffe
	s_and_saveexec_b32 s0, s57
	s_cbranch_execz .LBB13_11
; %bb.13:                               ;   in Loop: Header=BB13_12 Depth=4
	v_mad_co_u64_u32 v[11:12], null, s4, v10, v[3:4]
	s_load_i8 s57, s[44:45], 0x0
	v_mad_co_u64_u32 v[12:13], null, s5, v10, v[12:13]
	global_load_i8 v11, v[11:12], off
	s_wait_loadcnt 0x0
	s_wait_kmcnt 0x0
	v_mad_i32_i24 v1, s57, v11, v1
	s_branch .LBB13_11
.LBB13_14:                              ;   in Loop: Header=BB13_3 Depth=1
	s_delay_alu instid0(VALU_DEP_1) | instskip(SKIP_3) | instid1(VALU_DEP_4)
	v_ashrrev_i32_e32 v4, 31, v8
	v_ashrrev_i32_e32 v9, 31, v7
	v_mul_lo_u32 v10, s49, v8
	v_mad_co_u64_u32 v[2:3], null, s48, v8, 0
	v_mul_lo_u32 v4, s48, v4
	v_mul_lo_u32 v11, s51, v7
	v_mad_co_u64_u32 v[7:8], null, s50, v7, 0
	v_mul_lo_u32 v9, s50, v9
	s_delay_alu instid0(VALU_DEP_4) | instskip(NEXT) | instid1(VALU_DEP_2)
	v_add3_u32 v3, v3, v4, v10
	v_add3_u32 v8, v8, v9, v11
	s_delay_alu instid0(VALU_DEP_2) | instskip(NEXT) | instid1(VALU_DEP_2)
	v_lshlrev_b64_e32 v[2:3], 2, v[2:3]
	v_lshlrev_b64_e32 v[7:8], 2, v[7:8]
	s_delay_alu instid0(VALU_DEP_2) | instskip(SKIP_1) | instid1(VALU_DEP_3)
	v_add_co_u32 v2, vcc_lo, s12, v2
	s_wait_alu 0xfffd
	v_add_co_ci_u32_e64 v4, null, s13, v3, vcc_lo
	s_delay_alu instid0(VALU_DEP_2) | instskip(SKIP_1) | instid1(VALU_DEP_2)
	v_add_co_u32 v3, vcc_lo, v2, v7
	s_wait_alu 0xfffd
	v_add_co_ci_u32_e64 v4, null, v4, v8, vcc_lo
	s_and_not1_b32 vcc_lo, exec_lo, s47
	s_wait_alu 0xfffe
	s_cbranch_vccnz .LBB13_2
; %bb.15:                               ;   in Loop: Header=BB13_3 Depth=1
	global_load_b32 v2, v[3:4], off
	v_mul_lo_u32 v1, v1, v5
	s_wait_loadcnt 0x0
	v_cvt_i32_f32_e32 v2, v2
	s_delay_alu instid0(VALU_DEP_1)
	v_mad_co_u64_u32 v[1:2], null, v2, v6, v[1:2]
	s_branch .LBB13_2
.LBB13_16:
	s_endpgm
	.section	.rodata,"a",@progbits
	.p2align	6, 0x0
	.amdhsa_kernel naive_conv_ab_nonpacked_fwd_nchw_int8_t_int32_t_float_0
		.amdhsa_group_segment_fixed_size 0
		.amdhsa_private_segment_fixed_size 0
		.amdhsa_kernarg_size 480
		.amdhsa_user_sgpr_count 2
		.amdhsa_user_sgpr_dispatch_ptr 0
		.amdhsa_user_sgpr_queue_ptr 0
		.amdhsa_user_sgpr_kernarg_segment_ptr 1
		.amdhsa_user_sgpr_dispatch_id 0
		.amdhsa_user_sgpr_private_segment_size 0
		.amdhsa_wavefront_size32 1
		.amdhsa_uses_dynamic_stack 0
		.amdhsa_enable_private_segment 0
		.amdhsa_system_sgpr_workgroup_id_x 1
		.amdhsa_system_sgpr_workgroup_id_y 0
		.amdhsa_system_sgpr_workgroup_id_z 0
		.amdhsa_system_sgpr_workgroup_info 0
		.amdhsa_system_vgpr_workitem_id 0
		.amdhsa_next_free_vgpr 14
		.amdhsa_next_free_sgpr 70
		.amdhsa_reserve_vcc 1
		.amdhsa_float_round_mode_32 0
		.amdhsa_float_round_mode_16_64 0
		.amdhsa_float_denorm_mode_32 3
		.amdhsa_float_denorm_mode_16_64 3
		.amdhsa_fp16_overflow 0
		.amdhsa_workgroup_processor_mode 1
		.amdhsa_memory_ordered 1
		.amdhsa_forward_progress 1
		.amdhsa_inst_pref_size 12
		.amdhsa_round_robin_scheduling 0
		.amdhsa_exception_fp_ieee_invalid_op 0
		.amdhsa_exception_fp_denorm_src 0
		.amdhsa_exception_fp_ieee_div_zero 0
		.amdhsa_exception_fp_ieee_overflow 0
		.amdhsa_exception_fp_ieee_underflow 0
		.amdhsa_exception_fp_ieee_inexact 0
		.amdhsa_exception_int_div_zero 0
	.end_amdhsa_kernel
	.text
.Lfunc_end13:
	.size	naive_conv_ab_nonpacked_fwd_nchw_int8_t_int32_t_float_0, .Lfunc_end13-naive_conv_ab_nonpacked_fwd_nchw_int8_t_int32_t_float_0
                                        ; -- End function
	.set naive_conv_ab_nonpacked_fwd_nchw_int8_t_int32_t_float_0.num_vgpr, 14
	.set naive_conv_ab_nonpacked_fwd_nchw_int8_t_int32_t_float_0.num_agpr, 0
	.set naive_conv_ab_nonpacked_fwd_nchw_int8_t_int32_t_float_0.numbered_sgpr, 70
	.set naive_conv_ab_nonpacked_fwd_nchw_int8_t_int32_t_float_0.num_named_barrier, 0
	.set naive_conv_ab_nonpacked_fwd_nchw_int8_t_int32_t_float_0.private_seg_size, 0
	.set naive_conv_ab_nonpacked_fwd_nchw_int8_t_int32_t_float_0.uses_vcc, 1
	.set naive_conv_ab_nonpacked_fwd_nchw_int8_t_int32_t_float_0.uses_flat_scratch, 0
	.set naive_conv_ab_nonpacked_fwd_nchw_int8_t_int32_t_float_0.has_dyn_sized_stack, 0
	.set naive_conv_ab_nonpacked_fwd_nchw_int8_t_int32_t_float_0.has_recursion, 0
	.set naive_conv_ab_nonpacked_fwd_nchw_int8_t_int32_t_float_0.has_indirect_call, 0
	.section	.AMDGPU.csdata,"",@progbits
; Kernel info:
; codeLenInByte = 1460
; TotalNumSgprs: 72
; NumVgprs: 14
; ScratchSize: 0
; MemoryBound: 0
; FloatMode: 240
; IeeeMode: 1
; LDSByteSize: 0 bytes/workgroup (compile time only)
; SGPRBlocks: 0
; VGPRBlocks: 1
; NumSGPRsForWavesPerEU: 72
; NumVGPRsForWavesPerEU: 14
; Occupancy: 16
; WaveLimiterHint : 0
; COMPUTE_PGM_RSRC2:SCRATCH_EN: 0
; COMPUTE_PGM_RSRC2:USER_SGPR: 2
; COMPUTE_PGM_RSRC2:TRAP_HANDLER: 0
; COMPUTE_PGM_RSRC2:TGID_X_EN: 1
; COMPUTE_PGM_RSRC2:TGID_Y_EN: 0
; COMPUTE_PGM_RSRC2:TGID_Z_EN: 0
; COMPUTE_PGM_RSRC2:TIDIG_COMP_CNT: 0
	.text
	.protected	naive_conv_ab_packed_fwd_nhwc_float_double_float_0 ; -- Begin function naive_conv_ab_packed_fwd_nhwc_float_double_float_0
	.globl	naive_conv_ab_packed_fwd_nhwc_float_double_float_0
	.p2align	8
	.type	naive_conv_ab_packed_fwd_nhwc_float_double_float_0,@function
naive_conv_ab_packed_fwd_nhwc_float_double_float_0: ; @naive_conv_ab_packed_fwd_nhwc_float_double_float_0
; %bb.0:
	s_load_b512 s[4:19], s[0:1], 0xa0
	s_abs_i32 s21, ttmp9
	s_mov_b32 s29, 0
	s_wait_kmcnt 0x0
	s_abs_i32 s2, s9
	s_delay_alu instid0(SALU_CYCLE_1) | instskip(SKIP_1) | instid1(SALU_CYCLE_2)
	s_cvt_f32_u32 s3, s2
	s_sub_co_i32 s20, 0, s2
	v_rcp_iflag_f32_e32 v1, s3
	s_delay_alu instid0(TRANS32_DEP_1) | instskip(SKIP_2) | instid1(SALU_CYCLE_2)
	v_readfirstlane_b32 s3, v1
	s_mul_f32 s3, s3, 0x4f7ffffe
	s_wait_alu 0xfffe
	s_cvt_u32_f32 s3, s3
	s_wait_alu 0xfffe
	s_delay_alu instid0(SALU_CYCLE_2) | instskip(NEXT) | instid1(SALU_CYCLE_1)
	s_mul_i32 s20, s20, s3
	s_mul_hi_u32 s20, s3, s20
	s_delay_alu instid0(SALU_CYCLE_1) | instskip(SKIP_4) | instid1(SALU_CYCLE_1)
	s_add_co_i32 s3, s3, s20
	s_wait_alu 0xfffe
	s_mul_hi_u32 s3, s21, s3
	s_wait_alu 0xfffe
	s_mul_i32 s20, s3, s2
	s_sub_co_i32 s20, s21, s20
	s_add_co_i32 s21, s3, 1
	s_sub_co_i32 s22, s20, s2
	s_cmp_ge_u32 s20, s2
	s_cselect_b32 s3, s21, s3
	s_cselect_b32 s20, s22, s20
	s_wait_alu 0xfffe
	s_add_co_i32 s21, s3, 1
	s_cmp_ge_u32 s20, s2
	s_cselect_b32 s28, s21, s3
	s_abs_i32 s3, s6
	s_mov_b32 s21, exec_lo
	s_wait_alu 0xfffe
	s_cvt_f32_u32 s2, s3
	s_wait_alu 0xfffe
	s_delay_alu instid0(SALU_CYCLE_2) | instskip(SKIP_3) | instid1(TRANS32_DEP_1)
	v_rcp_iflag_f32_e32 v1, s2
	s_mul_i32 s2, s19, s7
	s_wait_alu 0xfffe
	s_mul_i32 s6, s2, s10
	v_readfirstlane_b32 s20, v1
	v_cmpx_gt_i32_e64 s6, v0
	s_cbranch_execz .LBB14_18
; %bb.1:
	s_mul_f32 s30, s20, 0x4f7ffffe
	s_xor_b32 s31, ttmp9, s9
	s_sub_co_i32 s33, 0, s3
	s_ashr_i32 s34, s31, 31
	s_cvt_u32_f32 s30, s30
	s_xor_b32 s28, s28, s34
	s_mov_b32 s31, s29
	s_sub_co_i32 s34, s28, s34
	s_mul_i32 s33, s33, s30
	s_abs_i32 s28, s34
	s_mul_hi_u32 s33, s30, s33
	s_load_b256 s[20:27], s[0:1], 0x0
	s_add_co_i32 s30, s30, s33
	s_mul_i32 s33, s19, s8
	s_mul_u64 s[30:31], s[28:29], s[30:31]
	s_ashr_i32 s19, s34, 31
	s_mul_i32 s30, s31, s3
	s_mul_i32 s34, s34, s9
	s_sub_co_i32 s28, s28, s30
	s_sub_co_i32 s34, ttmp9, s34
	s_sub_co_i32 s31, s28, s3
	s_cmp_ge_u32 s28, s3
	s_mov_b32 s40, s10
	s_cselect_b32 s28, s31, s28
	s_mov_b32 s38, s9
	s_sub_co_i32 s31, s28, s3
	s_cmp_ge_u32 s28, s3
	s_mov_b32 s30, s4
	s_cselect_b32 s3, s31, s28
	s_ashr_i32 s41, s10, 31
	s_wait_alu 0xfffe
	s_xor_b32 s3, s3, s19
	s_wait_kmcnt 0x0
	v_cmp_neq_f64_e64 s28, s[24:25], 1.0
	s_wait_alu 0xfffe
	s_sub_co_i32 s42, s3, s19
	v_cmp_neq_f64_e64 s10, s[26:27], 0
	s_ashr_i32 s39, s9, 31
	s_ashr_i32 s43, s42, 31
	;; [unrolled: 1-line block ×3, first 2 shown]
	s_mul_u64 s[38:39], s[42:43], s[38:39]
	s_ashr_i32 s35, s34, 31
	s_wait_alu 0xfffe
	s_mul_u64 s[40:41], s[2:3], s[40:41]
	s_add_nc_u64 s[38:39], s[38:39], s[34:35]
	s_ashr_i32 s31, s4, 31
	s_mul_u64 s[38:39], s[40:41], s[38:39]
	s_ashr_i32 s35, s5, 31
	s_ashr_i32 s44, s33, 31
	s_lshl_b64 s[38:39], s[38:39], 2
	s_cmp_lt_i32 s17, 1
	s_mul_i32 s4, s34, s11
	s_cselect_b32 s45, -1, 0
	s_sub_co_i32 s15, s4, s15
	s_load_b64 s[36:37], s[0:1], 0x20
	s_cmp_gt_i32 s18, 0
	s_load_b32 s0, s[0:1], 0xec
	s_cselect_b32 s46, -1, 0
	s_cmp_gt_i32 s8, 0
	s_mov_b32 s34, s5
	s_cselect_b32 s1, -1, 0
	s_abs_i32 s47, s2
	s_abs_i32 s48, s7
	s_cvt_f32_u32 s9, s47
	s_cvt_f32_u32 s11, s48
	s_mul_u64 s[4:5], s[34:35], s[30:31]
	s_ashr_i32 s19, s18, 31
	v_rcp_iflag_f32_e32 v1, s9
	v_rcp_iflag_f32_e32 v2, s11
	s_mul_u64 s[42:43], s[4:5], s[42:43]
	s_ashr_i32 s9, s8, 31
	s_mov_b32 s40, s17
	s_ashr_i32 s41, s17, 31
	s_wait_alu 0xfffe
	s_mul_u64 s[52:53], s[18:19], s[8:9]
	s_wait_kmcnt 0x0
	s_add_nc_u64 s[4:5], s[36:37], s[38:39]
	s_or_b32 s51, s28, s10
	s_and_b32 s50, s0, 0xffff
	v_readfirstlane_b32 s11, v1
	v_readfirstlane_b32 s36, v2
	s_sub_co_i32 s28, 0, s47
	s_mul_u64 s[38:39], s[52:53], s[40:41]
	s_mov_b32 s31, s7
	s_mul_f32 s0, s11, 0x4f7ffffe
	s_mul_f32 s10, s36, 0x4f7ffffe
	s_sub_co_i32 s36, 0, s48
	s_ashr_i32 s49, s7, 31
	s_cvt_u32_f32 s0, s0
	s_wait_alu 0xfffe
	s_cvt_u32_f32 s37, s10
	s_lshl_b64 s[10:11], s[8:9], 2
	s_lshl_b64 s[38:39], s[38:39], 2
	s_mul_i32 s28, s28, s0
	s_mul_i32 s36, s36, s37
	s_mul_hi_u32 s9, s0, s28
	s_mul_hi_u32 s19, s37, s36
	s_wait_alu 0xfffe
	s_add_co_i32 s9, s0, s9
	s_add_co_i32 s19, s37, s19
	s_lshl_b64 s[36:37], s[42:43], 2
	s_lshl_b64 s[40:41], s[52:53], 2
	s_mov_b32 s52, 0
	s_branch .LBB14_3
.LBB14_2:                               ;   in Loop: Header=BB14_3 Depth=1
	s_delay_alu instid0(VALU_DEP_1) | instskip(SKIP_1) | instid1(VALU_DEP_1)
	v_cvt_f32_f64_e32 v3, v[5:6]
	v_add_nc_u32_e32 v0, s50, v0
	v_cmp_le_i32_e32 vcc_lo, s6, v0
	s_or_b32 s52, vcc_lo, s52
	global_store_b32 v[1:2], v3, off
	s_and_not1_b32 exec_lo, exec_lo, s52
	s_cbranch_execz .LBB14_18
.LBB14_3:                               ; =>This Loop Header: Depth=1
                                        ;     Child Loop BB14_8 Depth 2
                                        ;       Child Loop BB14_11 Depth 3
                                        ;         Child Loop BB14_14 Depth 4
	v_sub_nc_u32_e32 v1, 0, v0
	s_mov_b32 s0, -1
	s_delay_alu instid0(VALU_DEP_1) | instskip(SKIP_1) | instid1(VALU_DEP_1)
	v_max_i32_e32 v1, v0, v1
	s_wait_alu 0xfffe
	v_mul_hi_u32 v2, v1, s9
	s_delay_alu instid0(VALU_DEP_1) | instskip(NEXT) | instid1(VALU_DEP_1)
	v_mul_lo_u32 v3, v2, s47
	v_sub_nc_u32_e32 v1, v1, v3
	v_add_nc_u32_e32 v3, 1, v2
	s_delay_alu instid0(VALU_DEP_2) | instskip(SKIP_2) | instid1(VALU_DEP_2)
	v_subrev_nc_u32_e32 v4, s47, v1
	v_cmp_le_u32_e32 vcc_lo, s47, v1
	s_wait_alu 0xfffd
	v_dual_cndmask_b32 v2, v2, v3 :: v_dual_cndmask_b32 v1, v1, v4
	v_ashrrev_i32_e32 v3, 31, v0
	s_delay_alu instid0(VALU_DEP_2) | instskip(NEXT) | instid1(VALU_DEP_3)
	v_add_nc_u32_e32 v4, 1, v2
	v_cmp_le_u32_e32 vcc_lo, s47, v1
	s_delay_alu instid0(VALU_DEP_3) | instskip(SKIP_1) | instid1(VALU_DEP_3)
	v_xor_b32_e32 v3, s3, v3
	s_wait_alu 0xfffd
	v_cndmask_b32_e32 v1, v2, v4, vcc_lo
	s_delay_alu instid0(VALU_DEP_1) | instskip(NEXT) | instid1(VALU_DEP_1)
	v_xor_b32_e32 v1, v1, v3
	v_sub_nc_u32_e32 v18, v1, v3
	s_delay_alu instid0(VALU_DEP_1) | instskip(NEXT) | instid1(VALU_DEP_1)
	v_mul_lo_u32 v1, v18, s2
	v_sub_nc_u32_e32 v7, v0, v1
	s_delay_alu instid0(VALU_DEP_1) | instskip(SKIP_1) | instid1(VALU_DEP_2)
	v_sub_nc_u32_e32 v1, 0, v7
	v_ashrrev_i32_e32 v8, 31, v7
	v_max_i32_e32 v1, v7, v1
	s_delay_alu instid0(VALU_DEP_1) | instskip(NEXT) | instid1(VALU_DEP_1)
	v_mul_hi_u32 v2, v1, s19
	v_mul_lo_u32 v3, v2, s48
	s_delay_alu instid0(VALU_DEP_1) | instskip(SKIP_1) | instid1(VALU_DEP_2)
	v_sub_nc_u32_e32 v1, v1, v3
	v_add_nc_u32_e32 v3, 1, v2
	v_subrev_nc_u32_e32 v4, s48, v1
	v_cmp_le_u32_e32 vcc_lo, s48, v1
	s_wait_alu 0xfffd
	s_delay_alu instid0(VALU_DEP_2) | instskip(SKIP_1) | instid1(VALU_DEP_2)
	v_dual_cndmask_b32 v2, v2, v3 :: v_dual_cndmask_b32 v1, v1, v4
	v_xor_b32_e32 v4, s49, v8
	v_add_nc_u32_e32 v3, 1, v2
	s_delay_alu instid0(VALU_DEP_3) | instskip(SKIP_1) | instid1(VALU_DEP_2)
	v_cmp_le_u32_e32 vcc_lo, s48, v1
	s_wait_alu 0xfffd
	v_cndmask_b32_e32 v1, v2, v3, vcc_lo
	s_and_not1_b32 vcc_lo, exec_lo, s45
	s_delay_alu instid0(VALU_DEP_1) | instskip(NEXT) | instid1(VALU_DEP_1)
	v_xor_b32_e32 v1, v1, v4
	v_sub_nc_u32_e32 v9, v1, v4
                                        ; implicit-def: $vgpr3_vgpr4
	s_delay_alu instid0(VALU_DEP_1) | instskip(NEXT) | instid1(VALU_DEP_1)
	v_mul_lo_u32 v10, v9, s7
	v_sub_nc_u32_e32 v1, v7, v10
	s_delay_alu instid0(VALU_DEP_1)
	v_ashrrev_i32_e32 v2, 31, v1
	s_wait_alu 0xfffe
	s_cbranch_vccnz .LBB14_5
; %bb.4:                                ;   in Loop: Header=BB14_3 Depth=1
	v_mad_co_i64_i32 v[3:4], null, v9, s31, 0
	s_mov_b32 s0, 0
.LBB14_5:                               ;   in Loop: Header=BB14_3 Depth=1
	v_mov_b32_e32 v5, 0
	v_mov_b32_e32 v6, 0
	s_wait_alu 0xfffe
	s_and_not1_b32 vcc_lo, exec_lo, s0
	s_wait_alu 0xfffe
	s_cbranch_vccnz .LBB14_16
; %bb.6:                                ;   in Loop: Header=BB14_3 Depth=1
	v_mad_co_i64_i32 v[3:4], null, v9, s31, 0
	v_ashrrev_i32_e32 v6, 31, v10
	v_ashrrev_i32_e32 v11, 31, v9
	v_mul_lo_u32 v5, v18, s12
	v_mul_lo_u32 v12, s11, v9
	s_mov_b32 s53, 0
	s_mov_b32 s28, s15
	v_add_co_u32 v7, vcc_lo, v3, v7
	s_wait_alu 0xfffd
	v_add_co_ci_u32_e64 v8, null, v4, v8, vcc_lo
	v_mul_lo_u32 v13, s10, v11
	s_delay_alu instid0(VALU_DEP_3) | instskip(SKIP_1) | instid1(VALU_DEP_3)
	v_sub_co_u32 v10, vcc_lo, v7, v10
	s_wait_alu 0xfffd
	v_sub_co_ci_u32_e64 v6, null, v8, v6, vcc_lo
	v_mad_co_u64_u32 v[7:8], null, s10, v9, s[20:21]
	s_delay_alu instid0(VALU_DEP_3) | instskip(NEXT) | instid1(VALU_DEP_3)
	v_mul_lo_u32 v15, s39, v10
	v_mul_lo_u32 v14, s38, v6
	v_mad_co_u64_u32 v[9:10], null, s38, v10, s[22:23]
	v_subrev_nc_u32_e32 v11, s16, v5
	v_mov_b32_e32 v5, 0
	v_add3_u32 v8, v12, v8, v13
	v_mov_b32_e32 v6, 0
	v_add3_u32 v10, v15, v10, v14
	s_branch .LBB14_8
.LBB14_7:                               ;   in Loop: Header=BB14_8 Depth=2
	v_add_co_u32 v9, vcc_lo, v9, s40
	s_wait_alu 0xfffd
	v_add_co_ci_u32_e64 v10, null, s41, v10, vcc_lo
	s_add_co_i32 s53, s53, 1
	s_add_co_i32 s28, s28, s13
	s_cmp_eq_u32 s53, s17
	s_cbranch_scc1 .LBB14_16
.LBB14_8:                               ;   Parent Loop BB14_3 Depth=1
                                        ; =>  This Loop Header: Depth=2
                                        ;       Child Loop BB14_11 Depth 3
                                        ;         Child Loop BB14_14 Depth 4
	s_and_not1_b32 vcc_lo, exec_lo, s46
	s_wait_alu 0xfffe
	s_cbranch_vccnz .LBB14_7
; %bb.9:                                ;   in Loop: Header=BB14_8 Depth=2
	s_mul_i32 s0, s53, s13
	v_dual_mov_b32 v13, v10 :: v_dual_mov_b32 v12, v9
	s_wait_alu 0xfffe
	s_add_co_i32 s0, s0, s15
	v_mov_b32_e32 v19, v11
	s_wait_alu 0xfffe
	s_cmp_lt_i32 s0, 0
	s_mul_u64 s[42:43], s[34:35], s[28:29]
	s_cselect_b32 s55, -1, 0
	s_cmp_ge_i32 s0, s30
	s_mov_b32 s54, 0
	s_cselect_b32 s0, -1, 0
	s_wait_alu 0xfffe
	s_or_b32 s55, s55, s0
	s_branch .LBB14_11
.LBB14_10:                              ;   in Loop: Header=BB14_11 Depth=3
	v_add_co_u32 v12, vcc_lo, v12, s10
	v_add_nc_u32_e32 v19, s14, v19
	s_wait_alu 0xfffd
	v_add_co_ci_u32_e64 v13, null, s11, v13, vcc_lo
	s_add_co_i32 s54, s54, 1
	s_wait_alu 0xfffe
	s_cmp_eq_u32 s54, s18
	s_cbranch_scc1 .LBB14_7
.LBB14_11:                              ;   Parent Loop BB14_3 Depth=1
                                        ;     Parent Loop BB14_8 Depth=2
                                        ; =>    This Loop Header: Depth=3
                                        ;         Child Loop BB14_14 Depth 4
	s_and_not1_b32 vcc_lo, exec_lo, s1
	s_wait_alu 0xfffe
	s_cbranch_vccnz .LBB14_10
; %bb.12:                               ;   in Loop: Header=BB14_11 Depth=3
	v_add_co_u32 v14, s0, s42, v19
	s_wait_alu 0xf1ff
	v_add_co_ci_u32_e64 v15, null, s43, 0, s0
	v_mad_co_u64_u32 v[16:17], null, s54, s14, v[11:12]
	s_mov_b32 s56, s8
	v_lshlrev_b64_e32 v[14:15], 2, v[14:15]
	v_cmp_le_i32_e64 s0, s34, v16
	s_delay_alu instid0(VALU_DEP_2) | instskip(SKIP_1) | instid1(VALU_DEP_3)
	v_add_co_u32 v14, vcc_lo, s36, v14
	s_wait_alu 0xfffd
	v_add_co_ci_u32_e64 v15, null, s37, v15, vcc_lo
	v_cmp_gt_i32_e32 vcc_lo, 0, v16
	s_delay_alu instid0(VALU_DEP_3) | instskip(NEXT) | instid1(VALU_DEP_3)
	v_mul_lo_u32 v20, s44, v14
	v_mul_lo_u32 v17, s33, v15
	v_mad_co_u64_u32 v[14:15], null, s33, v14, v[7:8]
	s_or_b32 s0, vcc_lo, s0
	s_wait_alu 0xfffe
	s_nor_b32 s0, s55, s0
	v_add3_u32 v15, v20, v15, v17
	v_dual_mov_b32 v17, v13 :: v_dual_mov_b32 v16, v12
	s_branch .LBB14_14
.LBB14_13:                              ;   in Loop: Header=BB14_14 Depth=4
	s_or_b32 exec_lo, exec_lo, s57
	v_add_co_u32 v14, vcc_lo, v14, 4
	s_wait_alu 0xfffd
	v_add_co_ci_u32_e64 v15, null, 0, v15, vcc_lo
	v_add_co_u32 v16, vcc_lo, v16, 4
	s_wait_alu 0xfffd
	v_add_co_ci_u32_e64 v17, null, 0, v17, vcc_lo
	s_add_co_i32 s56, s56, -1
	s_delay_alu instid0(SALU_CYCLE_1)
	s_cmp_eq_u32 s56, 0
	s_cbranch_scc1 .LBB14_10
.LBB14_14:                              ;   Parent Loop BB14_3 Depth=1
                                        ;     Parent Loop BB14_8 Depth=2
                                        ;       Parent Loop BB14_11 Depth=3
                                        ; =>      This Inner Loop Header: Depth=4
	s_wait_alu 0xfffe
	s_and_saveexec_b32 s57, s0
	s_cbranch_execz .LBB14_13
; %bb.15:                               ;   in Loop: Header=BB14_14 Depth=4
	global_load_b32 v20, v[14:15], off
	global_load_b32 v22, v[16:17], off
	s_wait_loadcnt 0x1
	v_cvt_f64_f32_e32 v[20:21], v20
	s_wait_loadcnt 0x0
	v_cvt_f64_f32_e32 v[22:23], v22
	s_delay_alu instid0(VALU_DEP_1)
	v_fma_f64 v[5:6], v[20:21], v[22:23], v[5:6]
	s_branch .LBB14_13
.LBB14_16:                              ;   in Loop: Header=BB14_3 Depth=1
	v_mad_co_i64_i32 v[7:8], null, v18, s2, 0
	v_lshlrev_b64_e32 v[3:4], 2, v[3:4]
	v_lshlrev_b64_e32 v[1:2], 2, v[1:2]
	s_delay_alu instid0(VALU_DEP_3) | instskip(NEXT) | instid1(VALU_DEP_1)
	v_lshlrev_b64_e32 v[7:8], 2, v[7:8]
	v_add_co_u32 v7, vcc_lo, s4, v7
	s_wait_alu 0xfffd
	s_delay_alu instid0(VALU_DEP_2) | instskip(NEXT) | instid1(VALU_DEP_2)
	v_add_co_ci_u32_e64 v8, null, s5, v8, vcc_lo
	v_add_co_u32 v3, vcc_lo, v7, v3
	s_wait_alu 0xfffd
	s_delay_alu instid0(VALU_DEP_2) | instskip(NEXT) | instid1(VALU_DEP_2)
	v_add_co_ci_u32_e64 v4, null, v8, v4, vcc_lo
	v_add_co_u32 v1, vcc_lo, v3, v1
	s_wait_alu 0xfffd
	s_delay_alu instid0(VALU_DEP_2)
	v_add_co_ci_u32_e64 v2, null, v4, v2, vcc_lo
	s_and_not1_b32 vcc_lo, exec_lo, s51
	s_wait_alu 0xfffe
	s_cbranch_vccnz .LBB14_2
; %bb.17:                               ;   in Loop: Header=BB14_3 Depth=1
	global_load_b32 v3, v[1:2], off
	s_wait_loadcnt 0x0
	v_cvt_f64_f32_e32 v[3:4], v3
	s_delay_alu instid0(VALU_DEP_1) | instskip(NEXT) | instid1(VALU_DEP_1)
	v_mul_f64_e32 v[3:4], s[26:27], v[3:4]
	v_fma_f64 v[5:6], s[24:25], v[5:6], v[3:4]
	s_branch .LBB14_2
.LBB14_18:
	s_endpgm
	.section	.rodata,"a",@progbits
	.p2align	6, 0x0
	.amdhsa_kernel naive_conv_ab_packed_fwd_nhwc_float_double_float_0
		.amdhsa_group_segment_fixed_size 0
		.amdhsa_private_segment_fixed_size 0
		.amdhsa_kernarg_size 480
		.amdhsa_user_sgpr_count 2
		.amdhsa_user_sgpr_dispatch_ptr 0
		.amdhsa_user_sgpr_queue_ptr 0
		.amdhsa_user_sgpr_kernarg_segment_ptr 1
		.amdhsa_user_sgpr_dispatch_id 0
		.amdhsa_user_sgpr_private_segment_size 0
		.amdhsa_wavefront_size32 1
		.amdhsa_uses_dynamic_stack 0
		.amdhsa_enable_private_segment 0
		.amdhsa_system_sgpr_workgroup_id_x 1
		.amdhsa_system_sgpr_workgroup_id_y 0
		.amdhsa_system_sgpr_workgroup_id_z 0
		.amdhsa_system_sgpr_workgroup_info 0
		.amdhsa_system_vgpr_workitem_id 0
		.amdhsa_next_free_vgpr 24
		.amdhsa_next_free_sgpr 58
		.amdhsa_reserve_vcc 1
		.amdhsa_float_round_mode_32 0
		.amdhsa_float_round_mode_16_64 0
		.amdhsa_float_denorm_mode_32 3
		.amdhsa_float_denorm_mode_16_64 3
		.amdhsa_fp16_overflow 0
		.amdhsa_workgroup_processor_mode 1
		.amdhsa_memory_ordered 1
		.amdhsa_forward_progress 1
		.amdhsa_inst_pref_size 14
		.amdhsa_round_robin_scheduling 0
		.amdhsa_exception_fp_ieee_invalid_op 0
		.amdhsa_exception_fp_denorm_src 0
		.amdhsa_exception_fp_ieee_div_zero 0
		.amdhsa_exception_fp_ieee_overflow 0
		.amdhsa_exception_fp_ieee_underflow 0
		.amdhsa_exception_fp_ieee_inexact 0
		.amdhsa_exception_int_div_zero 0
	.end_amdhsa_kernel
	.text
.Lfunc_end14:
	.size	naive_conv_ab_packed_fwd_nhwc_float_double_float_0, .Lfunc_end14-naive_conv_ab_packed_fwd_nhwc_float_double_float_0
                                        ; -- End function
	.set naive_conv_ab_packed_fwd_nhwc_float_double_float_0.num_vgpr, 24
	.set naive_conv_ab_packed_fwd_nhwc_float_double_float_0.num_agpr, 0
	.set naive_conv_ab_packed_fwd_nhwc_float_double_float_0.numbered_sgpr, 58
	.set naive_conv_ab_packed_fwd_nhwc_float_double_float_0.num_named_barrier, 0
	.set naive_conv_ab_packed_fwd_nhwc_float_double_float_0.private_seg_size, 0
	.set naive_conv_ab_packed_fwd_nhwc_float_double_float_0.uses_vcc, 1
	.set naive_conv_ab_packed_fwd_nhwc_float_double_float_0.uses_flat_scratch, 0
	.set naive_conv_ab_packed_fwd_nhwc_float_double_float_0.has_dyn_sized_stack, 0
	.set naive_conv_ab_packed_fwd_nhwc_float_double_float_0.has_recursion, 0
	.set naive_conv_ab_packed_fwd_nhwc_float_double_float_0.has_indirect_call, 0
	.section	.AMDGPU.csdata,"",@progbits
; Kernel info:
; codeLenInByte = 1740
; TotalNumSgprs: 60
; NumVgprs: 24
; ScratchSize: 0
; MemoryBound: 0
; FloatMode: 240
; IeeeMode: 1
; LDSByteSize: 0 bytes/workgroup (compile time only)
; SGPRBlocks: 0
; VGPRBlocks: 2
; NumSGPRsForWavesPerEU: 60
; NumVGPRsForWavesPerEU: 24
; Occupancy: 16
; WaveLimiterHint : 0
; COMPUTE_PGM_RSRC2:SCRATCH_EN: 0
; COMPUTE_PGM_RSRC2:USER_SGPR: 2
; COMPUTE_PGM_RSRC2:TRAP_HANDLER: 0
; COMPUTE_PGM_RSRC2:TGID_X_EN: 1
; COMPUTE_PGM_RSRC2:TGID_Y_EN: 0
; COMPUTE_PGM_RSRC2:TGID_Z_EN: 0
; COMPUTE_PGM_RSRC2:TIDIG_COMP_CNT: 0
	.text
	.protected	naive_conv_ab_nonpacked_fwd_nhwc_float_double_float_0 ; -- Begin function naive_conv_ab_nonpacked_fwd_nhwc_float_double_float_0
	.globl	naive_conv_ab_nonpacked_fwd_nhwc_float_double_float_0
	.p2align	8
	.type	naive_conv_ab_nonpacked_fwd_nhwc_float_double_float_0,@function
naive_conv_ab_nonpacked_fwd_nhwc_float_double_float_0: ; @naive_conv_ab_nonpacked_fwd_nhwc_float_double_float_0
; %bb.0:
	s_load_b512 s[4:19], s[0:1], 0xa0
	s_abs_i32 s21, ttmp9
	s_wait_kmcnt 0x0
	s_abs_i32 s2, s9
	s_delay_alu instid0(SALU_CYCLE_1) | instskip(SKIP_1) | instid1(SALU_CYCLE_2)
	s_cvt_f32_u32 s3, s2
	s_sub_co_i32 s20, 0, s2
	v_rcp_iflag_f32_e32 v1, s3
	s_delay_alu instid0(TRANS32_DEP_1) | instskip(SKIP_2) | instid1(SALU_CYCLE_2)
	v_readfirstlane_b32 s3, v1
	s_mul_f32 s3, s3, 0x4f7ffffe
	s_wait_alu 0xfffe
	s_cvt_u32_f32 s3, s3
	s_wait_alu 0xfffe
	s_delay_alu instid0(SALU_CYCLE_2) | instskip(NEXT) | instid1(SALU_CYCLE_1)
	s_mul_i32 s20, s20, s3
	s_mul_hi_u32 s20, s3, s20
	s_delay_alu instid0(SALU_CYCLE_1) | instskip(SKIP_4) | instid1(SALU_CYCLE_1)
	s_add_co_i32 s3, s3, s20
	s_wait_alu 0xfffe
	s_mul_hi_u32 s3, s21, s3
	s_wait_alu 0xfffe
	s_mul_i32 s20, s3, s2
	s_sub_co_i32 s20, s21, s20
	s_add_co_i32 s21, s3, 1
	s_sub_co_i32 s22, s20, s2
	s_cmp_ge_u32 s20, s2
	s_cselect_b32 s3, s21, s3
	s_cselect_b32 s20, s22, s20
	s_wait_alu 0xfffe
	s_add_co_i32 s21, s3, 1
	s_cmp_ge_u32 s20, s2
	s_mov_b32 s20, exec_lo
	s_cselect_b32 s2, s21, s3
	s_abs_i32 s33, s6
	s_mul_i32 s6, s19, s7
	s_cvt_f32_u32 s3, s33
	s_mul_i32 s19, s6, s10
	s_wait_alu 0xfffe
	s_delay_alu instid0(SALU_CYCLE_1) | instskip(SKIP_1) | instid1(TRANS32_DEP_1)
	v_rcp_iflag_f32_e32 v1, s3
	s_mov_b32 s3, 0
	v_readfirstlane_b32 s10, v1
	v_cmpx_gt_i32_e64 s19, v0
	s_cbranch_execz .LBB15_18
; %bb.1:
	s_mul_f32 s10, s10, 0x4f7ffffe
	s_xor_b32 s28, ttmp9, s9
	s_sub_co_i32 s30, 0, s33
	s_ashr_i32 s28, s28, 31
	s_cvt_u32_f32 s10, s10
	s_xor_b32 s2, s2, s28
	s_wait_alu 0xfffe
	s_mov_b32 s29, s3
	s_sub_co_i32 s38, s2, s28
	s_mul_i32 s30, s30, s10
	s_abs_i32 s2, s38
	s_mul_hi_u32 s28, s10, s30
	s_load_b256 s[20:27], s[0:1], 0x0
	s_add_co_i32 s28, s10, s28
	s_ashr_i32 s10, s38, 31
	s_mul_u64 s[36:37], s[2:3], s[28:29]
	s_clause 0x2
	s_load_b64 s[34:35], s[0:1], 0x20
	s_load_b64 s[60:61], s[0:1], 0x98
	s_load_b128 s[28:31], s[0:1], 0x88
	s_mul_i32 s36, s37, s33
	s_mul_i32 s38, s38, s9
	s_sub_co_i32 s2, s2, s36
	s_sub_co_i32 s62, ttmp9, s38
	s_wait_alu 0xfffe
	s_sub_co_i32 s9, s2, s33
	s_cmp_ge_u32 s2, s33
	s_load_b512 s[36:51], s[0:1], 0x28
	s_cselect_b32 s2, s9, s2
	s_load_b256 s[52:59], s[0:1], 0x68
	s_sub_co_i32 s9, s2, s33
	s_cmp_ge_u32 s2, s33
	s_load_b32 s68, s[0:1], 0xec
	s_cselect_b32 s0, s9, s2
	s_ashr_i32 s63, s62, 31
	s_xor_b32 s0, s0, s10
	s_wait_kmcnt 0x0
	v_cmp_neq_f64_e64 s69, s[24:25], 1.0
	s_sub_co_i32 s64, s0, s10
	v_cmp_neq_f64_e64 s70, s[26:27], 0
	s_ashr_i32 s65, s64, 31
	s_mul_u64 s[0:1], s[30:31], s[62:63]
	s_mul_u64 s[30:31], s[60:61], s[64:65]
	s_lshl_b64 s[66:67], s[0:1], 2
	s_lshl_b64 s[30:31], s[30:31], 2
	s_cmp_lt_i32 s17, 1
	s_mul_i32 s0, s62, s11
	s_cselect_b32 s1, -1, 0
	s_sub_co_i32 s2, s0, s15
	s_cmp_gt_i32 s18, 0
	s_add_nc_u64 s[10:11], s[34:35], s[30:31]
	s_cselect_b32 s9, -1, 0
	s_cmp_gt_i32 s8, 0
	s_mul_u64 s[64:65], s[44:45], s[64:65]
	s_cselect_b32 s15, -1, 0
	s_abs_i32 s33, s6
	s_abs_i32 s60, s7
	s_cvt_f32_u32 s0, s33
	s_cvt_f32_u32 s61, s60
	s_lshl_b64 s[30:31], s[52:53], 2
	s_lshl_b64 s[34:35], s[54:55], 2
	v_rcp_iflag_f32_e32 v1, s0
	v_rcp_iflag_f32_e32 v2, s61
	s_sub_co_i32 s53, 0, s33
	s_sub_co_i32 s54, 0, s60
	s_lshl_b64 s[44:45], s[50:51], 2
	s_lshl_b64 s[50:51], s[64:65], 2
	s_add_nc_u64 s[10:11], s[10:11], s[66:67]
	s_add_nc_u64 s[20:21], s[20:21], s[50:51]
	s_and_b32 s61, s68, 0xffff
	s_ashr_i32 s62, s6, 31
	v_readfirstlane_b32 s0, v1
	v_readfirstlane_b32 s52, v2
	s_ashr_i32 s63, s7, 31
	s_lshl_b64 s[48:49], s[48:49], 2
	s_lshl_b64 s[46:47], s[46:47], 2
	s_mul_f32 s0, s0, 0x4f7ffffe
	s_mul_f32 s52, s52, 0x4f7ffffe
	s_or_b32 s50, s69, s70
	s_lshl_b64 s[38:39], s[38:39], 2
	s_wait_alu 0xfffe
	s_cvt_u32_f32 s0, s0
	s_cvt_u32_f32 s52, s52
	s_lshl_b64 s[42:43], s[42:43], 2
	s_lshl_b64 s[40:41], s[40:41], 2
	s_wait_alu 0xfffe
	s_mul_i32 s53, s53, s0
	s_mul_i32 s54, s54, s52
	s_mul_hi_u32 s51, s0, s53
	s_mul_hi_u32 s53, s52, s54
	s_add_co_i32 s51, s0, s51
	s_add_co_i32 s52, s52, s53
	s_lshl_b64 s[36:37], s[36:37], 2
	s_branch .LBB15_3
.LBB15_2:                               ;   in Loop: Header=BB15_3 Depth=1
	s_delay_alu instid0(VALU_DEP_1) | instskip(SKIP_1) | instid1(VALU_DEP_1)
	v_cvt_f32_f64_e32 v1, v[1:2]
	v_add_nc_u32_e32 v0, s61, v0
	v_cmp_le_i32_e32 vcc_lo, s19, v0
	s_or_b32 s3, vcc_lo, s3
	global_store_b32 v[3:4], v1, off
	s_wait_alu 0xfffe
	s_and_not1_b32 exec_lo, exec_lo, s3
	s_cbranch_execz .LBB15_18
.LBB15_3:                               ; =>This Loop Header: Depth=1
                                        ;     Child Loop BB15_8 Depth 2
                                        ;       Child Loop BB15_11 Depth 3
                                        ;         Child Loop BB15_14 Depth 4
	v_sub_nc_u32_e32 v1, 0, v0
	s_mov_b32 s0, -1
	s_delay_alu instid0(VALU_DEP_1) | instskip(NEXT) | instid1(VALU_DEP_1)
	v_max_i32_e32 v1, v0, v1
	v_mul_hi_u32 v2, v1, s51
	s_delay_alu instid0(VALU_DEP_1) | instskip(NEXT) | instid1(VALU_DEP_1)
	v_mul_lo_u32 v3, v2, s33
	v_sub_nc_u32_e32 v1, v1, v3
	v_add_nc_u32_e32 v3, 1, v2
	s_delay_alu instid0(VALU_DEP_2) | instskip(SKIP_2) | instid1(VALU_DEP_2)
	v_subrev_nc_u32_e32 v4, s33, v1
	v_cmp_le_u32_e32 vcc_lo, s33, v1
	s_wait_alu 0xfffd
	v_dual_cndmask_b32 v2, v2, v3 :: v_dual_cndmask_b32 v1, v1, v4
	v_ashrrev_i32_e32 v3, 31, v0
	s_delay_alu instid0(VALU_DEP_2) | instskip(NEXT) | instid1(VALU_DEP_3)
	v_add_nc_u32_e32 v4, 1, v2
	v_cmp_le_u32_e32 vcc_lo, s33, v1
	s_delay_alu instid0(VALU_DEP_3) | instskip(SKIP_1) | instid1(VALU_DEP_3)
	v_xor_b32_e32 v3, s62, v3
	s_wait_alu 0xfffd
	v_cndmask_b32_e32 v1, v2, v4, vcc_lo
	s_delay_alu instid0(VALU_DEP_1) | instskip(NEXT) | instid1(VALU_DEP_1)
	v_xor_b32_e32 v1, v1, v3
	v_sub_nc_u32_e32 v16, v1, v3
	s_delay_alu instid0(VALU_DEP_1) | instskip(NEXT) | instid1(VALU_DEP_1)
	v_mul_lo_u32 v1, v16, s6
	v_sub_nc_u32_e32 v3, v0, v1
	s_delay_alu instid0(VALU_DEP_1) | instskip(NEXT) | instid1(VALU_DEP_1)
	v_sub_nc_u32_e32 v1, 0, v3
	v_max_i32_e32 v1, v3, v1
	s_delay_alu instid0(VALU_DEP_1) | instskip(NEXT) | instid1(VALU_DEP_1)
	v_mul_hi_u32 v2, v1, s52
	v_mul_lo_u32 v4, v2, s60
	s_delay_alu instid0(VALU_DEP_1) | instskip(SKIP_1) | instid1(VALU_DEP_2)
	v_sub_nc_u32_e32 v1, v1, v4
	v_add_nc_u32_e32 v4, 1, v2
	v_subrev_nc_u32_e32 v5, s60, v1
	v_cmp_le_u32_e32 vcc_lo, s60, v1
	s_wait_alu 0xfffd
	s_delay_alu instid0(VALU_DEP_2) | instskip(SKIP_1) | instid1(VALU_DEP_2)
	v_dual_cndmask_b32 v2, v2, v4 :: v_dual_cndmask_b32 v1, v1, v5
	v_ashrrev_i32_e32 v4, 31, v3
	v_add_nc_u32_e32 v5, 1, v2
	s_delay_alu instid0(VALU_DEP_3) | instskip(NEXT) | instid1(VALU_DEP_3)
	v_cmp_le_u32_e32 vcc_lo, s60, v1
	v_xor_b32_e32 v6, s63, v4
	s_wait_alu 0xfffd
	s_delay_alu instid0(VALU_DEP_3) | instskip(SKIP_1) | instid1(VALU_DEP_1)
	v_cndmask_b32_e32 v1, v2, v5, vcc_lo
	s_and_not1_b32 vcc_lo, exec_lo, s1
	v_xor_b32_e32 v1, v1, v6
	s_delay_alu instid0(VALU_DEP_1) | instskip(NEXT) | instid1(VALU_DEP_1)
	v_sub_nc_u32_e32 v18, v1, v6
	v_mul_lo_u32 v5, v18, s7
	v_ashrrev_i32_e32 v20, 31, v18
	s_delay_alu instid0(VALU_DEP_2) | instskip(NEXT) | instid1(VALU_DEP_1)
	v_sub_nc_u32_e32 v17, v3, v5
	v_ashrrev_i32_e32 v19, 31, v17
	s_wait_alu 0xfffe
	s_cbranch_vccnz .LBB15_5
; %bb.4:                                ;   in Loop: Header=BB15_3 Depth=1
	s_mov_b32 s0, 0
.LBB15_5:                               ;   in Loop: Header=BB15_3 Depth=1
	v_mov_b32_e32 v1, 0
	v_mov_b32_e32 v2, 0
	s_wait_alu 0xfffe
	s_and_not1_b32 vcc_lo, exec_lo, s0
	s_wait_alu 0xfffe
	s_cbranch_vccnz .LBB15_16
; %bb.6:                                ;   in Loop: Header=BB15_3 Depth=1
	v_mul_lo_u32 v6, s35, v18
	v_mul_lo_u32 v7, s34, v20
	v_mad_co_u64_u32 v[1:2], null, s34, v18, 0
	v_ashrrev_i32_e32 v8, 31, v5
	v_sub_co_u32 v3, vcc_lo, v3, v5
	v_mul_lo_u32 v9, v16, s12
	v_mul_lo_u32 v10, s39, v18
	s_wait_alu 0xfffd
	v_sub_co_ci_u32_e64 v4, null, v4, v8, vcc_lo
	v_add3_u32 v2, v2, v7, v6
	v_mul_lo_u32 v5, s31, v3
	v_mul_lo_u32 v11, s38, v20
	s_delay_alu instid0(VALU_DEP_4)
	v_mul_lo_u32 v8, s30, v4
	s_mov_b32 s53, 0
	v_mad_co_u64_u32 v[6:7], null, s30, v3, v[1:2]
	v_mad_co_u64_u32 v[3:4], null, s38, v18, s[20:21]
	v_mov_b32_e32 v1, 0
	v_mov_b32_e32 v2, 0
	s_mov_b32 s54, s2
	s_delay_alu instid0(VALU_DEP_4)
	v_add3_u32 v7, v5, v7, v8
	v_add_co_u32 v6, vcc_lo, s22, v6
	v_subrev_nc_u32_e32 v5, s16, v9
	v_add3_u32 v4, v10, v4, v11
	s_wait_alu 0xfffd
	v_add_co_ci_u32_e64 v7, null, s23, v7, vcc_lo
	s_branch .LBB15_8
.LBB15_7:                               ;   in Loop: Header=BB15_8 Depth=2
	v_add_co_u32 v6, vcc_lo, v6, s44
	s_wait_alu 0xfffd
	v_add_co_ci_u32_e64 v7, null, s45, v7, vcc_lo
	s_add_co_i32 s53, s53, 1
	s_add_co_i32 s54, s54, s13
	s_wait_alu 0xfffe
	s_cmp_eq_u32 s53, s17
	s_cbranch_scc1 .LBB15_16
.LBB15_8:                               ;   Parent Loop BB15_3 Depth=1
                                        ; =>  This Loop Header: Depth=2
                                        ;       Child Loop BB15_11 Depth 3
                                        ;         Child Loop BB15_14 Depth 4
	s_and_not1_b32 vcc_lo, exec_lo, s9
	s_wait_alu 0xfffe
	s_cbranch_vccnz .LBB15_7
; %bb.9:                                ;   in Loop: Header=BB15_8 Depth=2
	v_mad_co_u64_u32 v[8:9], null, s42, s54, v[3:4]
	s_mul_i32 s0, s53, s13
	v_mov_b32_e32 v21, v5
	s_wait_alu 0xfffe
	s_add_co_i32 s0, s0, s2
	s_mov_b32 s55, 0
	s_wait_alu 0xfffe
	s_cmp_lt_i32 s0, 0
	s_cselect_b32 s64, -1, 0
	v_mad_co_u64_u32 v[9:10], null, s43, s54, v[9:10]
	s_cmp_ge_i32 s0, s4
	v_dual_mov_b32 v11, v7 :: v_dual_mov_b32 v10, v6
	s_cselect_b32 s0, -1, 0
	s_wait_alu 0xfffe
	s_or_b32 s64, s64, s0
	s_branch .LBB15_11
.LBB15_10:                              ;   in Loop: Header=BB15_11 Depth=3
	v_add_co_u32 v10, vcc_lo, v10, s48
	s_wait_alu 0xfffd
	v_add_co_ci_u32_e64 v11, null, s49, v11, vcc_lo
	v_add_nc_u32_e32 v21, s14, v21
	s_add_co_i32 s55, s55, 1
	s_wait_alu 0xfffe
	s_cmp_eq_u32 s55, s18
	s_cbranch_scc1 .LBB15_7
.LBB15_11:                              ;   Parent Loop BB15_3 Depth=1
                                        ;     Parent Loop BB15_8 Depth=2
                                        ; =>    This Loop Header: Depth=3
                                        ;         Child Loop BB15_14 Depth 4
	s_and_not1_b32 vcc_lo, exec_lo, s15
	s_wait_alu 0xfffe
	s_cbranch_vccnz .LBB15_10
; %bb.12:                               ;   in Loop: Header=BB15_11 Depth=3
	v_mad_co_u64_u32 v[12:13], null, s40, v21, v[8:9]
	v_mad_co_u64_u32 v[14:15], null, s55, s14, v[5:6]
	s_mov_b32 s65, s8
	v_mad_co_u64_u32 v[22:23], null, s41, v21, v[13:14]
	v_cmp_gt_i32_e32 vcc_lo, 0, v14
	v_cmp_le_i32_e64 s0, s5, v14
	v_dual_mov_b32 v15, v11 :: v_dual_mov_b32 v14, v10
	s_delay_alu instid0(VALU_DEP_4)
	v_mov_b32_e32 v13, v22
	s_or_b32 s0, vcc_lo, s0
	s_wait_alu 0xfffe
	s_nor_b32 s0, s64, s0
	s_branch .LBB15_14
.LBB15_13:                              ;   in Loop: Header=BB15_14 Depth=4
	s_or_b32 exec_lo, exec_lo, s66
	v_add_co_u32 v14, vcc_lo, v14, s46
	s_wait_alu 0xfffd
	v_add_co_ci_u32_e64 v15, null, s47, v15, vcc_lo
	v_add_co_u32 v12, vcc_lo, v12, s36
	s_wait_alu 0xfffd
	v_add_co_ci_u32_e64 v13, null, s37, v13, vcc_lo
	s_add_co_i32 s65, s65, -1
	s_delay_alu instid0(SALU_CYCLE_1)
	s_cmp_eq_u32 s65, 0
	s_cbranch_scc1 .LBB15_10
.LBB15_14:                              ;   Parent Loop BB15_3 Depth=1
                                        ;     Parent Loop BB15_8 Depth=2
                                        ;       Parent Loop BB15_11 Depth=3
                                        ; =>      This Inner Loop Header: Depth=4
	s_wait_alu 0xfffe
	s_and_saveexec_b32 s66, s0
	s_cbranch_execz .LBB15_13
; %bb.15:                               ;   in Loop: Header=BB15_14 Depth=4
	global_load_b32 v22, v[12:13], off
	global_load_b32 v24, v[14:15], off
	s_wait_loadcnt 0x1
	v_cvt_f64_f32_e32 v[22:23], v22
	s_wait_loadcnt 0x0
	v_cvt_f64_f32_e32 v[24:25], v24
	s_delay_alu instid0(VALU_DEP_1)
	v_fma_f64 v[1:2], v[22:23], v[24:25], v[1:2]
	s_branch .LBB15_13
.LBB15_16:                              ;   in Loop: Header=BB15_3 Depth=1
	v_ashrrev_i32_e32 v5, 31, v16
	v_mul_lo_u32 v7, s29, v16
	v_mad_co_u64_u32 v[3:4], null, s28, v16, 0
	v_mul_lo_u32 v9, v20, s58
	s_delay_alu instid0(VALU_DEP_4)
	v_mul_lo_u32 v8, s28, v5
	v_mul_lo_u32 v10, v18, s59
	v_mad_co_u64_u32 v[5:6], null, v18, s58, 0
	v_mul_lo_u32 v11, v19, s56
	v_mul_lo_u32 v12, v17, s57
	v_add3_u32 v4, v4, v8, v7
	v_mad_co_u64_u32 v[7:8], null, v17, s56, 0
	v_add3_u32 v6, v6, v10, v9
	s_delay_alu instid0(VALU_DEP_3) | instskip(NEXT) | instid1(VALU_DEP_2)
	v_lshlrev_b64_e32 v[3:4], 2, v[3:4]
	v_lshlrev_b64_e32 v[5:6], 2, v[5:6]
	s_delay_alu instid0(VALU_DEP_4) | instskip(NEXT) | instid1(VALU_DEP_3)
	v_add3_u32 v8, v8, v12, v11
	v_add_co_u32 v9, vcc_lo, s10, v3
	s_wait_alu 0xfffd
	s_delay_alu instid0(VALU_DEP_4) | instskip(NEXT) | instid1(VALU_DEP_3)
	v_add_co_ci_u32_e64 v10, null, s11, v4, vcc_lo
	v_lshlrev_b64_e32 v[3:4], 2, v[7:8]
	s_delay_alu instid0(VALU_DEP_3) | instskip(SKIP_1) | instid1(VALU_DEP_3)
	v_add_co_u32 v5, vcc_lo, v9, v5
	s_wait_alu 0xfffd
	v_add_co_ci_u32_e64 v6, null, v10, v6, vcc_lo
	s_delay_alu instid0(VALU_DEP_2) | instskip(SKIP_1) | instid1(VALU_DEP_2)
	v_add_co_u32 v3, vcc_lo, v5, v3
	s_wait_alu 0xfffd
	v_add_co_ci_u32_e64 v4, null, v6, v4, vcc_lo
	s_and_not1_b32 vcc_lo, exec_lo, s50
	s_wait_alu 0xfffe
	s_cbranch_vccnz .LBB15_2
; %bb.17:                               ;   in Loop: Header=BB15_3 Depth=1
	global_load_b32 v5, v[3:4], off
	s_wait_loadcnt 0x0
	v_cvt_f64_f32_e32 v[5:6], v5
	s_delay_alu instid0(VALU_DEP_1) | instskip(NEXT) | instid1(VALU_DEP_1)
	v_mul_f64_e32 v[5:6], s[26:27], v[5:6]
	v_fma_f64 v[1:2], s[24:25], v[1:2], v[5:6]
	s_branch .LBB15_2
.LBB15_18:
	s_endpgm
	.section	.rodata,"a",@progbits
	.p2align	6, 0x0
	.amdhsa_kernel naive_conv_ab_nonpacked_fwd_nhwc_float_double_float_0
		.amdhsa_group_segment_fixed_size 0
		.amdhsa_private_segment_fixed_size 0
		.amdhsa_kernarg_size 480
		.amdhsa_user_sgpr_count 2
		.amdhsa_user_sgpr_dispatch_ptr 0
		.amdhsa_user_sgpr_queue_ptr 0
		.amdhsa_user_sgpr_kernarg_segment_ptr 1
		.amdhsa_user_sgpr_dispatch_id 0
		.amdhsa_user_sgpr_private_segment_size 0
		.amdhsa_wavefront_size32 1
		.amdhsa_uses_dynamic_stack 0
		.amdhsa_enable_private_segment 0
		.amdhsa_system_sgpr_workgroup_id_x 1
		.amdhsa_system_sgpr_workgroup_id_y 0
		.amdhsa_system_sgpr_workgroup_id_z 0
		.amdhsa_system_sgpr_workgroup_info 0
		.amdhsa_system_vgpr_workitem_id 0
		.amdhsa_next_free_vgpr 26
		.amdhsa_next_free_sgpr 71
		.amdhsa_reserve_vcc 1
		.amdhsa_float_round_mode_32 0
		.amdhsa_float_round_mode_16_64 0
		.amdhsa_float_denorm_mode_32 3
		.amdhsa_float_denorm_mode_16_64 3
		.amdhsa_fp16_overflow 0
		.amdhsa_workgroup_processor_mode 1
		.amdhsa_memory_ordered 1
		.amdhsa_forward_progress 1
		.amdhsa_inst_pref_size 14
		.amdhsa_round_robin_scheduling 0
		.amdhsa_exception_fp_ieee_invalid_op 0
		.amdhsa_exception_fp_denorm_src 0
		.amdhsa_exception_fp_ieee_div_zero 0
		.amdhsa_exception_fp_ieee_overflow 0
		.amdhsa_exception_fp_ieee_underflow 0
		.amdhsa_exception_fp_ieee_inexact 0
		.amdhsa_exception_int_div_zero 0
	.end_amdhsa_kernel
	.text
.Lfunc_end15:
	.size	naive_conv_ab_nonpacked_fwd_nhwc_float_double_float_0, .Lfunc_end15-naive_conv_ab_nonpacked_fwd_nhwc_float_double_float_0
                                        ; -- End function
	.set naive_conv_ab_nonpacked_fwd_nhwc_float_double_float_0.num_vgpr, 26
	.set naive_conv_ab_nonpacked_fwd_nhwc_float_double_float_0.num_agpr, 0
	.set naive_conv_ab_nonpacked_fwd_nhwc_float_double_float_0.numbered_sgpr, 71
	.set naive_conv_ab_nonpacked_fwd_nhwc_float_double_float_0.num_named_barrier, 0
	.set naive_conv_ab_nonpacked_fwd_nhwc_float_double_float_0.private_seg_size, 0
	.set naive_conv_ab_nonpacked_fwd_nhwc_float_double_float_0.uses_vcc, 1
	.set naive_conv_ab_nonpacked_fwd_nhwc_float_double_float_0.uses_flat_scratch, 0
	.set naive_conv_ab_nonpacked_fwd_nhwc_float_double_float_0.has_dyn_sized_stack, 0
	.set naive_conv_ab_nonpacked_fwd_nhwc_float_double_float_0.has_recursion, 0
	.set naive_conv_ab_nonpacked_fwd_nhwc_float_double_float_0.has_indirect_call, 0
	.section	.AMDGPU.csdata,"",@progbits
; Kernel info:
; codeLenInByte = 1780
; TotalNumSgprs: 73
; NumVgprs: 26
; ScratchSize: 0
; MemoryBound: 0
; FloatMode: 240
; IeeeMode: 1
; LDSByteSize: 0 bytes/workgroup (compile time only)
; SGPRBlocks: 0
; VGPRBlocks: 3
; NumSGPRsForWavesPerEU: 73
; NumVGPRsForWavesPerEU: 26
; Occupancy: 16
; WaveLimiterHint : 0
; COMPUTE_PGM_RSRC2:SCRATCH_EN: 0
; COMPUTE_PGM_RSRC2:USER_SGPR: 2
; COMPUTE_PGM_RSRC2:TRAP_HANDLER: 0
; COMPUTE_PGM_RSRC2:TGID_X_EN: 1
; COMPUTE_PGM_RSRC2:TGID_Y_EN: 0
; COMPUTE_PGM_RSRC2:TGID_Z_EN: 0
; COMPUTE_PGM_RSRC2:TIDIG_COMP_CNT: 0
	.text
	.protected	naive_conv_ab_packed_fwd_nhwc_float_double_float_1 ; -- Begin function naive_conv_ab_packed_fwd_nhwc_float_double_float_1
	.globl	naive_conv_ab_packed_fwd_nhwc_float_double_float_1
	.p2align	8
	.type	naive_conv_ab_packed_fwd_nhwc_float_double_float_1,@function
naive_conv_ab_packed_fwd_nhwc_float_double_float_1: ; @naive_conv_ab_packed_fwd_nhwc_float_double_float_1
; %bb.0:
	s_load_b512 s[4:19], s[0:1], 0xa0
	s_abs_i32 s21, ttmp9
	s_mov_b32 s29, 0
	s_wait_kmcnt 0x0
	s_abs_i32 s2, s9
	s_delay_alu instid0(SALU_CYCLE_1) | instskip(SKIP_1) | instid1(SALU_CYCLE_2)
	s_cvt_f32_u32 s3, s2
	s_sub_co_i32 s20, 0, s2
	v_rcp_iflag_f32_e32 v1, s3
	s_delay_alu instid0(TRANS32_DEP_1) | instskip(SKIP_2) | instid1(SALU_CYCLE_2)
	v_readfirstlane_b32 s3, v1
	s_mul_f32 s3, s3, 0x4f7ffffe
	s_wait_alu 0xfffe
	s_cvt_u32_f32 s3, s3
	s_wait_alu 0xfffe
	s_delay_alu instid0(SALU_CYCLE_2) | instskip(NEXT) | instid1(SALU_CYCLE_1)
	s_mul_i32 s20, s20, s3
	s_mul_hi_u32 s20, s3, s20
	s_delay_alu instid0(SALU_CYCLE_1) | instskip(SKIP_4) | instid1(SALU_CYCLE_1)
	s_add_co_i32 s3, s3, s20
	s_wait_alu 0xfffe
	s_mul_hi_u32 s3, s21, s3
	s_wait_alu 0xfffe
	s_mul_i32 s20, s3, s2
	s_sub_co_i32 s20, s21, s20
	s_add_co_i32 s21, s3, 1
	s_sub_co_i32 s22, s20, s2
	s_cmp_ge_u32 s20, s2
	s_cselect_b32 s3, s21, s3
	s_cselect_b32 s20, s22, s20
	s_wait_alu 0xfffe
	s_add_co_i32 s21, s3, 1
	s_cmp_ge_u32 s20, s2
	s_cselect_b32 s28, s21, s3
	s_abs_i32 s3, s6
	s_mov_b32 s21, exec_lo
	s_wait_alu 0xfffe
	s_cvt_f32_u32 s2, s3
	s_wait_alu 0xfffe
	s_delay_alu instid0(SALU_CYCLE_2) | instskip(SKIP_3) | instid1(TRANS32_DEP_1)
	v_rcp_iflag_f32_e32 v1, s2
	s_mul_i32 s2, s19, s7
	s_wait_alu 0xfffe
	s_mul_i32 s6, s2, s10
	v_readfirstlane_b32 s20, v1
	v_cmpx_gt_i32_e64 s6, v0
	s_cbranch_execz .LBB16_18
; %bb.1:
	s_mul_f32 s30, s20, 0x4f7ffffe
	s_xor_b32 s31, ttmp9, s9
	s_sub_co_i32 s33, 0, s3
	s_ashr_i32 s34, s31, 31
	s_cvt_u32_f32 s30, s30
	s_xor_b32 s28, s28, s34
	s_mov_b32 s31, s29
	s_sub_co_i32 s34, s28, s34
	s_mul_i32 s33, s33, s30
	s_abs_i32 s28, s34
	s_mul_hi_u32 s33, s30, s33
	s_load_b256 s[20:27], s[0:1], 0x0
	s_add_co_i32 s30, s30, s33
	s_mul_i32 s33, s19, s8
	s_mul_u64 s[30:31], s[28:29], s[30:31]
	s_ashr_i32 s19, s34, 31
	s_mul_i32 s30, s31, s3
	s_mul_i32 s34, s34, s9
	s_sub_co_i32 s28, s28, s30
	s_sub_co_i32 s34, ttmp9, s34
	s_sub_co_i32 s31, s28, s3
	s_cmp_ge_u32 s28, s3
	s_mov_b32 s40, s10
	s_cselect_b32 s28, s31, s28
	s_mov_b32 s38, s9
	s_sub_co_i32 s31, s28, s3
	s_cmp_ge_u32 s28, s3
	s_mov_b32 s30, s4
	s_cselect_b32 s3, s31, s28
	s_ashr_i32 s41, s10, 31
	s_wait_alu 0xfffe
	s_xor_b32 s3, s3, s19
	s_wait_kmcnt 0x0
	v_cmp_neq_f64_e64 s28, s[24:25], 1.0
	s_wait_alu 0xfffe
	s_sub_co_i32 s42, s3, s19
	v_cmp_neq_f64_e64 s10, s[26:27], 0
	s_ashr_i32 s39, s9, 31
	s_ashr_i32 s43, s42, 31
	;; [unrolled: 1-line block ×3, first 2 shown]
	s_mul_u64 s[38:39], s[42:43], s[38:39]
	s_ashr_i32 s35, s34, 31
	s_wait_alu 0xfffe
	s_mul_u64 s[40:41], s[2:3], s[40:41]
	s_add_nc_u64 s[38:39], s[38:39], s[34:35]
	s_ashr_i32 s31, s4, 31
	s_mul_u64 s[38:39], s[40:41], s[38:39]
	s_ashr_i32 s35, s5, 31
	s_ashr_i32 s44, s33, 31
	s_lshl_b64 s[38:39], s[38:39], 2
	s_cmp_lt_i32 s17, 1
	s_mul_i32 s4, s34, s11
	s_cselect_b32 s45, -1, 0
	s_sub_co_i32 s15, s4, s15
	s_load_b64 s[36:37], s[0:1], 0x20
	s_cmp_gt_i32 s18, 0
	s_load_b32 s0, s[0:1], 0xec
	s_cselect_b32 s46, -1, 0
	s_cmp_gt_i32 s8, 0
	s_mov_b32 s34, s5
	s_cselect_b32 s1, -1, 0
	s_abs_i32 s47, s2
	s_abs_i32 s48, s7
	s_cvt_f32_u32 s9, s47
	s_cvt_f32_u32 s11, s48
	s_mul_u64 s[4:5], s[34:35], s[30:31]
	s_ashr_i32 s19, s18, 31
	v_rcp_iflag_f32_e32 v1, s9
	v_rcp_iflag_f32_e32 v2, s11
	s_mul_u64 s[42:43], s[4:5], s[42:43]
	s_ashr_i32 s9, s8, 31
	s_mov_b32 s40, s17
	s_ashr_i32 s41, s17, 31
	s_wait_alu 0xfffe
	s_mul_u64 s[52:53], s[18:19], s[8:9]
	s_wait_kmcnt 0x0
	s_add_nc_u64 s[4:5], s[36:37], s[38:39]
	s_or_b32 s51, s28, s10
	s_and_b32 s50, s0, 0xffff
	v_readfirstlane_b32 s11, v1
	v_readfirstlane_b32 s36, v2
	s_sub_co_i32 s28, 0, s47
	s_mul_u64 s[38:39], s[52:53], s[40:41]
	s_mov_b32 s31, s7
	s_mul_f32 s0, s11, 0x4f7ffffe
	s_mul_f32 s10, s36, 0x4f7ffffe
	s_sub_co_i32 s36, 0, s48
	s_ashr_i32 s49, s7, 31
	s_cvt_u32_f32 s0, s0
	s_wait_alu 0xfffe
	s_cvt_u32_f32 s37, s10
	s_lshl_b64 s[10:11], s[8:9], 2
	s_lshl_b64 s[38:39], s[38:39], 2
	s_mul_i32 s28, s28, s0
	s_mul_i32 s36, s36, s37
	s_mul_hi_u32 s9, s0, s28
	s_mul_hi_u32 s19, s37, s36
	s_wait_alu 0xfffe
	s_add_co_i32 s9, s0, s9
	s_add_co_i32 s19, s37, s19
	s_lshl_b64 s[36:37], s[42:43], 2
	s_lshl_b64 s[40:41], s[52:53], 2
	s_mov_b32 s52, 0
	s_branch .LBB16_3
.LBB16_2:                               ;   in Loop: Header=BB16_3 Depth=1
	s_delay_alu instid0(VALU_DEP_1) | instskip(SKIP_1) | instid1(VALU_DEP_1)
	v_cvt_f32_f64_e32 v3, v[5:6]
	v_add_nc_u32_e32 v0, s50, v0
	v_cmp_le_i32_e32 vcc_lo, s6, v0
	s_or_b32 s52, vcc_lo, s52
	global_store_b32 v[1:2], v3, off
	s_and_not1_b32 exec_lo, exec_lo, s52
	s_cbranch_execz .LBB16_18
.LBB16_3:                               ; =>This Loop Header: Depth=1
                                        ;     Child Loop BB16_8 Depth 2
                                        ;       Child Loop BB16_11 Depth 3
                                        ;         Child Loop BB16_14 Depth 4
	v_sub_nc_u32_e32 v1, 0, v0
	s_mov_b32 s0, -1
	s_delay_alu instid0(VALU_DEP_1) | instskip(SKIP_1) | instid1(VALU_DEP_1)
	v_max_i32_e32 v1, v0, v1
	s_wait_alu 0xfffe
	v_mul_hi_u32 v2, v1, s9
	s_delay_alu instid0(VALU_DEP_1) | instskip(NEXT) | instid1(VALU_DEP_1)
	v_mul_lo_u32 v3, v2, s47
	v_sub_nc_u32_e32 v1, v1, v3
	v_add_nc_u32_e32 v3, 1, v2
	s_delay_alu instid0(VALU_DEP_2) | instskip(SKIP_2) | instid1(VALU_DEP_2)
	v_subrev_nc_u32_e32 v4, s47, v1
	v_cmp_le_u32_e32 vcc_lo, s47, v1
	s_wait_alu 0xfffd
	v_dual_cndmask_b32 v2, v2, v3 :: v_dual_cndmask_b32 v1, v1, v4
	v_ashrrev_i32_e32 v3, 31, v0
	s_delay_alu instid0(VALU_DEP_2) | instskip(NEXT) | instid1(VALU_DEP_3)
	v_add_nc_u32_e32 v4, 1, v2
	v_cmp_le_u32_e32 vcc_lo, s47, v1
	s_delay_alu instid0(VALU_DEP_3) | instskip(SKIP_1) | instid1(VALU_DEP_3)
	v_xor_b32_e32 v3, s3, v3
	s_wait_alu 0xfffd
	v_cndmask_b32_e32 v1, v2, v4, vcc_lo
	s_delay_alu instid0(VALU_DEP_1) | instskip(NEXT) | instid1(VALU_DEP_1)
	v_xor_b32_e32 v1, v1, v3
	v_sub_nc_u32_e32 v18, v1, v3
	s_delay_alu instid0(VALU_DEP_1) | instskip(NEXT) | instid1(VALU_DEP_1)
	v_mul_lo_u32 v1, v18, s2
	v_sub_nc_u32_e32 v7, v0, v1
	s_delay_alu instid0(VALU_DEP_1) | instskip(SKIP_1) | instid1(VALU_DEP_2)
	v_sub_nc_u32_e32 v1, 0, v7
	v_ashrrev_i32_e32 v8, 31, v7
	v_max_i32_e32 v1, v7, v1
	s_delay_alu instid0(VALU_DEP_1) | instskip(NEXT) | instid1(VALU_DEP_1)
	v_mul_hi_u32 v2, v1, s19
	v_mul_lo_u32 v3, v2, s48
	s_delay_alu instid0(VALU_DEP_1) | instskip(SKIP_1) | instid1(VALU_DEP_2)
	v_sub_nc_u32_e32 v1, v1, v3
	v_add_nc_u32_e32 v3, 1, v2
	v_subrev_nc_u32_e32 v4, s48, v1
	v_cmp_le_u32_e32 vcc_lo, s48, v1
	s_wait_alu 0xfffd
	s_delay_alu instid0(VALU_DEP_2) | instskip(SKIP_1) | instid1(VALU_DEP_2)
	v_dual_cndmask_b32 v2, v2, v3 :: v_dual_cndmask_b32 v1, v1, v4
	v_xor_b32_e32 v4, s49, v8
	v_add_nc_u32_e32 v3, 1, v2
	s_delay_alu instid0(VALU_DEP_3) | instskip(SKIP_1) | instid1(VALU_DEP_2)
	v_cmp_le_u32_e32 vcc_lo, s48, v1
	s_wait_alu 0xfffd
	v_cndmask_b32_e32 v1, v2, v3, vcc_lo
	s_and_not1_b32 vcc_lo, exec_lo, s45
	s_delay_alu instid0(VALU_DEP_1) | instskip(NEXT) | instid1(VALU_DEP_1)
	v_xor_b32_e32 v1, v1, v4
	v_sub_nc_u32_e32 v9, v1, v4
                                        ; implicit-def: $vgpr3_vgpr4
	s_delay_alu instid0(VALU_DEP_1) | instskip(NEXT) | instid1(VALU_DEP_1)
	v_mul_lo_u32 v10, v9, s7
	v_sub_nc_u32_e32 v1, v7, v10
	s_delay_alu instid0(VALU_DEP_1)
	v_ashrrev_i32_e32 v2, 31, v1
	s_wait_alu 0xfffe
	s_cbranch_vccnz .LBB16_5
; %bb.4:                                ;   in Loop: Header=BB16_3 Depth=1
	v_mad_co_i64_i32 v[3:4], null, v9, s31, 0
	s_mov_b32 s0, 0
.LBB16_5:                               ;   in Loop: Header=BB16_3 Depth=1
	v_mov_b32_e32 v5, 0
	v_mov_b32_e32 v6, 0
	s_wait_alu 0xfffe
	s_and_not1_b32 vcc_lo, exec_lo, s0
	s_wait_alu 0xfffe
	s_cbranch_vccnz .LBB16_16
; %bb.6:                                ;   in Loop: Header=BB16_3 Depth=1
	v_mad_co_i64_i32 v[3:4], null, v9, s31, 0
	v_ashrrev_i32_e32 v6, 31, v10
	v_ashrrev_i32_e32 v11, 31, v9
	v_mul_lo_u32 v5, v18, s12
	v_mul_lo_u32 v12, s11, v9
	s_mov_b32 s53, 0
	s_mov_b32 s28, s15
	v_add_co_u32 v7, vcc_lo, v3, v7
	s_wait_alu 0xfffd
	v_add_co_ci_u32_e64 v8, null, v4, v8, vcc_lo
	v_mul_lo_u32 v13, s10, v11
	s_delay_alu instid0(VALU_DEP_3) | instskip(SKIP_1) | instid1(VALU_DEP_3)
	v_sub_co_u32 v10, vcc_lo, v7, v10
	s_wait_alu 0xfffd
	v_sub_co_ci_u32_e64 v6, null, v8, v6, vcc_lo
	v_mad_co_u64_u32 v[7:8], null, s10, v9, s[20:21]
	s_delay_alu instid0(VALU_DEP_3) | instskip(NEXT) | instid1(VALU_DEP_3)
	v_mul_lo_u32 v15, s39, v10
	v_mul_lo_u32 v14, s38, v6
	v_mad_co_u64_u32 v[9:10], null, s38, v10, s[22:23]
	v_subrev_nc_u32_e32 v11, s16, v5
	v_mov_b32_e32 v5, 0
	v_add3_u32 v8, v12, v8, v13
	v_mov_b32_e32 v6, 0
	v_add3_u32 v10, v15, v10, v14
	s_branch .LBB16_8
.LBB16_7:                               ;   in Loop: Header=BB16_8 Depth=2
	v_add_co_u32 v9, vcc_lo, v9, s40
	s_wait_alu 0xfffd
	v_add_co_ci_u32_e64 v10, null, s41, v10, vcc_lo
	s_add_co_i32 s53, s53, 1
	s_add_co_i32 s28, s28, s13
	s_cmp_eq_u32 s53, s17
	s_cbranch_scc1 .LBB16_16
.LBB16_8:                               ;   Parent Loop BB16_3 Depth=1
                                        ; =>  This Loop Header: Depth=2
                                        ;       Child Loop BB16_11 Depth 3
                                        ;         Child Loop BB16_14 Depth 4
	s_and_not1_b32 vcc_lo, exec_lo, s46
	s_wait_alu 0xfffe
	s_cbranch_vccnz .LBB16_7
; %bb.9:                                ;   in Loop: Header=BB16_8 Depth=2
	s_mul_i32 s0, s53, s13
	v_dual_mov_b32 v13, v10 :: v_dual_mov_b32 v12, v9
	s_wait_alu 0xfffe
	s_add_co_i32 s0, s0, s15
	v_mov_b32_e32 v19, v11
	s_wait_alu 0xfffe
	s_cmp_lt_i32 s0, 0
	s_mul_u64 s[42:43], s[34:35], s[28:29]
	s_cselect_b32 s55, -1, 0
	s_cmp_ge_i32 s0, s30
	s_mov_b32 s54, 0
	s_cselect_b32 s0, -1, 0
	s_wait_alu 0xfffe
	s_or_b32 s55, s55, s0
	s_branch .LBB16_11
.LBB16_10:                              ;   in Loop: Header=BB16_11 Depth=3
	v_add_co_u32 v12, vcc_lo, v12, s10
	v_add_nc_u32_e32 v19, s14, v19
	s_wait_alu 0xfffd
	v_add_co_ci_u32_e64 v13, null, s11, v13, vcc_lo
	s_add_co_i32 s54, s54, 1
	s_wait_alu 0xfffe
	s_cmp_eq_u32 s54, s18
	s_cbranch_scc1 .LBB16_7
.LBB16_11:                              ;   Parent Loop BB16_3 Depth=1
                                        ;     Parent Loop BB16_8 Depth=2
                                        ; =>    This Loop Header: Depth=3
                                        ;         Child Loop BB16_14 Depth 4
	s_and_not1_b32 vcc_lo, exec_lo, s1
	s_wait_alu 0xfffe
	s_cbranch_vccnz .LBB16_10
; %bb.12:                               ;   in Loop: Header=BB16_11 Depth=3
	v_add_co_u32 v14, s0, s42, v19
	s_wait_alu 0xf1ff
	v_add_co_ci_u32_e64 v15, null, s43, 0, s0
	v_mad_co_u64_u32 v[16:17], null, s54, s14, v[11:12]
	s_mov_b32 s56, s8
	v_lshlrev_b64_e32 v[14:15], 2, v[14:15]
	v_cmp_le_i32_e64 s0, s34, v16
	s_delay_alu instid0(VALU_DEP_2) | instskip(SKIP_1) | instid1(VALU_DEP_3)
	v_add_co_u32 v14, vcc_lo, s36, v14
	s_wait_alu 0xfffd
	v_add_co_ci_u32_e64 v15, null, s37, v15, vcc_lo
	v_cmp_gt_i32_e32 vcc_lo, 0, v16
	s_delay_alu instid0(VALU_DEP_3) | instskip(NEXT) | instid1(VALU_DEP_3)
	v_mul_lo_u32 v20, s44, v14
	v_mul_lo_u32 v17, s33, v15
	v_mad_co_u64_u32 v[14:15], null, s33, v14, v[7:8]
	s_or_b32 s0, vcc_lo, s0
	s_wait_alu 0xfffe
	s_nor_b32 s0, s55, s0
	v_add3_u32 v15, v20, v15, v17
	v_dual_mov_b32 v17, v13 :: v_dual_mov_b32 v16, v12
	s_branch .LBB16_14
.LBB16_13:                              ;   in Loop: Header=BB16_14 Depth=4
	s_or_b32 exec_lo, exec_lo, s57
	v_add_co_u32 v14, vcc_lo, v14, 4
	s_wait_alu 0xfffd
	v_add_co_ci_u32_e64 v15, null, 0, v15, vcc_lo
	v_add_co_u32 v16, vcc_lo, v16, 4
	s_wait_alu 0xfffd
	v_add_co_ci_u32_e64 v17, null, 0, v17, vcc_lo
	s_add_co_i32 s56, s56, -1
	s_delay_alu instid0(SALU_CYCLE_1)
	s_cmp_eq_u32 s56, 0
	s_cbranch_scc1 .LBB16_10
.LBB16_14:                              ;   Parent Loop BB16_3 Depth=1
                                        ;     Parent Loop BB16_8 Depth=2
                                        ;       Parent Loop BB16_11 Depth=3
                                        ; =>      This Inner Loop Header: Depth=4
	s_wait_alu 0xfffe
	s_and_saveexec_b32 s57, s0
	s_cbranch_execz .LBB16_13
; %bb.15:                               ;   in Loop: Header=BB16_14 Depth=4
	global_load_b32 v20, v[14:15], off
	global_load_b32 v21, v[16:17], off
	s_wait_loadcnt 0x1
	v_and_b32_e32 v20, 0xffffe000, v20
	s_wait_loadcnt 0x0
	v_and_b32_e32 v22, 0xffffe000, v21
	s_delay_alu instid0(VALU_DEP_2) | instskip(NEXT) | instid1(VALU_DEP_2)
	v_cvt_f64_f32_e32 v[20:21], v20
	v_cvt_f64_f32_e32 v[22:23], v22
	s_delay_alu instid0(VALU_DEP_1)
	v_fma_f64 v[5:6], v[20:21], v[22:23], v[5:6]
	s_branch .LBB16_13
.LBB16_16:                              ;   in Loop: Header=BB16_3 Depth=1
	v_mad_co_i64_i32 v[7:8], null, v18, s2, 0
	v_lshlrev_b64_e32 v[3:4], 2, v[3:4]
	v_lshlrev_b64_e32 v[1:2], 2, v[1:2]
	s_delay_alu instid0(VALU_DEP_3) | instskip(NEXT) | instid1(VALU_DEP_1)
	v_lshlrev_b64_e32 v[7:8], 2, v[7:8]
	v_add_co_u32 v7, vcc_lo, s4, v7
	s_wait_alu 0xfffd
	s_delay_alu instid0(VALU_DEP_2) | instskip(NEXT) | instid1(VALU_DEP_2)
	v_add_co_ci_u32_e64 v8, null, s5, v8, vcc_lo
	v_add_co_u32 v3, vcc_lo, v7, v3
	s_wait_alu 0xfffd
	s_delay_alu instid0(VALU_DEP_2) | instskip(NEXT) | instid1(VALU_DEP_2)
	v_add_co_ci_u32_e64 v4, null, v8, v4, vcc_lo
	v_add_co_u32 v1, vcc_lo, v3, v1
	s_wait_alu 0xfffd
	s_delay_alu instid0(VALU_DEP_2)
	v_add_co_ci_u32_e64 v2, null, v4, v2, vcc_lo
	s_and_not1_b32 vcc_lo, exec_lo, s51
	s_wait_alu 0xfffe
	s_cbranch_vccnz .LBB16_2
; %bb.17:                               ;   in Loop: Header=BB16_3 Depth=1
	global_load_b32 v3, v[1:2], off
	s_wait_loadcnt 0x0
	v_cvt_f64_f32_e32 v[3:4], v3
	s_delay_alu instid0(VALU_DEP_1) | instskip(NEXT) | instid1(VALU_DEP_1)
	v_mul_f64_e32 v[3:4], s[26:27], v[3:4]
	v_fma_f64 v[5:6], s[24:25], v[5:6], v[3:4]
	s_branch .LBB16_2
.LBB16_18:
	s_endpgm
	.section	.rodata,"a",@progbits
	.p2align	6, 0x0
	.amdhsa_kernel naive_conv_ab_packed_fwd_nhwc_float_double_float_1
		.amdhsa_group_segment_fixed_size 0
		.amdhsa_private_segment_fixed_size 0
		.amdhsa_kernarg_size 480
		.amdhsa_user_sgpr_count 2
		.amdhsa_user_sgpr_dispatch_ptr 0
		.amdhsa_user_sgpr_queue_ptr 0
		.amdhsa_user_sgpr_kernarg_segment_ptr 1
		.amdhsa_user_sgpr_dispatch_id 0
		.amdhsa_user_sgpr_private_segment_size 0
		.amdhsa_wavefront_size32 1
		.amdhsa_uses_dynamic_stack 0
		.amdhsa_enable_private_segment 0
		.amdhsa_system_sgpr_workgroup_id_x 1
		.amdhsa_system_sgpr_workgroup_id_y 0
		.amdhsa_system_sgpr_workgroup_id_z 0
		.amdhsa_system_sgpr_workgroup_info 0
		.amdhsa_system_vgpr_workitem_id 0
		.amdhsa_next_free_vgpr 24
		.amdhsa_next_free_sgpr 58
		.amdhsa_reserve_vcc 1
		.amdhsa_float_round_mode_32 0
		.amdhsa_float_round_mode_16_64 0
		.amdhsa_float_denorm_mode_32 3
		.amdhsa_float_denorm_mode_16_64 3
		.amdhsa_fp16_overflow 0
		.amdhsa_workgroup_processor_mode 1
		.amdhsa_memory_ordered 1
		.amdhsa_forward_progress 1
		.amdhsa_inst_pref_size 14
		.amdhsa_round_robin_scheduling 0
		.amdhsa_exception_fp_ieee_invalid_op 0
		.amdhsa_exception_fp_denorm_src 0
		.amdhsa_exception_fp_ieee_div_zero 0
		.amdhsa_exception_fp_ieee_overflow 0
		.amdhsa_exception_fp_ieee_underflow 0
		.amdhsa_exception_fp_ieee_inexact 0
		.amdhsa_exception_int_div_zero 0
	.end_amdhsa_kernel
	.text
.Lfunc_end16:
	.size	naive_conv_ab_packed_fwd_nhwc_float_double_float_1, .Lfunc_end16-naive_conv_ab_packed_fwd_nhwc_float_double_float_1
                                        ; -- End function
	.set naive_conv_ab_packed_fwd_nhwc_float_double_float_1.num_vgpr, 24
	.set naive_conv_ab_packed_fwd_nhwc_float_double_float_1.num_agpr, 0
	.set naive_conv_ab_packed_fwd_nhwc_float_double_float_1.numbered_sgpr, 58
	.set naive_conv_ab_packed_fwd_nhwc_float_double_float_1.num_named_barrier, 0
	.set naive_conv_ab_packed_fwd_nhwc_float_double_float_1.private_seg_size, 0
	.set naive_conv_ab_packed_fwd_nhwc_float_double_float_1.uses_vcc, 1
	.set naive_conv_ab_packed_fwd_nhwc_float_double_float_1.uses_flat_scratch, 0
	.set naive_conv_ab_packed_fwd_nhwc_float_double_float_1.has_dyn_sized_stack, 0
	.set naive_conv_ab_packed_fwd_nhwc_float_double_float_1.has_recursion, 0
	.set naive_conv_ab_packed_fwd_nhwc_float_double_float_1.has_indirect_call, 0
	.section	.AMDGPU.csdata,"",@progbits
; Kernel info:
; codeLenInByte = 1760
; TotalNumSgprs: 60
; NumVgprs: 24
; ScratchSize: 0
; MemoryBound: 0
; FloatMode: 240
; IeeeMode: 1
; LDSByteSize: 0 bytes/workgroup (compile time only)
; SGPRBlocks: 0
; VGPRBlocks: 2
; NumSGPRsForWavesPerEU: 60
; NumVGPRsForWavesPerEU: 24
; Occupancy: 16
; WaveLimiterHint : 0
; COMPUTE_PGM_RSRC2:SCRATCH_EN: 0
; COMPUTE_PGM_RSRC2:USER_SGPR: 2
; COMPUTE_PGM_RSRC2:TRAP_HANDLER: 0
; COMPUTE_PGM_RSRC2:TGID_X_EN: 1
; COMPUTE_PGM_RSRC2:TGID_Y_EN: 0
; COMPUTE_PGM_RSRC2:TGID_Z_EN: 0
; COMPUTE_PGM_RSRC2:TIDIG_COMP_CNT: 0
	.text
	.protected	naive_conv_ab_nonpacked_fwd_nhwc_float_double_float_1 ; -- Begin function naive_conv_ab_nonpacked_fwd_nhwc_float_double_float_1
	.globl	naive_conv_ab_nonpacked_fwd_nhwc_float_double_float_1
	.p2align	8
	.type	naive_conv_ab_nonpacked_fwd_nhwc_float_double_float_1,@function
naive_conv_ab_nonpacked_fwd_nhwc_float_double_float_1: ; @naive_conv_ab_nonpacked_fwd_nhwc_float_double_float_1
; %bb.0:
	s_load_b512 s[4:19], s[0:1], 0xa0
	s_abs_i32 s21, ttmp9
	s_wait_kmcnt 0x0
	s_abs_i32 s2, s9
	s_delay_alu instid0(SALU_CYCLE_1) | instskip(SKIP_1) | instid1(SALU_CYCLE_2)
	s_cvt_f32_u32 s3, s2
	s_sub_co_i32 s20, 0, s2
	v_rcp_iflag_f32_e32 v1, s3
	s_delay_alu instid0(TRANS32_DEP_1) | instskip(SKIP_2) | instid1(SALU_CYCLE_2)
	v_readfirstlane_b32 s3, v1
	s_mul_f32 s3, s3, 0x4f7ffffe
	s_wait_alu 0xfffe
	s_cvt_u32_f32 s3, s3
	s_wait_alu 0xfffe
	s_delay_alu instid0(SALU_CYCLE_2) | instskip(NEXT) | instid1(SALU_CYCLE_1)
	s_mul_i32 s20, s20, s3
	s_mul_hi_u32 s20, s3, s20
	s_delay_alu instid0(SALU_CYCLE_1) | instskip(SKIP_4) | instid1(SALU_CYCLE_1)
	s_add_co_i32 s3, s3, s20
	s_wait_alu 0xfffe
	s_mul_hi_u32 s3, s21, s3
	s_wait_alu 0xfffe
	s_mul_i32 s20, s3, s2
	s_sub_co_i32 s20, s21, s20
	s_add_co_i32 s21, s3, 1
	s_sub_co_i32 s22, s20, s2
	s_cmp_ge_u32 s20, s2
	s_cselect_b32 s3, s21, s3
	s_cselect_b32 s20, s22, s20
	s_wait_alu 0xfffe
	s_add_co_i32 s21, s3, 1
	s_cmp_ge_u32 s20, s2
	s_mov_b32 s20, exec_lo
	s_cselect_b32 s2, s21, s3
	s_abs_i32 s33, s6
	s_mul_i32 s6, s19, s7
	s_cvt_f32_u32 s3, s33
	s_mul_i32 s19, s6, s10
	s_wait_alu 0xfffe
	s_delay_alu instid0(SALU_CYCLE_1) | instskip(SKIP_1) | instid1(TRANS32_DEP_1)
	v_rcp_iflag_f32_e32 v1, s3
	s_mov_b32 s3, 0
	v_readfirstlane_b32 s10, v1
	v_cmpx_gt_i32_e64 s19, v0
	s_cbranch_execz .LBB17_18
; %bb.1:
	s_mul_f32 s10, s10, 0x4f7ffffe
	s_xor_b32 s28, ttmp9, s9
	s_sub_co_i32 s30, 0, s33
	s_ashr_i32 s28, s28, 31
	s_cvt_u32_f32 s10, s10
	s_xor_b32 s2, s2, s28
	s_wait_alu 0xfffe
	s_mov_b32 s29, s3
	s_sub_co_i32 s38, s2, s28
	s_mul_i32 s30, s30, s10
	s_abs_i32 s2, s38
	s_mul_hi_u32 s28, s10, s30
	s_load_b256 s[20:27], s[0:1], 0x0
	s_add_co_i32 s28, s10, s28
	s_ashr_i32 s10, s38, 31
	s_mul_u64 s[36:37], s[2:3], s[28:29]
	s_clause 0x2
	s_load_b64 s[34:35], s[0:1], 0x20
	s_load_b64 s[60:61], s[0:1], 0x98
	s_load_b128 s[28:31], s[0:1], 0x88
	s_mul_i32 s36, s37, s33
	s_mul_i32 s38, s38, s9
	s_sub_co_i32 s2, s2, s36
	s_sub_co_i32 s62, ttmp9, s38
	s_wait_alu 0xfffe
	s_sub_co_i32 s9, s2, s33
	s_cmp_ge_u32 s2, s33
	s_load_b512 s[36:51], s[0:1], 0x28
	s_cselect_b32 s2, s9, s2
	s_load_b256 s[52:59], s[0:1], 0x68
	s_sub_co_i32 s9, s2, s33
	s_cmp_ge_u32 s2, s33
	s_load_b32 s68, s[0:1], 0xec
	s_cselect_b32 s0, s9, s2
	s_ashr_i32 s63, s62, 31
	s_xor_b32 s0, s0, s10
	s_wait_kmcnt 0x0
	v_cmp_neq_f64_e64 s69, s[24:25], 1.0
	s_sub_co_i32 s64, s0, s10
	v_cmp_neq_f64_e64 s70, s[26:27], 0
	s_ashr_i32 s65, s64, 31
	s_mul_u64 s[0:1], s[30:31], s[62:63]
	s_mul_u64 s[30:31], s[60:61], s[64:65]
	s_lshl_b64 s[66:67], s[0:1], 2
	s_lshl_b64 s[30:31], s[30:31], 2
	s_cmp_lt_i32 s17, 1
	s_mul_i32 s0, s62, s11
	s_cselect_b32 s1, -1, 0
	s_sub_co_i32 s2, s0, s15
	s_cmp_gt_i32 s18, 0
	s_add_nc_u64 s[10:11], s[34:35], s[30:31]
	s_cselect_b32 s9, -1, 0
	s_cmp_gt_i32 s8, 0
	s_mul_u64 s[64:65], s[44:45], s[64:65]
	s_cselect_b32 s15, -1, 0
	s_abs_i32 s33, s6
	s_abs_i32 s60, s7
	s_cvt_f32_u32 s0, s33
	s_cvt_f32_u32 s61, s60
	s_lshl_b64 s[30:31], s[52:53], 2
	s_lshl_b64 s[34:35], s[54:55], 2
	v_rcp_iflag_f32_e32 v1, s0
	v_rcp_iflag_f32_e32 v2, s61
	s_sub_co_i32 s53, 0, s33
	s_sub_co_i32 s54, 0, s60
	s_lshl_b64 s[44:45], s[50:51], 2
	s_lshl_b64 s[50:51], s[64:65], 2
	s_add_nc_u64 s[10:11], s[10:11], s[66:67]
	s_add_nc_u64 s[20:21], s[20:21], s[50:51]
	s_and_b32 s61, s68, 0xffff
	s_ashr_i32 s62, s6, 31
	v_readfirstlane_b32 s0, v1
	v_readfirstlane_b32 s52, v2
	s_ashr_i32 s63, s7, 31
	s_lshl_b64 s[48:49], s[48:49], 2
	s_lshl_b64 s[46:47], s[46:47], 2
	s_mul_f32 s0, s0, 0x4f7ffffe
	s_mul_f32 s52, s52, 0x4f7ffffe
	s_or_b32 s50, s69, s70
	s_lshl_b64 s[38:39], s[38:39], 2
	s_wait_alu 0xfffe
	s_cvt_u32_f32 s0, s0
	s_cvt_u32_f32 s52, s52
	s_lshl_b64 s[42:43], s[42:43], 2
	s_lshl_b64 s[40:41], s[40:41], 2
	s_wait_alu 0xfffe
	s_mul_i32 s53, s53, s0
	s_mul_i32 s54, s54, s52
	s_mul_hi_u32 s51, s0, s53
	s_mul_hi_u32 s53, s52, s54
	s_add_co_i32 s51, s0, s51
	s_add_co_i32 s52, s52, s53
	s_lshl_b64 s[36:37], s[36:37], 2
	s_branch .LBB17_3
.LBB17_2:                               ;   in Loop: Header=BB17_3 Depth=1
	s_delay_alu instid0(VALU_DEP_1) | instskip(SKIP_1) | instid1(VALU_DEP_1)
	v_cvt_f32_f64_e32 v1, v[1:2]
	v_add_nc_u32_e32 v0, s61, v0
	v_cmp_le_i32_e32 vcc_lo, s19, v0
	s_or_b32 s3, vcc_lo, s3
	global_store_b32 v[3:4], v1, off
	s_wait_alu 0xfffe
	s_and_not1_b32 exec_lo, exec_lo, s3
	s_cbranch_execz .LBB17_18
.LBB17_3:                               ; =>This Loop Header: Depth=1
                                        ;     Child Loop BB17_8 Depth 2
                                        ;       Child Loop BB17_11 Depth 3
                                        ;         Child Loop BB17_14 Depth 4
	v_sub_nc_u32_e32 v1, 0, v0
	s_mov_b32 s0, -1
	s_delay_alu instid0(VALU_DEP_1) | instskip(NEXT) | instid1(VALU_DEP_1)
	v_max_i32_e32 v1, v0, v1
	v_mul_hi_u32 v2, v1, s51
	s_delay_alu instid0(VALU_DEP_1) | instskip(NEXT) | instid1(VALU_DEP_1)
	v_mul_lo_u32 v3, v2, s33
	v_sub_nc_u32_e32 v1, v1, v3
	v_add_nc_u32_e32 v3, 1, v2
	s_delay_alu instid0(VALU_DEP_2) | instskip(SKIP_2) | instid1(VALU_DEP_2)
	v_subrev_nc_u32_e32 v4, s33, v1
	v_cmp_le_u32_e32 vcc_lo, s33, v1
	s_wait_alu 0xfffd
	v_dual_cndmask_b32 v2, v2, v3 :: v_dual_cndmask_b32 v1, v1, v4
	v_ashrrev_i32_e32 v3, 31, v0
	s_delay_alu instid0(VALU_DEP_2) | instskip(NEXT) | instid1(VALU_DEP_3)
	v_add_nc_u32_e32 v4, 1, v2
	v_cmp_le_u32_e32 vcc_lo, s33, v1
	s_delay_alu instid0(VALU_DEP_3) | instskip(SKIP_1) | instid1(VALU_DEP_3)
	v_xor_b32_e32 v3, s62, v3
	s_wait_alu 0xfffd
	v_cndmask_b32_e32 v1, v2, v4, vcc_lo
	s_delay_alu instid0(VALU_DEP_1) | instskip(NEXT) | instid1(VALU_DEP_1)
	v_xor_b32_e32 v1, v1, v3
	v_sub_nc_u32_e32 v16, v1, v3
	s_delay_alu instid0(VALU_DEP_1) | instskip(NEXT) | instid1(VALU_DEP_1)
	v_mul_lo_u32 v1, v16, s6
	v_sub_nc_u32_e32 v3, v0, v1
	s_delay_alu instid0(VALU_DEP_1) | instskip(NEXT) | instid1(VALU_DEP_1)
	v_sub_nc_u32_e32 v1, 0, v3
	v_max_i32_e32 v1, v3, v1
	s_delay_alu instid0(VALU_DEP_1) | instskip(NEXT) | instid1(VALU_DEP_1)
	v_mul_hi_u32 v2, v1, s52
	v_mul_lo_u32 v4, v2, s60
	s_delay_alu instid0(VALU_DEP_1) | instskip(SKIP_1) | instid1(VALU_DEP_2)
	v_sub_nc_u32_e32 v1, v1, v4
	v_add_nc_u32_e32 v4, 1, v2
	v_subrev_nc_u32_e32 v5, s60, v1
	v_cmp_le_u32_e32 vcc_lo, s60, v1
	s_wait_alu 0xfffd
	s_delay_alu instid0(VALU_DEP_2) | instskip(SKIP_1) | instid1(VALU_DEP_2)
	v_dual_cndmask_b32 v2, v2, v4 :: v_dual_cndmask_b32 v1, v1, v5
	v_ashrrev_i32_e32 v4, 31, v3
	v_add_nc_u32_e32 v5, 1, v2
	s_delay_alu instid0(VALU_DEP_3) | instskip(NEXT) | instid1(VALU_DEP_3)
	v_cmp_le_u32_e32 vcc_lo, s60, v1
	v_xor_b32_e32 v6, s63, v4
	s_wait_alu 0xfffd
	s_delay_alu instid0(VALU_DEP_3) | instskip(SKIP_1) | instid1(VALU_DEP_1)
	v_cndmask_b32_e32 v1, v2, v5, vcc_lo
	s_and_not1_b32 vcc_lo, exec_lo, s1
	v_xor_b32_e32 v1, v1, v6
	s_delay_alu instid0(VALU_DEP_1) | instskip(NEXT) | instid1(VALU_DEP_1)
	v_sub_nc_u32_e32 v18, v1, v6
	v_mul_lo_u32 v5, v18, s7
	v_ashrrev_i32_e32 v20, 31, v18
	s_delay_alu instid0(VALU_DEP_2) | instskip(NEXT) | instid1(VALU_DEP_1)
	v_sub_nc_u32_e32 v17, v3, v5
	v_ashrrev_i32_e32 v19, 31, v17
	s_wait_alu 0xfffe
	s_cbranch_vccnz .LBB17_5
; %bb.4:                                ;   in Loop: Header=BB17_3 Depth=1
	s_mov_b32 s0, 0
.LBB17_5:                               ;   in Loop: Header=BB17_3 Depth=1
	v_mov_b32_e32 v1, 0
	v_mov_b32_e32 v2, 0
	s_wait_alu 0xfffe
	s_and_not1_b32 vcc_lo, exec_lo, s0
	s_wait_alu 0xfffe
	s_cbranch_vccnz .LBB17_16
; %bb.6:                                ;   in Loop: Header=BB17_3 Depth=1
	v_mul_lo_u32 v6, s35, v18
	v_mul_lo_u32 v7, s34, v20
	v_mad_co_u64_u32 v[1:2], null, s34, v18, 0
	v_ashrrev_i32_e32 v8, 31, v5
	v_sub_co_u32 v3, vcc_lo, v3, v5
	v_mul_lo_u32 v9, v16, s12
	v_mul_lo_u32 v10, s39, v18
	s_wait_alu 0xfffd
	v_sub_co_ci_u32_e64 v4, null, v4, v8, vcc_lo
	v_add3_u32 v2, v2, v7, v6
	v_mul_lo_u32 v5, s31, v3
	v_mul_lo_u32 v11, s38, v20
	s_delay_alu instid0(VALU_DEP_4)
	v_mul_lo_u32 v8, s30, v4
	s_mov_b32 s53, 0
	v_mad_co_u64_u32 v[6:7], null, s30, v3, v[1:2]
	v_mad_co_u64_u32 v[3:4], null, s38, v18, s[20:21]
	v_mov_b32_e32 v1, 0
	v_mov_b32_e32 v2, 0
	s_mov_b32 s54, s2
	s_delay_alu instid0(VALU_DEP_4)
	v_add3_u32 v7, v5, v7, v8
	v_add_co_u32 v6, vcc_lo, s22, v6
	v_subrev_nc_u32_e32 v5, s16, v9
	v_add3_u32 v4, v10, v4, v11
	s_wait_alu 0xfffd
	v_add_co_ci_u32_e64 v7, null, s23, v7, vcc_lo
	s_branch .LBB17_8
.LBB17_7:                               ;   in Loop: Header=BB17_8 Depth=2
	v_add_co_u32 v6, vcc_lo, v6, s44
	s_wait_alu 0xfffd
	v_add_co_ci_u32_e64 v7, null, s45, v7, vcc_lo
	s_add_co_i32 s53, s53, 1
	s_add_co_i32 s54, s54, s13
	s_wait_alu 0xfffe
	s_cmp_eq_u32 s53, s17
	s_cbranch_scc1 .LBB17_16
.LBB17_8:                               ;   Parent Loop BB17_3 Depth=1
                                        ; =>  This Loop Header: Depth=2
                                        ;       Child Loop BB17_11 Depth 3
                                        ;         Child Loop BB17_14 Depth 4
	s_and_not1_b32 vcc_lo, exec_lo, s9
	s_wait_alu 0xfffe
	s_cbranch_vccnz .LBB17_7
; %bb.9:                                ;   in Loop: Header=BB17_8 Depth=2
	v_mad_co_u64_u32 v[8:9], null, s42, s54, v[3:4]
	s_mul_i32 s0, s53, s13
	v_mov_b32_e32 v21, v5
	s_wait_alu 0xfffe
	s_add_co_i32 s0, s0, s2
	s_mov_b32 s55, 0
	s_wait_alu 0xfffe
	s_cmp_lt_i32 s0, 0
	s_cselect_b32 s64, -1, 0
	v_mad_co_u64_u32 v[9:10], null, s43, s54, v[9:10]
	s_cmp_ge_i32 s0, s4
	v_dual_mov_b32 v11, v7 :: v_dual_mov_b32 v10, v6
	s_cselect_b32 s0, -1, 0
	s_wait_alu 0xfffe
	s_or_b32 s64, s64, s0
	s_branch .LBB17_11
.LBB17_10:                              ;   in Loop: Header=BB17_11 Depth=3
	v_add_co_u32 v10, vcc_lo, v10, s48
	s_wait_alu 0xfffd
	v_add_co_ci_u32_e64 v11, null, s49, v11, vcc_lo
	v_add_nc_u32_e32 v21, s14, v21
	s_add_co_i32 s55, s55, 1
	s_wait_alu 0xfffe
	s_cmp_eq_u32 s55, s18
	s_cbranch_scc1 .LBB17_7
.LBB17_11:                              ;   Parent Loop BB17_3 Depth=1
                                        ;     Parent Loop BB17_8 Depth=2
                                        ; =>    This Loop Header: Depth=3
                                        ;         Child Loop BB17_14 Depth 4
	s_and_not1_b32 vcc_lo, exec_lo, s15
	s_wait_alu 0xfffe
	s_cbranch_vccnz .LBB17_10
; %bb.12:                               ;   in Loop: Header=BB17_11 Depth=3
	v_mad_co_u64_u32 v[12:13], null, s40, v21, v[8:9]
	v_mad_co_u64_u32 v[14:15], null, s55, s14, v[5:6]
	s_mov_b32 s65, s8
	v_mad_co_u64_u32 v[22:23], null, s41, v21, v[13:14]
	v_cmp_gt_i32_e32 vcc_lo, 0, v14
	v_cmp_le_i32_e64 s0, s5, v14
	v_dual_mov_b32 v15, v11 :: v_dual_mov_b32 v14, v10
	s_delay_alu instid0(VALU_DEP_4)
	v_mov_b32_e32 v13, v22
	s_or_b32 s0, vcc_lo, s0
	s_wait_alu 0xfffe
	s_nor_b32 s0, s64, s0
	s_branch .LBB17_14
.LBB17_13:                              ;   in Loop: Header=BB17_14 Depth=4
	s_or_b32 exec_lo, exec_lo, s66
	v_add_co_u32 v14, vcc_lo, v14, s46
	s_wait_alu 0xfffd
	v_add_co_ci_u32_e64 v15, null, s47, v15, vcc_lo
	v_add_co_u32 v12, vcc_lo, v12, s36
	s_wait_alu 0xfffd
	v_add_co_ci_u32_e64 v13, null, s37, v13, vcc_lo
	s_add_co_i32 s65, s65, -1
	s_delay_alu instid0(SALU_CYCLE_1)
	s_cmp_eq_u32 s65, 0
	s_cbranch_scc1 .LBB17_10
.LBB17_14:                              ;   Parent Loop BB17_3 Depth=1
                                        ;     Parent Loop BB17_8 Depth=2
                                        ;       Parent Loop BB17_11 Depth=3
                                        ; =>      This Inner Loop Header: Depth=4
	s_wait_alu 0xfffe
	s_and_saveexec_b32 s66, s0
	s_cbranch_execz .LBB17_13
; %bb.15:                               ;   in Loop: Header=BB17_14 Depth=4
	global_load_b32 v22, v[12:13], off
	global_load_b32 v23, v[14:15], off
	s_wait_loadcnt 0x1
	v_and_b32_e32 v22, 0xffffe000, v22
	s_wait_loadcnt 0x0
	v_and_b32_e32 v24, 0xffffe000, v23
	s_delay_alu instid0(VALU_DEP_2) | instskip(NEXT) | instid1(VALU_DEP_2)
	v_cvt_f64_f32_e32 v[22:23], v22
	v_cvt_f64_f32_e32 v[24:25], v24
	s_delay_alu instid0(VALU_DEP_1)
	v_fma_f64 v[1:2], v[22:23], v[24:25], v[1:2]
	s_branch .LBB17_13
.LBB17_16:                              ;   in Loop: Header=BB17_3 Depth=1
	v_ashrrev_i32_e32 v5, 31, v16
	v_mul_lo_u32 v7, s29, v16
	v_mad_co_u64_u32 v[3:4], null, s28, v16, 0
	v_mul_lo_u32 v9, v20, s58
	s_delay_alu instid0(VALU_DEP_4)
	v_mul_lo_u32 v8, s28, v5
	v_mul_lo_u32 v10, v18, s59
	v_mad_co_u64_u32 v[5:6], null, v18, s58, 0
	v_mul_lo_u32 v11, v19, s56
	v_mul_lo_u32 v12, v17, s57
	v_add3_u32 v4, v4, v8, v7
	v_mad_co_u64_u32 v[7:8], null, v17, s56, 0
	v_add3_u32 v6, v6, v10, v9
	s_delay_alu instid0(VALU_DEP_3) | instskip(NEXT) | instid1(VALU_DEP_2)
	v_lshlrev_b64_e32 v[3:4], 2, v[3:4]
	v_lshlrev_b64_e32 v[5:6], 2, v[5:6]
	s_delay_alu instid0(VALU_DEP_4) | instskip(NEXT) | instid1(VALU_DEP_3)
	v_add3_u32 v8, v8, v12, v11
	v_add_co_u32 v9, vcc_lo, s10, v3
	s_wait_alu 0xfffd
	s_delay_alu instid0(VALU_DEP_4) | instskip(NEXT) | instid1(VALU_DEP_3)
	v_add_co_ci_u32_e64 v10, null, s11, v4, vcc_lo
	v_lshlrev_b64_e32 v[3:4], 2, v[7:8]
	s_delay_alu instid0(VALU_DEP_3) | instskip(SKIP_1) | instid1(VALU_DEP_3)
	v_add_co_u32 v5, vcc_lo, v9, v5
	s_wait_alu 0xfffd
	v_add_co_ci_u32_e64 v6, null, v10, v6, vcc_lo
	s_delay_alu instid0(VALU_DEP_2) | instskip(SKIP_1) | instid1(VALU_DEP_2)
	v_add_co_u32 v3, vcc_lo, v5, v3
	s_wait_alu 0xfffd
	v_add_co_ci_u32_e64 v4, null, v6, v4, vcc_lo
	s_and_not1_b32 vcc_lo, exec_lo, s50
	s_wait_alu 0xfffe
	s_cbranch_vccnz .LBB17_2
; %bb.17:                               ;   in Loop: Header=BB17_3 Depth=1
	global_load_b32 v5, v[3:4], off
	s_wait_loadcnt 0x0
	v_cvt_f64_f32_e32 v[5:6], v5
	s_delay_alu instid0(VALU_DEP_1) | instskip(NEXT) | instid1(VALU_DEP_1)
	v_mul_f64_e32 v[5:6], s[26:27], v[5:6]
	v_fma_f64 v[1:2], s[24:25], v[1:2], v[5:6]
	s_branch .LBB17_2
.LBB17_18:
	s_endpgm
	.section	.rodata,"a",@progbits
	.p2align	6, 0x0
	.amdhsa_kernel naive_conv_ab_nonpacked_fwd_nhwc_float_double_float_1
		.amdhsa_group_segment_fixed_size 0
		.amdhsa_private_segment_fixed_size 0
		.amdhsa_kernarg_size 480
		.amdhsa_user_sgpr_count 2
		.amdhsa_user_sgpr_dispatch_ptr 0
		.amdhsa_user_sgpr_queue_ptr 0
		.amdhsa_user_sgpr_kernarg_segment_ptr 1
		.amdhsa_user_sgpr_dispatch_id 0
		.amdhsa_user_sgpr_private_segment_size 0
		.amdhsa_wavefront_size32 1
		.amdhsa_uses_dynamic_stack 0
		.amdhsa_enable_private_segment 0
		.amdhsa_system_sgpr_workgroup_id_x 1
		.amdhsa_system_sgpr_workgroup_id_y 0
		.amdhsa_system_sgpr_workgroup_id_z 0
		.amdhsa_system_sgpr_workgroup_info 0
		.amdhsa_system_vgpr_workitem_id 0
		.amdhsa_next_free_vgpr 26
		.amdhsa_next_free_sgpr 71
		.amdhsa_reserve_vcc 1
		.amdhsa_float_round_mode_32 0
		.amdhsa_float_round_mode_16_64 0
		.amdhsa_float_denorm_mode_32 3
		.amdhsa_float_denorm_mode_16_64 3
		.amdhsa_fp16_overflow 0
		.amdhsa_workgroup_processor_mode 1
		.amdhsa_memory_ordered 1
		.amdhsa_forward_progress 1
		.amdhsa_inst_pref_size 15
		.amdhsa_round_robin_scheduling 0
		.amdhsa_exception_fp_ieee_invalid_op 0
		.amdhsa_exception_fp_denorm_src 0
		.amdhsa_exception_fp_ieee_div_zero 0
		.amdhsa_exception_fp_ieee_overflow 0
		.amdhsa_exception_fp_ieee_underflow 0
		.amdhsa_exception_fp_ieee_inexact 0
		.amdhsa_exception_int_div_zero 0
	.end_amdhsa_kernel
	.text
.Lfunc_end17:
	.size	naive_conv_ab_nonpacked_fwd_nhwc_float_double_float_1, .Lfunc_end17-naive_conv_ab_nonpacked_fwd_nhwc_float_double_float_1
                                        ; -- End function
	.set naive_conv_ab_nonpacked_fwd_nhwc_float_double_float_1.num_vgpr, 26
	.set naive_conv_ab_nonpacked_fwd_nhwc_float_double_float_1.num_agpr, 0
	.set naive_conv_ab_nonpacked_fwd_nhwc_float_double_float_1.numbered_sgpr, 71
	.set naive_conv_ab_nonpacked_fwd_nhwc_float_double_float_1.num_named_barrier, 0
	.set naive_conv_ab_nonpacked_fwd_nhwc_float_double_float_1.private_seg_size, 0
	.set naive_conv_ab_nonpacked_fwd_nhwc_float_double_float_1.uses_vcc, 1
	.set naive_conv_ab_nonpacked_fwd_nhwc_float_double_float_1.uses_flat_scratch, 0
	.set naive_conv_ab_nonpacked_fwd_nhwc_float_double_float_1.has_dyn_sized_stack, 0
	.set naive_conv_ab_nonpacked_fwd_nhwc_float_double_float_1.has_recursion, 0
	.set naive_conv_ab_nonpacked_fwd_nhwc_float_double_float_1.has_indirect_call, 0
	.section	.AMDGPU.csdata,"",@progbits
; Kernel info:
; codeLenInByte = 1800
; TotalNumSgprs: 73
; NumVgprs: 26
; ScratchSize: 0
; MemoryBound: 0
; FloatMode: 240
; IeeeMode: 1
; LDSByteSize: 0 bytes/workgroup (compile time only)
; SGPRBlocks: 0
; VGPRBlocks: 3
; NumSGPRsForWavesPerEU: 73
; NumVGPRsForWavesPerEU: 26
; Occupancy: 16
; WaveLimiterHint : 0
; COMPUTE_PGM_RSRC2:SCRATCH_EN: 0
; COMPUTE_PGM_RSRC2:USER_SGPR: 2
; COMPUTE_PGM_RSRC2:TRAP_HANDLER: 0
; COMPUTE_PGM_RSRC2:TGID_X_EN: 1
; COMPUTE_PGM_RSRC2:TGID_Y_EN: 0
; COMPUTE_PGM_RSRC2:TGID_Z_EN: 0
; COMPUTE_PGM_RSRC2:TIDIG_COMP_CNT: 0
	.text
	.protected	naive_conv_ab_packed_fwd_nhwc_half_double_half_0 ; -- Begin function naive_conv_ab_packed_fwd_nhwc_half_double_half_0
	.globl	naive_conv_ab_packed_fwd_nhwc_half_double_half_0
	.p2align	8
	.type	naive_conv_ab_packed_fwd_nhwc_half_double_half_0,@function
naive_conv_ab_packed_fwd_nhwc_half_double_half_0: ; @naive_conv_ab_packed_fwd_nhwc_half_double_half_0
; %bb.0:
	s_load_b512 s[4:19], s[0:1], 0xa0
	s_abs_i32 s21, ttmp9
	s_mov_b32 s29, 0
	s_wait_kmcnt 0x0
	s_abs_i32 s2, s9
	s_delay_alu instid0(SALU_CYCLE_1) | instskip(SKIP_1) | instid1(SALU_CYCLE_2)
	s_cvt_f32_u32 s3, s2
	s_sub_co_i32 s20, 0, s2
	v_rcp_iflag_f32_e32 v1, s3
	s_delay_alu instid0(TRANS32_DEP_1) | instskip(SKIP_2) | instid1(SALU_CYCLE_2)
	v_readfirstlane_b32 s3, v1
	s_mul_f32 s3, s3, 0x4f7ffffe
	s_wait_alu 0xfffe
	s_cvt_u32_f32 s3, s3
	s_wait_alu 0xfffe
	s_delay_alu instid0(SALU_CYCLE_2) | instskip(NEXT) | instid1(SALU_CYCLE_1)
	s_mul_i32 s20, s20, s3
	s_mul_hi_u32 s20, s3, s20
	s_delay_alu instid0(SALU_CYCLE_1) | instskip(SKIP_4) | instid1(SALU_CYCLE_1)
	s_add_co_i32 s3, s3, s20
	s_wait_alu 0xfffe
	s_mul_hi_u32 s3, s21, s3
	s_wait_alu 0xfffe
	s_mul_i32 s20, s3, s2
	s_sub_co_i32 s20, s21, s20
	s_add_co_i32 s21, s3, 1
	s_sub_co_i32 s22, s20, s2
	s_cmp_ge_u32 s20, s2
	s_cselect_b32 s3, s21, s3
	s_cselect_b32 s20, s22, s20
	s_wait_alu 0xfffe
	s_add_co_i32 s21, s3, 1
	s_cmp_ge_u32 s20, s2
	s_cselect_b32 s28, s21, s3
	s_abs_i32 s3, s6
	s_mov_b32 s21, exec_lo
	s_wait_alu 0xfffe
	s_cvt_f32_u32 s2, s3
	s_wait_alu 0xfffe
	s_delay_alu instid0(SALU_CYCLE_2) | instskip(SKIP_3) | instid1(TRANS32_DEP_1)
	v_rcp_iflag_f32_e32 v1, s2
	s_mul_i32 s2, s19, s7
	s_wait_alu 0xfffe
	s_mul_i32 s6, s2, s10
	v_readfirstlane_b32 s20, v1
	v_cmpx_gt_i32_e64 s6, v0
	s_cbranch_execz .LBB18_20
; %bb.1:
	s_mul_f32 s30, s20, 0x4f7ffffe
	s_xor_b32 s31, ttmp9, s9
	s_sub_co_i32 s33, 0, s3
	s_ashr_i32 s34, s31, 31
	s_cvt_u32_f32 s30, s30
	s_xor_b32 s28, s28, s34
	s_mov_b32 s31, s29
	s_sub_co_i32 s34, s28, s34
	s_mul_i32 s33, s33, s30
	s_abs_i32 s28, s34
	s_mul_hi_u32 s33, s30, s33
	s_load_b256 s[20:27], s[0:1], 0x0
	s_add_co_i32 s30, s30, s33
	s_mul_i32 s33, s19, s8
	s_mul_u64 s[30:31], s[28:29], s[30:31]
	s_ashr_i32 s19, s34, 31
	s_mul_i32 s30, s31, s3
	s_mul_i32 s34, s34, s9
	s_sub_co_i32 s28, s28, s30
	s_sub_co_i32 s34, ttmp9, s34
	s_sub_co_i32 s31, s28, s3
	s_cmp_ge_u32 s28, s3
	s_mov_b32 s40, s10
	s_cselect_b32 s28, s31, s28
	s_mov_b32 s38, s9
	s_sub_co_i32 s31, s28, s3
	s_cmp_ge_u32 s28, s3
	s_mov_b32 s30, s4
	s_cselect_b32 s3, s31, s28
	s_ashr_i32 s41, s10, 31
	s_wait_alu 0xfffe
	s_xor_b32 s3, s3, s19
	s_wait_kmcnt 0x0
	v_cmp_neq_f64_e64 s28, s[24:25], 1.0
	s_wait_alu 0xfffe
	s_sub_co_i32 s42, s3, s19
	v_cmp_neq_f64_e64 s10, s[26:27], 0
	s_ashr_i32 s39, s9, 31
	s_ashr_i32 s43, s42, 31
	;; [unrolled: 1-line block ×3, first 2 shown]
	s_mul_u64 s[38:39], s[42:43], s[38:39]
	s_ashr_i32 s35, s34, 31
	s_wait_alu 0xfffe
	s_mul_u64 s[40:41], s[2:3], s[40:41]
	s_add_nc_u64 s[38:39], s[38:39], s[34:35]
	s_ashr_i32 s31, s4, 31
	s_mul_u64 s[38:39], s[40:41], s[38:39]
	s_ashr_i32 s35, s5, 31
	s_ashr_i32 s44, s33, 31
	s_lshl_b64 s[38:39], s[38:39], 1
	s_cmp_lt_i32 s17, 1
	s_mul_i32 s4, s34, s11
	s_cselect_b32 s45, -1, 0
	s_sub_co_i32 s15, s4, s15
	s_load_b64 s[36:37], s[0:1], 0x20
	s_cmp_gt_i32 s18, 0
	s_load_b32 s0, s[0:1], 0xec
	s_cselect_b32 s46, -1, 0
	s_cmp_gt_i32 s8, 0
	s_mov_b32 s34, s5
	s_cselect_b32 s1, -1, 0
	s_abs_i32 s47, s2
	s_abs_i32 s48, s7
	s_cvt_f32_u32 s9, s47
	s_cvt_f32_u32 s11, s48
	s_mul_u64 s[4:5], s[34:35], s[30:31]
	s_ashr_i32 s19, s18, 31
	v_rcp_iflag_f32_e32 v1, s9
	v_rcp_iflag_f32_e32 v2, s11
	s_mul_u64 s[42:43], s[4:5], s[42:43]
	s_ashr_i32 s9, s8, 31
	s_mov_b32 s40, s17
	s_ashr_i32 s41, s17, 31
	s_wait_alu 0xfffe
	s_mul_u64 s[52:53], s[18:19], s[8:9]
	s_wait_kmcnt 0x0
	s_add_nc_u64 s[4:5], s[36:37], s[38:39]
	s_or_b32 s51, s28, s10
	s_and_b32 s50, s0, 0xffff
	v_readfirstlane_b32 s11, v1
	v_readfirstlane_b32 s36, v2
	s_sub_co_i32 s28, 0, s47
	v_mov_b32_e32 v18, 0x7e00
	s_mul_u64 s[38:39], s[52:53], s[40:41]
	s_mul_f32 s0, s11, 0x4f7ffffe
	s_mul_f32 s10, s36, 0x4f7ffffe
	s_sub_co_i32 s36, 0, s48
	s_mov_b32 s31, s7
	s_cvt_u32_f32 s0, s0
	s_wait_alu 0xfffe
	s_cvt_u32_f32 s37, s10
	s_lshl_b64 s[10:11], s[8:9], 1
	s_ashr_i32 s49, s7, 31
	s_mul_i32 s28, s28, s0
	s_mul_i32 s36, s36, s37
	s_mul_hi_u32 s9, s0, s28
	s_mul_hi_u32 s19, s37, s36
	s_wait_alu 0xfffe
	s_add_co_i32 s9, s0, s9
	s_add_co_i32 s19, s37, s19
	s_lshl_b64 s[36:37], s[42:43], 1
	s_lshl_b64 s[38:39], s[38:39], 1
	;; [unrolled: 1-line block ×3, first 2 shown]
	s_mov_b32 s52, 0
	s_branch .LBB18_3
.LBB18_2:                               ;   in Loop: Header=BB18_3 Depth=1
	v_add_nc_u32_e32 v0, s50, v0
	s_delay_alu instid0(VALU_DEP_1) | instskip(SKIP_1) | instid1(SALU_CYCLE_1)
	v_cmp_le_i32_e32 vcc_lo, s6, v0
	s_or_b32 s52, vcc_lo, s52
	s_and_not1_b32 exec_lo, exec_lo, s52
	s_cbranch_execz .LBB18_20
.LBB18_3:                               ; =>This Loop Header: Depth=1
                                        ;     Child Loop BB18_8 Depth 2
                                        ;       Child Loop BB18_11 Depth 3
                                        ;         Child Loop BB18_14 Depth 4
	v_sub_nc_u32_e32 v1, 0, v0
	s_mov_b32 s0, -1
                                        ; implicit-def: $vgpr5_vgpr6
	s_delay_alu instid0(VALU_DEP_1) | instskip(SKIP_1) | instid1(VALU_DEP_1)
	v_max_i32_e32 v1, v0, v1
	s_wait_alu 0xfffe
	v_mul_hi_u32 v2, v1, s9
	s_delay_alu instid0(VALU_DEP_1) | instskip(NEXT) | instid1(VALU_DEP_1)
	v_mul_lo_u32 v3, v2, s47
	v_sub_nc_u32_e32 v1, v1, v3
	v_add_nc_u32_e32 v3, 1, v2
	s_delay_alu instid0(VALU_DEP_2) | instskip(SKIP_2) | instid1(VALU_DEP_2)
	v_subrev_nc_u32_e32 v4, s47, v1
	v_cmp_le_u32_e32 vcc_lo, s47, v1
	s_wait_alu 0xfffd
	v_dual_cndmask_b32 v2, v2, v3 :: v_dual_cndmask_b32 v1, v1, v4
	v_ashrrev_i32_e32 v3, 31, v0
	s_delay_alu instid0(VALU_DEP_2) | instskip(NEXT) | instid1(VALU_DEP_3)
	v_add_nc_u32_e32 v4, 1, v2
	v_cmp_le_u32_e32 vcc_lo, s47, v1
	s_delay_alu instid0(VALU_DEP_3) | instskip(SKIP_1) | instid1(VALU_DEP_3)
	v_xor_b32_e32 v3, s3, v3
	s_wait_alu 0xfffd
	v_cndmask_b32_e32 v1, v2, v4, vcc_lo
	s_delay_alu instid0(VALU_DEP_1) | instskip(NEXT) | instid1(VALU_DEP_1)
	v_xor_b32_e32 v1, v1, v3
	v_sub_nc_u32_e32 v19, v1, v3
	s_delay_alu instid0(VALU_DEP_1) | instskip(NEXT) | instid1(VALU_DEP_1)
	v_mul_lo_u32 v1, v19, s2
	v_sub_nc_u32_e32 v7, v0, v1
	s_delay_alu instid0(VALU_DEP_1) | instskip(SKIP_1) | instid1(VALU_DEP_2)
	v_sub_nc_u32_e32 v1, 0, v7
	v_ashrrev_i32_e32 v8, 31, v7
	v_max_i32_e32 v1, v7, v1
	s_delay_alu instid0(VALU_DEP_1) | instskip(NEXT) | instid1(VALU_DEP_1)
	v_mul_hi_u32 v2, v1, s19
	v_mul_lo_u32 v3, v2, s48
	s_delay_alu instid0(VALU_DEP_1) | instskip(SKIP_1) | instid1(VALU_DEP_2)
	v_sub_nc_u32_e32 v1, v1, v3
	v_add_nc_u32_e32 v3, 1, v2
	v_subrev_nc_u32_e32 v4, s48, v1
	v_cmp_le_u32_e32 vcc_lo, s48, v1
	s_wait_alu 0xfffd
	s_delay_alu instid0(VALU_DEP_2) | instskip(SKIP_1) | instid1(VALU_DEP_2)
	v_dual_cndmask_b32 v2, v2, v3 :: v_dual_cndmask_b32 v1, v1, v4
	v_xor_b32_e32 v4, s49, v8
	v_add_nc_u32_e32 v3, 1, v2
	s_delay_alu instid0(VALU_DEP_3) | instskip(SKIP_1) | instid1(VALU_DEP_2)
	v_cmp_le_u32_e32 vcc_lo, s48, v1
	s_wait_alu 0xfffd
	v_cndmask_b32_e32 v1, v2, v3, vcc_lo
	s_and_not1_b32 vcc_lo, exec_lo, s45
	s_delay_alu instid0(VALU_DEP_1) | instskip(NEXT) | instid1(VALU_DEP_1)
	v_xor_b32_e32 v1, v1, v4
	v_sub_nc_u32_e32 v9, v1, v4
	s_delay_alu instid0(VALU_DEP_1) | instskip(NEXT) | instid1(VALU_DEP_1)
	v_mul_lo_u32 v10, v9, s7
	v_sub_nc_u32_e32 v3, v7, v10
	s_delay_alu instid0(VALU_DEP_1)
	v_ashrrev_i32_e32 v4, 31, v3
	s_wait_alu 0xfffe
	s_cbranch_vccnz .LBB18_5
; %bb.4:                                ;   in Loop: Header=BB18_3 Depth=1
	v_mad_co_i64_i32 v[5:6], null, v9, s31, 0
	s_mov_b32 s0, 0
.LBB18_5:                               ;   in Loop: Header=BB18_3 Depth=1
	v_mov_b32_e32 v1, 0
	v_mov_b32_e32 v2, 0
	s_wait_alu 0xfffe
	s_and_not1_b32 vcc_lo, exec_lo, s0
	s_wait_alu 0xfffe
	s_cbranch_vccnz .LBB18_16
; %bb.6:                                ;   in Loop: Header=BB18_3 Depth=1
	v_mad_co_i64_i32 v[5:6], null, v9, s31, 0
	v_ashrrev_i32_e32 v2, 31, v10
	v_ashrrev_i32_e32 v11, 31, v9
	v_mul_lo_u32 v1, v19, s12
	v_mul_lo_u32 v12, s11, v9
	s_mov_b32 s53, 0
	s_mov_b32 s28, s15
	v_add_co_u32 v7, vcc_lo, v5, v7
	s_wait_alu 0xfffd
	v_add_co_ci_u32_e64 v8, null, v6, v8, vcc_lo
	v_mul_lo_u32 v13, s10, v11
	s_delay_alu instid0(VALU_DEP_3) | instskip(SKIP_1) | instid1(VALU_DEP_3)
	v_sub_co_u32 v10, vcc_lo, v7, v10
	s_wait_alu 0xfffd
	v_sub_co_ci_u32_e64 v2, null, v8, v2, vcc_lo
	v_mad_co_u64_u32 v[7:8], null, s10, v9, s[20:21]
	s_delay_alu instid0(VALU_DEP_3) | instskip(NEXT) | instid1(VALU_DEP_3)
	v_mul_lo_u32 v15, s39, v10
	v_mul_lo_u32 v14, s38, v2
	v_mad_co_u64_u32 v[9:10], null, s38, v10, s[22:23]
	v_subrev_nc_u32_e32 v11, s16, v1
	v_mov_b32_e32 v1, 0
	v_add3_u32 v8, v12, v8, v13
	v_mov_b32_e32 v2, 0
	v_add3_u32 v10, v15, v10, v14
	s_branch .LBB18_8
.LBB18_7:                               ;   in Loop: Header=BB18_8 Depth=2
	v_add_co_u32 v9, vcc_lo, v9, s40
	s_wait_alu 0xfffd
	v_add_co_ci_u32_e64 v10, null, s41, v10, vcc_lo
	s_add_co_i32 s53, s53, 1
	s_add_co_i32 s28, s28, s13
	s_cmp_eq_u32 s53, s17
	s_cbranch_scc1 .LBB18_16
.LBB18_8:                               ;   Parent Loop BB18_3 Depth=1
                                        ; =>  This Loop Header: Depth=2
                                        ;       Child Loop BB18_11 Depth 3
                                        ;         Child Loop BB18_14 Depth 4
	s_and_not1_b32 vcc_lo, exec_lo, s46
	s_wait_alu 0xfffe
	s_cbranch_vccnz .LBB18_7
; %bb.9:                                ;   in Loop: Header=BB18_8 Depth=2
	s_mul_i32 s0, s53, s13
	v_dual_mov_b32 v13, v10 :: v_dual_mov_b32 v12, v9
	s_wait_alu 0xfffe
	s_add_co_i32 s0, s0, s15
	v_mov_b32_e32 v20, v11
	s_wait_alu 0xfffe
	s_cmp_lt_i32 s0, 0
	s_mul_u64 s[42:43], s[34:35], s[28:29]
	s_cselect_b32 s55, -1, 0
	s_cmp_ge_i32 s0, s30
	s_mov_b32 s54, 0
	s_cselect_b32 s0, -1, 0
	s_wait_alu 0xfffe
	s_or_b32 s55, s55, s0
	s_branch .LBB18_11
.LBB18_10:                              ;   in Loop: Header=BB18_11 Depth=3
	v_add_co_u32 v12, vcc_lo, v12, s10
	v_add_nc_u32_e32 v20, s14, v20
	s_wait_alu 0xfffd
	v_add_co_ci_u32_e64 v13, null, s11, v13, vcc_lo
	s_add_co_i32 s54, s54, 1
	s_wait_alu 0xfffe
	s_cmp_eq_u32 s54, s18
	s_cbranch_scc1 .LBB18_7
.LBB18_11:                              ;   Parent Loop BB18_3 Depth=1
                                        ;     Parent Loop BB18_8 Depth=2
                                        ; =>    This Loop Header: Depth=3
                                        ;         Child Loop BB18_14 Depth 4
	s_and_not1_b32 vcc_lo, exec_lo, s1
	s_wait_alu 0xfffe
	s_cbranch_vccnz .LBB18_10
; %bb.12:                               ;   in Loop: Header=BB18_11 Depth=3
	v_add_co_u32 v14, s0, s42, v20
	s_wait_alu 0xf1ff
	v_add_co_ci_u32_e64 v15, null, s43, 0, s0
	v_mad_co_u64_u32 v[16:17], null, s54, s14, v[11:12]
	s_mov_b32 s56, s8
	v_lshlrev_b64_e32 v[14:15], 1, v[14:15]
	v_cmp_le_i32_e64 s0, s34, v16
	s_delay_alu instid0(VALU_DEP_2) | instskip(SKIP_1) | instid1(VALU_DEP_3)
	v_add_co_u32 v14, vcc_lo, s36, v14
	s_wait_alu 0xfffd
	v_add_co_ci_u32_e64 v15, null, s37, v15, vcc_lo
	v_cmp_gt_i32_e32 vcc_lo, 0, v16
	s_delay_alu instid0(VALU_DEP_3) | instskip(NEXT) | instid1(VALU_DEP_3)
	v_mul_lo_u32 v21, s44, v14
	v_mul_lo_u32 v17, s33, v15
	v_mad_co_u64_u32 v[14:15], null, s33, v14, v[7:8]
	s_or_b32 s0, vcc_lo, s0
	s_wait_alu 0xfffe
	s_nor_b32 s0, s55, s0
	v_add3_u32 v15, v21, v15, v17
	v_dual_mov_b32 v17, v13 :: v_dual_mov_b32 v16, v12
	s_branch .LBB18_14
.LBB18_13:                              ;   in Loop: Header=BB18_14 Depth=4
	s_or_b32 exec_lo, exec_lo, s57
	v_add_co_u32 v14, vcc_lo, v14, 2
	s_wait_alu 0xfffd
	v_add_co_ci_u32_e64 v15, null, 0, v15, vcc_lo
	v_add_co_u32 v16, vcc_lo, v16, 2
	s_wait_alu 0xfffd
	v_add_co_ci_u32_e64 v17, null, 0, v17, vcc_lo
	s_add_co_i32 s56, s56, -1
	s_delay_alu instid0(SALU_CYCLE_1)
	s_cmp_eq_u32 s56, 0
	s_cbranch_scc1 .LBB18_10
.LBB18_14:                              ;   Parent Loop BB18_3 Depth=1
                                        ;     Parent Loop BB18_8 Depth=2
                                        ;       Parent Loop BB18_11 Depth=3
                                        ; =>      This Inner Loop Header: Depth=4
	s_wait_alu 0xfffe
	s_and_saveexec_b32 s57, s0
	s_cbranch_execz .LBB18_13
; %bb.15:                               ;   in Loop: Header=BB18_14 Depth=4
	global_load_u16 v21, v[14:15], off
	global_load_u16 v22, v[16:17], off
	s_wait_loadcnt 0x1
	v_cvt_f32_f16_e32 v21, v21
	s_wait_loadcnt 0x0
	v_cvt_f32_f16_e32 v23, v22
	s_delay_alu instid0(VALU_DEP_2) | instskip(NEXT) | instid1(VALU_DEP_2)
	v_cvt_f64_f32_e32 v[21:22], v21
	v_cvt_f64_f32_e32 v[23:24], v23
	s_delay_alu instid0(VALU_DEP_1)
	v_fma_f64 v[1:2], v[21:22], v[23:24], v[1:2]
	s_branch .LBB18_13
.LBB18_16:                              ;   in Loop: Header=BB18_3 Depth=1
	v_mad_co_i64_i32 v[3:4], null, v19, s2, v[3:4]
	s_mov_b32 s0, -1
	v_add_co_u32 v3, vcc_lo, v3, v5
	s_wait_alu 0xfffd
	v_add_co_ci_u32_e64 v4, null, v4, v6, vcc_lo
	s_and_b32 vcc_lo, exec_lo, s51
	v_lshlrev_b64_e32 v[3:4], 1, v[3:4]
	s_wait_alu 0xfffe
	s_cbranch_vccz .LBB18_18
; %bb.17:                               ;   in Loop: Header=BB18_3 Depth=1
	s_delay_alu instid0(VALU_DEP_1) | instskip(SKIP_1) | instid1(VALU_DEP_2)
	v_add_co_u32 v5, vcc_lo, s4, v3
	s_wait_alu 0xfffd
	v_add_co_ci_u32_e64 v6, null, s5, v4, vcc_lo
	s_mov_b32 s0, 0
	global_load_u16 v7, v[5:6], off
	s_wait_loadcnt 0x0
	v_cvt_f32_f16_e32 v7, v7
	s_delay_alu instid0(VALU_DEP_1) | instskip(NEXT) | instid1(VALU_DEP_1)
	v_cvt_f64_f32_e32 v[7:8], v7
	v_mul_f64_e32 v[7:8], s[26:27], v[7:8]
	s_delay_alu instid0(VALU_DEP_1) | instskip(NEXT) | instid1(VALU_DEP_1)
	v_fma_f64 v[7:8], s[24:25], v[1:2], v[7:8]
	v_and_or_b32 v7, 0x1ff, v8, v7
	v_lshrrev_b32_e32 v9, 8, v8
	v_bfe_u32 v10, v8, 20, 11
	v_lshrrev_b32_e32 v8, 16, v8
	s_delay_alu instid0(VALU_DEP_4) | instskip(NEXT) | instid1(VALU_DEP_3)
	v_cmp_ne_u32_e32 vcc_lo, 0, v7
	v_sub_nc_u32_e32 v11, 0x3f1, v10
	s_wait_alu 0xfffd
	v_cndmask_b32_e64 v7, 0, 1, vcc_lo
	s_delay_alu instid0(VALU_DEP_1) | instskip(NEXT) | instid1(VALU_DEP_3)
	v_and_or_b32 v7, 0xffe, v9, v7
	v_med3_i32 v9, v11, 0, 13
	s_delay_alu instid0(VALU_DEP_2) | instskip(NEXT) | instid1(VALU_DEP_1)
	v_or_b32_e32 v11, 0x1000, v7
	v_lshrrev_b32_e32 v12, v9, v11
	s_delay_alu instid0(VALU_DEP_1) | instskip(NEXT) | instid1(VALU_DEP_1)
	v_lshlrev_b32_e32 v9, v9, v12
	v_cmp_ne_u32_e32 vcc_lo, v9, v11
	s_wait_alu 0xfffd
	v_cndmask_b32_e64 v9, 0, 1, vcc_lo
	s_delay_alu instid0(VALU_DEP_1) | instskip(SKIP_1) | instid1(VALU_DEP_1)
	v_or_b32_e32 v9, v12, v9
	v_add_nc_u32_e32 v10, 0xfffffc10, v10
	v_lshl_or_b32 v11, v10, 12, v7
	v_cmp_gt_i32_e32 vcc_lo, 1, v10
	s_wait_alu 0xfffd
	s_delay_alu instid0(VALU_DEP_2) | instskip(NEXT) | instid1(VALU_DEP_1)
	v_cndmask_b32_e32 v9, v11, v9, vcc_lo
	v_and_b32_e32 v11, 7, v9
	v_lshrrev_b32_e32 v9, 2, v9
	s_delay_alu instid0(VALU_DEP_2)
	v_cmp_lt_i32_e32 vcc_lo, 5, v11
	s_wait_alu 0xfffd
	v_cndmask_b32_e64 v12, 0, 1, vcc_lo
	v_cmp_eq_u32_e32 vcc_lo, 3, v11
	s_wait_alu 0xfffd
	v_cndmask_b32_e64 v11, 0, 1, vcc_lo
	v_cmp_ne_u32_e32 vcc_lo, 0, v7
	s_delay_alu instid0(VALU_DEP_2) | instskip(SKIP_3) | instid1(VALU_DEP_3)
	v_or_b32_e32 v11, v11, v12
	s_wait_alu 0xfffd
	v_cndmask_b32_e32 v7, 0x7c00, v18, vcc_lo
	v_cmp_gt_i32_e32 vcc_lo, 31, v10
	v_add_nc_u32_e32 v9, v9, v11
	s_wait_alu 0xfffd
	s_delay_alu instid0(VALU_DEP_1) | instskip(SKIP_2) | instid1(VALU_DEP_2)
	v_cndmask_b32_e32 v9, 0x7c00, v9, vcc_lo
	v_cmp_eq_u32_e32 vcc_lo, 0x40f, v10
	s_wait_alu 0xfffd
	v_cndmask_b32_e32 v7, v9, v7, vcc_lo
	s_delay_alu instid0(VALU_DEP_1)
	v_and_or_b32 v7, 0x8000, v8, v7
	global_store_b16 v[5:6], v7, off
.LBB18_18:                              ;   in Loop: Header=BB18_3 Depth=1
	s_wait_alu 0xfffe
	s_and_not1_b32 vcc_lo, exec_lo, s0
	s_wait_alu 0xfffe
	s_cbranch_vccnz .LBB18_2
; %bb.19:                               ;   in Loop: Header=BB18_3 Depth=1
	v_and_or_b32 v1, 0x1ff, v2, v1
	v_lshrrev_b32_e32 v5, 8, v2
	v_bfe_u32 v6, v2, 20, 11
	v_lshrrev_b32_e32 v2, 16, v2
	s_delay_alu instid0(VALU_DEP_4) | instskip(NEXT) | instid1(VALU_DEP_3)
	v_cmp_ne_u32_e32 vcc_lo, 0, v1
	v_sub_nc_u32_e32 v7, 0x3f1, v6
	s_wait_alu 0xfffd
	v_cndmask_b32_e64 v1, 0, 1, vcc_lo
	s_delay_alu instid0(VALU_DEP_1) | instskip(NEXT) | instid1(VALU_DEP_3)
	v_and_or_b32 v1, 0xffe, v5, v1
	v_med3_i32 v5, v7, 0, 13
	s_delay_alu instid0(VALU_DEP_2) | instskip(NEXT) | instid1(VALU_DEP_1)
	v_or_b32_e32 v7, 0x1000, v1
	v_lshrrev_b32_e32 v8, v5, v7
	s_delay_alu instid0(VALU_DEP_1) | instskip(NEXT) | instid1(VALU_DEP_1)
	v_lshlrev_b32_e32 v5, v5, v8
	v_cmp_ne_u32_e32 vcc_lo, v5, v7
	s_wait_alu 0xfffd
	v_cndmask_b32_e64 v5, 0, 1, vcc_lo
	s_delay_alu instid0(VALU_DEP_1) | instskip(SKIP_1) | instid1(VALU_DEP_1)
	v_or_b32_e32 v5, v8, v5
	v_add_nc_u32_e32 v6, 0xfffffc10, v6
	v_lshl_or_b32 v7, v6, 12, v1
	v_cmp_gt_i32_e32 vcc_lo, 1, v6
	s_wait_alu 0xfffd
	s_delay_alu instid0(VALU_DEP_2) | instskip(NEXT) | instid1(VALU_DEP_1)
	v_cndmask_b32_e32 v5, v7, v5, vcc_lo
	v_and_b32_e32 v7, 7, v5
	v_lshrrev_b32_e32 v5, 2, v5
	s_delay_alu instid0(VALU_DEP_2)
	v_cmp_lt_i32_e32 vcc_lo, 5, v7
	s_wait_alu 0xfffd
	v_cndmask_b32_e64 v8, 0, 1, vcc_lo
	v_cmp_eq_u32_e32 vcc_lo, 3, v7
	s_wait_alu 0xfffd
	v_cndmask_b32_e64 v7, 0, 1, vcc_lo
	v_cmp_ne_u32_e32 vcc_lo, 0, v1
	s_delay_alu instid0(VALU_DEP_2) | instskip(SKIP_3) | instid1(VALU_DEP_3)
	v_or_b32_e32 v7, v7, v8
	s_wait_alu 0xfffd
	v_cndmask_b32_e32 v1, 0x7c00, v18, vcc_lo
	v_cmp_gt_i32_e32 vcc_lo, 31, v6
	v_add_nc_u32_e32 v5, v5, v7
	s_wait_alu 0xfffd
	s_delay_alu instid0(VALU_DEP_1) | instskip(SKIP_2) | instid1(VALU_DEP_2)
	v_cndmask_b32_e32 v5, 0x7c00, v5, vcc_lo
	v_cmp_eq_u32_e32 vcc_lo, 0x40f, v6
	s_wait_alu 0xfffd
	v_cndmask_b32_e32 v1, v5, v1, vcc_lo
	s_delay_alu instid0(VALU_DEP_1)
	v_and_or_b32 v5, 0x8000, v2, v1
	v_add_co_u32 v1, vcc_lo, s4, v3
	s_wait_alu 0xfffd
	v_add_co_ci_u32_e64 v2, null, s5, v4, vcc_lo
	global_store_b16 v[1:2], v5, off
	s_branch .LBB18_2
.LBB18_20:
	s_endpgm
	.section	.rodata,"a",@progbits
	.p2align	6, 0x0
	.amdhsa_kernel naive_conv_ab_packed_fwd_nhwc_half_double_half_0
		.amdhsa_group_segment_fixed_size 0
		.amdhsa_private_segment_fixed_size 0
		.amdhsa_kernarg_size 480
		.amdhsa_user_sgpr_count 2
		.amdhsa_user_sgpr_dispatch_ptr 0
		.amdhsa_user_sgpr_queue_ptr 0
		.amdhsa_user_sgpr_kernarg_segment_ptr 1
		.amdhsa_user_sgpr_dispatch_id 0
		.amdhsa_user_sgpr_private_segment_size 0
		.amdhsa_wavefront_size32 1
		.amdhsa_uses_dynamic_stack 0
		.amdhsa_enable_private_segment 0
		.amdhsa_system_sgpr_workgroup_id_x 1
		.amdhsa_system_sgpr_workgroup_id_y 0
		.amdhsa_system_sgpr_workgroup_id_z 0
		.amdhsa_system_sgpr_workgroup_info 0
		.amdhsa_system_vgpr_workitem_id 0
		.amdhsa_next_free_vgpr 25
		.amdhsa_next_free_sgpr 58
		.amdhsa_reserve_vcc 1
		.amdhsa_float_round_mode_32 0
		.amdhsa_float_round_mode_16_64 0
		.amdhsa_float_denorm_mode_32 3
		.amdhsa_float_denorm_mode_16_64 3
		.amdhsa_fp16_overflow 0
		.amdhsa_workgroup_processor_mode 1
		.amdhsa_memory_ordered 1
		.amdhsa_forward_progress 1
		.amdhsa_inst_pref_size 19
		.amdhsa_round_robin_scheduling 0
		.amdhsa_exception_fp_ieee_invalid_op 0
		.amdhsa_exception_fp_denorm_src 0
		.amdhsa_exception_fp_ieee_div_zero 0
		.amdhsa_exception_fp_ieee_overflow 0
		.amdhsa_exception_fp_ieee_underflow 0
		.amdhsa_exception_fp_ieee_inexact 0
		.amdhsa_exception_int_div_zero 0
	.end_amdhsa_kernel
	.text
.Lfunc_end18:
	.size	naive_conv_ab_packed_fwd_nhwc_half_double_half_0, .Lfunc_end18-naive_conv_ab_packed_fwd_nhwc_half_double_half_0
                                        ; -- End function
	.set naive_conv_ab_packed_fwd_nhwc_half_double_half_0.num_vgpr, 25
	.set naive_conv_ab_packed_fwd_nhwc_half_double_half_0.num_agpr, 0
	.set naive_conv_ab_packed_fwd_nhwc_half_double_half_0.numbered_sgpr, 58
	.set naive_conv_ab_packed_fwd_nhwc_half_double_half_0.num_named_barrier, 0
	.set naive_conv_ab_packed_fwd_nhwc_half_double_half_0.private_seg_size, 0
	.set naive_conv_ab_packed_fwd_nhwc_half_double_half_0.uses_vcc, 1
	.set naive_conv_ab_packed_fwd_nhwc_half_double_half_0.uses_flat_scratch, 0
	.set naive_conv_ab_packed_fwd_nhwc_half_double_half_0.has_dyn_sized_stack, 0
	.set naive_conv_ab_packed_fwd_nhwc_half_double_half_0.has_recursion, 0
	.set naive_conv_ab_packed_fwd_nhwc_half_double_half_0.has_indirect_call, 0
	.section	.AMDGPU.csdata,"",@progbits
; Kernel info:
; codeLenInByte = 2348
; TotalNumSgprs: 60
; NumVgprs: 25
; ScratchSize: 0
; MemoryBound: 0
; FloatMode: 240
; IeeeMode: 1
; LDSByteSize: 0 bytes/workgroup (compile time only)
; SGPRBlocks: 0
; VGPRBlocks: 3
; NumSGPRsForWavesPerEU: 60
; NumVGPRsForWavesPerEU: 25
; Occupancy: 16
; WaveLimiterHint : 0
; COMPUTE_PGM_RSRC2:SCRATCH_EN: 0
; COMPUTE_PGM_RSRC2:USER_SGPR: 2
; COMPUTE_PGM_RSRC2:TRAP_HANDLER: 0
; COMPUTE_PGM_RSRC2:TGID_X_EN: 1
; COMPUTE_PGM_RSRC2:TGID_Y_EN: 0
; COMPUTE_PGM_RSRC2:TGID_Z_EN: 0
; COMPUTE_PGM_RSRC2:TIDIG_COMP_CNT: 0
	.text
	.protected	naive_conv_ab_nonpacked_fwd_nhwc_half_double_half_0 ; -- Begin function naive_conv_ab_nonpacked_fwd_nhwc_half_double_half_0
	.globl	naive_conv_ab_nonpacked_fwd_nhwc_half_double_half_0
	.p2align	8
	.type	naive_conv_ab_nonpacked_fwd_nhwc_half_double_half_0,@function
naive_conv_ab_nonpacked_fwd_nhwc_half_double_half_0: ; @naive_conv_ab_nonpacked_fwd_nhwc_half_double_half_0
; %bb.0:
	s_load_b512 s[4:19], s[0:1], 0xa0
	s_abs_i32 s21, ttmp9
	s_wait_kmcnt 0x0
	s_abs_i32 s2, s9
	s_delay_alu instid0(SALU_CYCLE_1) | instskip(SKIP_1) | instid1(SALU_CYCLE_2)
	s_cvt_f32_u32 s3, s2
	s_sub_co_i32 s20, 0, s2
	v_rcp_iflag_f32_e32 v1, s3
	s_delay_alu instid0(TRANS32_DEP_1) | instskip(SKIP_2) | instid1(SALU_CYCLE_2)
	v_readfirstlane_b32 s3, v1
	s_mul_f32 s3, s3, 0x4f7ffffe
	s_wait_alu 0xfffe
	s_cvt_u32_f32 s3, s3
	s_wait_alu 0xfffe
	s_delay_alu instid0(SALU_CYCLE_2) | instskip(NEXT) | instid1(SALU_CYCLE_1)
	s_mul_i32 s20, s20, s3
	s_mul_hi_u32 s20, s3, s20
	s_delay_alu instid0(SALU_CYCLE_1) | instskip(SKIP_4) | instid1(SALU_CYCLE_1)
	s_add_co_i32 s3, s3, s20
	s_wait_alu 0xfffe
	s_mul_hi_u32 s3, s21, s3
	s_wait_alu 0xfffe
	s_mul_i32 s20, s3, s2
	s_sub_co_i32 s20, s21, s20
	s_add_co_i32 s21, s3, 1
	s_sub_co_i32 s22, s20, s2
	s_cmp_ge_u32 s20, s2
	s_cselect_b32 s3, s21, s3
	s_cselect_b32 s20, s22, s20
	s_wait_alu 0xfffe
	s_add_co_i32 s21, s3, 1
	s_cmp_ge_u32 s20, s2
	s_mov_b32 s20, exec_lo
	s_cselect_b32 s2, s21, s3
	s_abs_i32 s33, s6
	s_mul_i32 s6, s19, s7
	s_cvt_f32_u32 s3, s33
	s_mul_i32 s19, s6, s10
	s_wait_alu 0xfffe
	s_delay_alu instid0(SALU_CYCLE_1) | instskip(SKIP_1) | instid1(TRANS32_DEP_1)
	v_rcp_iflag_f32_e32 v1, s3
	s_mov_b32 s3, 0
	v_readfirstlane_b32 s10, v1
	v_cmpx_gt_i32_e64 s19, v0
	s_cbranch_execz .LBB19_20
; %bb.1:
	s_mul_f32 s10, s10, 0x4f7ffffe
	s_xor_b32 s28, ttmp9, s9
	s_sub_co_i32 s30, 0, s33
	s_ashr_i32 s28, s28, 31
	s_cvt_u32_f32 s10, s10
	s_xor_b32 s2, s2, s28
	s_wait_alu 0xfffe
	s_mov_b32 s29, s3
	s_sub_co_i32 s38, s2, s28
	s_mul_i32 s30, s30, s10
	s_abs_i32 s2, s38
	s_mul_hi_u32 s28, s10, s30
	s_load_b256 s[20:27], s[0:1], 0x0
	s_add_co_i32 s28, s10, s28
	s_ashr_i32 s10, s38, 31
	s_mul_u64 s[36:37], s[2:3], s[28:29]
	s_clause 0x2
	s_load_b64 s[34:35], s[0:1], 0x20
	s_load_b64 s[60:61], s[0:1], 0x98
	s_load_b128 s[28:31], s[0:1], 0x88
	s_mul_i32 s36, s37, s33
	s_mul_i32 s38, s38, s9
	s_sub_co_i32 s2, s2, s36
	s_sub_co_i32 s62, ttmp9, s38
	s_wait_alu 0xfffe
	s_sub_co_i32 s9, s2, s33
	s_cmp_ge_u32 s2, s33
	s_load_b512 s[36:51], s[0:1], 0x28
	s_cselect_b32 s2, s9, s2
	s_load_b256 s[52:59], s[0:1], 0x68
	s_sub_co_i32 s9, s2, s33
	s_cmp_ge_u32 s2, s33
	s_load_b32 s68, s[0:1], 0xec
	s_cselect_b32 s0, s9, s2
	s_ashr_i32 s63, s62, 31
	s_xor_b32 s0, s0, s10
	s_wait_kmcnt 0x0
	v_cmp_neq_f64_e64 s69, s[24:25], 1.0
	s_sub_co_i32 s64, s0, s10
	v_cmp_neq_f64_e64 s70, s[26:27], 0
	s_ashr_i32 s65, s64, 31
	s_mul_u64 s[0:1], s[30:31], s[62:63]
	s_mul_u64 s[30:31], s[60:61], s[64:65]
	s_lshl_b64 s[66:67], s[0:1], 1
	s_lshl_b64 s[30:31], s[30:31], 1
	s_cmp_lt_i32 s17, 1
	s_mul_i32 s0, s62, s11
	s_cselect_b32 s1, -1, 0
	s_sub_co_i32 s2, s0, s15
	s_cmp_gt_i32 s18, 0
	s_add_nc_u64 s[10:11], s[34:35], s[30:31]
	s_cselect_b32 s9, -1, 0
	s_cmp_gt_i32 s8, 0
	s_mul_u64 s[64:65], s[44:45], s[64:65]
	s_cselect_b32 s15, -1, 0
	s_abs_i32 s33, s6
	s_abs_i32 s60, s7
	s_cvt_f32_u32 s0, s33
	s_cvt_f32_u32 s61, s60
	s_lshl_b64 s[30:31], s[52:53], 1
	s_lshl_b64 s[34:35], s[54:55], 1
	v_rcp_iflag_f32_e32 v1, s0
	v_rcp_iflag_f32_e32 v2, s61
	s_sub_co_i32 s53, 0, s33
	s_sub_co_i32 s54, 0, s60
	s_lshl_b64 s[44:45], s[50:51], 1
	s_lshl_b64 s[50:51], s[64:65], 1
	v_mov_b32_e32 v16, 0x7e00
	s_add_nc_u64 s[20:21], s[20:21], s[50:51]
	s_add_nc_u64 s[10:11], s[10:11], s[66:67]
	s_and_b32 s61, s68, 0xffff
	v_readfirstlane_b32 s0, v1
	v_readfirstlane_b32 s52, v2
	s_ashr_i32 s62, s6, 31
	s_ashr_i32 s63, s7, 31
	s_lshl_b64 s[48:49], s[48:49], 1
	s_mul_f32 s0, s0, 0x4f7ffffe
	s_mul_f32 s52, s52, 0x4f7ffffe
	s_lshl_b64 s[46:47], s[46:47], 1
	s_or_b32 s50, s69, s70
	s_wait_alu 0xfffe
	s_cvt_u32_f32 s0, s0
	s_cvt_u32_f32 s52, s52
	s_lshl_b64 s[38:39], s[38:39], 1
	s_lshl_b64 s[42:43], s[42:43], 1
	s_wait_alu 0xfffe
	s_mul_i32 s53, s53, s0
	s_mul_i32 s54, s54, s52
	s_mul_hi_u32 s51, s0, s53
	s_mul_hi_u32 s53, s52, s54
	s_add_co_i32 s51, s0, s51
	s_add_co_i32 s52, s52, s53
	s_lshl_b64 s[40:41], s[40:41], 1
	s_lshl_b64 s[36:37], s[36:37], 1
	s_branch .LBB19_3
.LBB19_2:                               ;   in Loop: Header=BB19_3 Depth=1
	v_add_nc_u32_e32 v0, s61, v0
	s_delay_alu instid0(VALU_DEP_1)
	v_cmp_le_i32_e32 vcc_lo, s19, v0
	s_or_b32 s3, vcc_lo, s3
	s_wait_alu 0xfffe
	s_and_not1_b32 exec_lo, exec_lo, s3
	s_cbranch_execz .LBB19_20
.LBB19_3:                               ; =>This Loop Header: Depth=1
                                        ;     Child Loop BB19_8 Depth 2
                                        ;       Child Loop BB19_11 Depth 3
                                        ;         Child Loop BB19_14 Depth 4
	v_sub_nc_u32_e32 v1, 0, v0
	s_mov_b32 s0, -1
	s_delay_alu instid0(VALU_DEP_1) | instskip(NEXT) | instid1(VALU_DEP_1)
	v_max_i32_e32 v1, v0, v1
	v_mul_hi_u32 v2, v1, s51
	s_delay_alu instid0(VALU_DEP_1) | instskip(NEXT) | instid1(VALU_DEP_1)
	v_mul_lo_u32 v3, v2, s33
	v_sub_nc_u32_e32 v1, v1, v3
	v_add_nc_u32_e32 v3, 1, v2
	s_delay_alu instid0(VALU_DEP_2) | instskip(SKIP_2) | instid1(VALU_DEP_2)
	v_subrev_nc_u32_e32 v4, s33, v1
	v_cmp_le_u32_e32 vcc_lo, s33, v1
	s_wait_alu 0xfffd
	v_dual_cndmask_b32 v2, v2, v3 :: v_dual_cndmask_b32 v1, v1, v4
	v_ashrrev_i32_e32 v3, 31, v0
	s_delay_alu instid0(VALU_DEP_2) | instskip(NEXT) | instid1(VALU_DEP_3)
	v_add_nc_u32_e32 v4, 1, v2
	v_cmp_le_u32_e32 vcc_lo, s33, v1
	s_delay_alu instid0(VALU_DEP_3) | instskip(SKIP_1) | instid1(VALU_DEP_3)
	v_xor_b32_e32 v3, s62, v3
	s_wait_alu 0xfffd
	v_cndmask_b32_e32 v1, v2, v4, vcc_lo
	s_delay_alu instid0(VALU_DEP_1) | instskip(NEXT) | instid1(VALU_DEP_1)
	v_xor_b32_e32 v1, v1, v3
	v_sub_nc_u32_e32 v17, v1, v3
	s_delay_alu instid0(VALU_DEP_1) | instskip(NEXT) | instid1(VALU_DEP_1)
	v_mul_lo_u32 v1, v17, s6
	v_sub_nc_u32_e32 v3, v0, v1
	s_delay_alu instid0(VALU_DEP_1) | instskip(NEXT) | instid1(VALU_DEP_1)
	v_sub_nc_u32_e32 v1, 0, v3
	v_max_i32_e32 v1, v3, v1
	s_delay_alu instid0(VALU_DEP_1) | instskip(NEXT) | instid1(VALU_DEP_1)
	v_mul_hi_u32 v2, v1, s52
	v_mul_lo_u32 v4, v2, s60
	s_delay_alu instid0(VALU_DEP_1) | instskip(SKIP_1) | instid1(VALU_DEP_2)
	v_sub_nc_u32_e32 v1, v1, v4
	v_add_nc_u32_e32 v4, 1, v2
	v_subrev_nc_u32_e32 v5, s60, v1
	v_cmp_le_u32_e32 vcc_lo, s60, v1
	s_wait_alu 0xfffd
	s_delay_alu instid0(VALU_DEP_2) | instskip(SKIP_1) | instid1(VALU_DEP_2)
	v_dual_cndmask_b32 v2, v2, v4 :: v_dual_cndmask_b32 v1, v1, v5
	v_ashrrev_i32_e32 v4, 31, v3
	v_add_nc_u32_e32 v5, 1, v2
	s_delay_alu instid0(VALU_DEP_3) | instskip(NEXT) | instid1(VALU_DEP_3)
	v_cmp_le_u32_e32 vcc_lo, s60, v1
	v_xor_b32_e32 v6, s63, v4
	s_wait_alu 0xfffd
	s_delay_alu instid0(VALU_DEP_3) | instskip(SKIP_1) | instid1(VALU_DEP_1)
	v_cndmask_b32_e32 v1, v2, v5, vcc_lo
	s_and_not1_b32 vcc_lo, exec_lo, s1
	v_xor_b32_e32 v1, v1, v6
	s_delay_alu instid0(VALU_DEP_1) | instskip(NEXT) | instid1(VALU_DEP_1)
	v_sub_nc_u32_e32 v18, v1, v6
	v_mul_lo_u32 v5, v18, s7
	v_ashrrev_i32_e32 v19, 31, v18
	s_delay_alu instid0(VALU_DEP_2) | instskip(NEXT) | instid1(VALU_DEP_1)
	v_sub_nc_u32_e32 v20, v3, v5
	v_ashrrev_i32_e32 v21, 31, v20
	s_wait_alu 0xfffe
	s_cbranch_vccnz .LBB19_5
; %bb.4:                                ;   in Loop: Header=BB19_3 Depth=1
	s_mov_b32 s0, 0
.LBB19_5:                               ;   in Loop: Header=BB19_3 Depth=1
	v_mov_b32_e32 v1, 0
	v_mov_b32_e32 v2, 0
	s_wait_alu 0xfffe
	s_and_not1_b32 vcc_lo, exec_lo, s0
	s_wait_alu 0xfffe
	s_cbranch_vccnz .LBB19_16
; %bb.6:                                ;   in Loop: Header=BB19_3 Depth=1
	v_mul_lo_u32 v6, s35, v18
	v_mul_lo_u32 v7, s34, v19
	v_mad_co_u64_u32 v[1:2], null, s34, v18, 0
	v_ashrrev_i32_e32 v8, 31, v5
	v_sub_co_u32 v3, vcc_lo, v3, v5
	v_mul_lo_u32 v9, v17, s12
	v_mul_lo_u32 v10, s39, v18
	s_wait_alu 0xfffd
	v_sub_co_ci_u32_e64 v4, null, v4, v8, vcc_lo
	v_add3_u32 v2, v2, v7, v6
	v_mul_lo_u32 v5, s31, v3
	v_mul_lo_u32 v11, s38, v19
	s_delay_alu instid0(VALU_DEP_4)
	v_mul_lo_u32 v8, s30, v4
	s_mov_b32 s53, 0
	v_mad_co_u64_u32 v[6:7], null, s30, v3, v[1:2]
	v_mad_co_u64_u32 v[3:4], null, s38, v18, s[20:21]
	v_mov_b32_e32 v1, 0
	v_mov_b32_e32 v2, 0
	s_mov_b32 s54, s2
	s_delay_alu instid0(VALU_DEP_4)
	v_add3_u32 v7, v5, v7, v8
	v_add_co_u32 v6, vcc_lo, s22, v6
	v_subrev_nc_u32_e32 v5, s16, v9
	v_add3_u32 v4, v10, v4, v11
	s_wait_alu 0xfffd
	v_add_co_ci_u32_e64 v7, null, s23, v7, vcc_lo
	s_branch .LBB19_8
.LBB19_7:                               ;   in Loop: Header=BB19_8 Depth=2
	v_add_co_u32 v6, vcc_lo, v6, s44
	s_wait_alu 0xfffd
	v_add_co_ci_u32_e64 v7, null, s45, v7, vcc_lo
	s_add_co_i32 s53, s53, 1
	s_add_co_i32 s54, s54, s13
	s_wait_alu 0xfffe
	s_cmp_eq_u32 s53, s17
	s_cbranch_scc1 .LBB19_16
.LBB19_8:                               ;   Parent Loop BB19_3 Depth=1
                                        ; =>  This Loop Header: Depth=2
                                        ;       Child Loop BB19_11 Depth 3
                                        ;         Child Loop BB19_14 Depth 4
	s_and_not1_b32 vcc_lo, exec_lo, s9
	s_wait_alu 0xfffe
	s_cbranch_vccnz .LBB19_7
; %bb.9:                                ;   in Loop: Header=BB19_8 Depth=2
	v_mad_co_u64_u32 v[8:9], null, s42, s54, v[3:4]
	s_mul_i32 s0, s53, s13
	v_mov_b32_e32 v22, v5
	s_wait_alu 0xfffe
	s_add_co_i32 s0, s0, s2
	s_mov_b32 s55, 0
	s_wait_alu 0xfffe
	s_cmp_lt_i32 s0, 0
	s_cselect_b32 s64, -1, 0
	v_mad_co_u64_u32 v[9:10], null, s43, s54, v[9:10]
	s_cmp_ge_i32 s0, s4
	v_dual_mov_b32 v11, v7 :: v_dual_mov_b32 v10, v6
	s_cselect_b32 s0, -1, 0
	s_wait_alu 0xfffe
	s_or_b32 s64, s64, s0
	s_branch .LBB19_11
.LBB19_10:                              ;   in Loop: Header=BB19_11 Depth=3
	v_add_co_u32 v10, vcc_lo, v10, s48
	s_wait_alu 0xfffd
	v_add_co_ci_u32_e64 v11, null, s49, v11, vcc_lo
	v_add_nc_u32_e32 v22, s14, v22
	s_add_co_i32 s55, s55, 1
	s_wait_alu 0xfffe
	s_cmp_eq_u32 s55, s18
	s_cbranch_scc1 .LBB19_7
.LBB19_11:                              ;   Parent Loop BB19_3 Depth=1
                                        ;     Parent Loop BB19_8 Depth=2
                                        ; =>    This Loop Header: Depth=3
                                        ;         Child Loop BB19_14 Depth 4
	s_and_not1_b32 vcc_lo, exec_lo, s15
	s_wait_alu 0xfffe
	s_cbranch_vccnz .LBB19_10
; %bb.12:                               ;   in Loop: Header=BB19_11 Depth=3
	v_mad_co_u64_u32 v[12:13], null, s40, v22, v[8:9]
	v_mad_co_u64_u32 v[14:15], null, s55, s14, v[5:6]
	s_mov_b32 s65, s8
	v_mad_co_u64_u32 v[23:24], null, s41, v22, v[13:14]
	v_cmp_gt_i32_e32 vcc_lo, 0, v14
	v_cmp_le_i32_e64 s0, s5, v14
	v_dual_mov_b32 v15, v11 :: v_dual_mov_b32 v14, v10
	s_delay_alu instid0(VALU_DEP_4)
	v_mov_b32_e32 v13, v23
	s_or_b32 s0, vcc_lo, s0
	s_wait_alu 0xfffe
	s_nor_b32 s0, s64, s0
	s_branch .LBB19_14
.LBB19_13:                              ;   in Loop: Header=BB19_14 Depth=4
	s_or_b32 exec_lo, exec_lo, s66
	v_add_co_u32 v14, vcc_lo, v14, s46
	s_wait_alu 0xfffd
	v_add_co_ci_u32_e64 v15, null, s47, v15, vcc_lo
	v_add_co_u32 v12, vcc_lo, v12, s36
	s_wait_alu 0xfffd
	v_add_co_ci_u32_e64 v13, null, s37, v13, vcc_lo
	s_add_co_i32 s65, s65, -1
	s_delay_alu instid0(SALU_CYCLE_1)
	s_cmp_eq_u32 s65, 0
	s_cbranch_scc1 .LBB19_10
.LBB19_14:                              ;   Parent Loop BB19_3 Depth=1
                                        ;     Parent Loop BB19_8 Depth=2
                                        ;       Parent Loop BB19_11 Depth=3
                                        ; =>      This Inner Loop Header: Depth=4
	s_wait_alu 0xfffe
	s_and_saveexec_b32 s66, s0
	s_cbranch_execz .LBB19_13
; %bb.15:                               ;   in Loop: Header=BB19_14 Depth=4
	global_load_u16 v23, v[12:13], off
	global_load_u16 v24, v[14:15], off
	s_wait_loadcnt 0x1
	v_cvt_f32_f16_e32 v23, v23
	s_wait_loadcnt 0x0
	v_cvt_f32_f16_e32 v25, v24
	s_delay_alu instid0(VALU_DEP_2) | instskip(NEXT) | instid1(VALU_DEP_2)
	v_cvt_f64_f32_e32 v[23:24], v23
	v_cvt_f64_f32_e32 v[25:26], v25
	s_delay_alu instid0(VALU_DEP_1)
	v_fma_f64 v[1:2], v[23:24], v[25:26], v[1:2]
	s_branch .LBB19_13
.LBB19_16:                              ;   in Loop: Header=BB19_3 Depth=1
	v_ashrrev_i32_e32 v5, 31, v17
	v_mul_lo_u32 v6, s29, v17
	v_mad_co_u64_u32 v[3:4], null, s28, v17, 0
	s_and_b32 vcc_lo, exec_lo, s50
	v_mul_lo_u32 v5, s28, v5
	s_mov_b32 s0, -1
	s_delay_alu instid0(VALU_DEP_1) | instskip(SKIP_2) | instid1(VALU_DEP_3)
	v_add3_u32 v4, v4, v5, v6
	v_mul_lo_u32 v5, v20, s57
	v_mul_lo_u32 v6, v21, s56
	v_mad_co_u64_u32 v[3:4], null, v20, s56, v[3:4]
	s_delay_alu instid0(VALU_DEP_1) | instskip(SKIP_2) | instid1(VALU_DEP_3)
	v_add3_u32 v4, v6, v4, v5
	v_mul_lo_u32 v5, v18, s59
	v_mul_lo_u32 v6, v19, s58
	v_mad_co_u64_u32 v[3:4], null, v18, s58, v[3:4]
	s_delay_alu instid0(VALU_DEP_1) | instskip(NEXT) | instid1(VALU_DEP_1)
	v_add3_u32 v4, v6, v4, v5
	v_lshlrev_b64_e32 v[3:4], 1, v[3:4]
	s_wait_alu 0xfffe
	s_cbranch_vccz .LBB19_18
; %bb.17:                               ;   in Loop: Header=BB19_3 Depth=1
	s_delay_alu instid0(VALU_DEP_1) | instskip(SKIP_1) | instid1(VALU_DEP_2)
	v_add_co_u32 v5, vcc_lo, s10, v3
	s_wait_alu 0xfffd
	v_add_co_ci_u32_e64 v6, null, s11, v4, vcc_lo
	s_mov_b32 s0, 0
	global_load_u16 v7, v[5:6], off
	s_wait_loadcnt 0x0
	v_cvt_f32_f16_e32 v7, v7
	s_delay_alu instid0(VALU_DEP_1) | instskip(NEXT) | instid1(VALU_DEP_1)
	v_cvt_f64_f32_e32 v[7:8], v7
	v_mul_f64_e32 v[7:8], s[26:27], v[7:8]
	s_delay_alu instid0(VALU_DEP_1) | instskip(NEXT) | instid1(VALU_DEP_1)
	v_fma_f64 v[7:8], s[24:25], v[1:2], v[7:8]
	v_and_or_b32 v7, 0x1ff, v8, v7
	v_lshrrev_b32_e32 v9, 8, v8
	v_bfe_u32 v10, v8, 20, 11
	v_lshrrev_b32_e32 v8, 16, v8
	s_delay_alu instid0(VALU_DEP_4) | instskip(NEXT) | instid1(VALU_DEP_3)
	v_cmp_ne_u32_e32 vcc_lo, 0, v7
	v_sub_nc_u32_e32 v11, 0x3f1, v10
	s_wait_alu 0xfffd
	v_cndmask_b32_e64 v7, 0, 1, vcc_lo
	s_delay_alu instid0(VALU_DEP_1) | instskip(NEXT) | instid1(VALU_DEP_3)
	v_and_or_b32 v7, 0xffe, v9, v7
	v_med3_i32 v9, v11, 0, 13
	s_delay_alu instid0(VALU_DEP_2) | instskip(NEXT) | instid1(VALU_DEP_1)
	v_or_b32_e32 v11, 0x1000, v7
	v_lshrrev_b32_e32 v12, v9, v11
	s_delay_alu instid0(VALU_DEP_1) | instskip(NEXT) | instid1(VALU_DEP_1)
	v_lshlrev_b32_e32 v9, v9, v12
	v_cmp_ne_u32_e32 vcc_lo, v9, v11
	s_wait_alu 0xfffd
	v_cndmask_b32_e64 v9, 0, 1, vcc_lo
	s_delay_alu instid0(VALU_DEP_1) | instskip(SKIP_1) | instid1(VALU_DEP_1)
	v_or_b32_e32 v9, v12, v9
	v_add_nc_u32_e32 v10, 0xfffffc10, v10
	v_lshl_or_b32 v11, v10, 12, v7
	v_cmp_gt_i32_e32 vcc_lo, 1, v10
	s_wait_alu 0xfffd
	s_delay_alu instid0(VALU_DEP_2) | instskip(NEXT) | instid1(VALU_DEP_1)
	v_cndmask_b32_e32 v9, v11, v9, vcc_lo
	v_and_b32_e32 v11, 7, v9
	v_lshrrev_b32_e32 v9, 2, v9
	s_delay_alu instid0(VALU_DEP_2)
	v_cmp_lt_i32_e32 vcc_lo, 5, v11
	s_wait_alu 0xfffd
	v_cndmask_b32_e64 v12, 0, 1, vcc_lo
	v_cmp_eq_u32_e32 vcc_lo, 3, v11
	s_wait_alu 0xfffd
	v_cndmask_b32_e64 v11, 0, 1, vcc_lo
	v_cmp_ne_u32_e32 vcc_lo, 0, v7
	s_delay_alu instid0(VALU_DEP_2) | instskip(SKIP_3) | instid1(VALU_DEP_3)
	v_or_b32_e32 v11, v11, v12
	s_wait_alu 0xfffd
	v_cndmask_b32_e32 v7, 0x7c00, v16, vcc_lo
	v_cmp_gt_i32_e32 vcc_lo, 31, v10
	v_add_nc_u32_e32 v9, v9, v11
	s_wait_alu 0xfffd
	s_delay_alu instid0(VALU_DEP_1) | instskip(SKIP_2) | instid1(VALU_DEP_2)
	v_cndmask_b32_e32 v9, 0x7c00, v9, vcc_lo
	v_cmp_eq_u32_e32 vcc_lo, 0x40f, v10
	s_wait_alu 0xfffd
	v_cndmask_b32_e32 v7, v9, v7, vcc_lo
	s_delay_alu instid0(VALU_DEP_1)
	v_and_or_b32 v7, 0x8000, v8, v7
	global_store_b16 v[5:6], v7, off
.LBB19_18:                              ;   in Loop: Header=BB19_3 Depth=1
	s_wait_alu 0xfffe
	s_and_not1_b32 vcc_lo, exec_lo, s0
	s_wait_alu 0xfffe
	s_cbranch_vccnz .LBB19_2
; %bb.19:                               ;   in Loop: Header=BB19_3 Depth=1
	v_and_or_b32 v1, 0x1ff, v2, v1
	v_lshrrev_b32_e32 v5, 8, v2
	v_bfe_u32 v6, v2, 20, 11
	v_lshrrev_b32_e32 v2, 16, v2
	s_delay_alu instid0(VALU_DEP_4) | instskip(NEXT) | instid1(VALU_DEP_3)
	v_cmp_ne_u32_e32 vcc_lo, 0, v1
	v_sub_nc_u32_e32 v7, 0x3f1, v6
	s_wait_alu 0xfffd
	v_cndmask_b32_e64 v1, 0, 1, vcc_lo
	s_delay_alu instid0(VALU_DEP_1) | instskip(NEXT) | instid1(VALU_DEP_3)
	v_and_or_b32 v1, 0xffe, v5, v1
	v_med3_i32 v5, v7, 0, 13
	s_delay_alu instid0(VALU_DEP_2) | instskip(NEXT) | instid1(VALU_DEP_1)
	v_or_b32_e32 v7, 0x1000, v1
	v_lshrrev_b32_e32 v8, v5, v7
	s_delay_alu instid0(VALU_DEP_1) | instskip(NEXT) | instid1(VALU_DEP_1)
	v_lshlrev_b32_e32 v5, v5, v8
	v_cmp_ne_u32_e32 vcc_lo, v5, v7
	s_wait_alu 0xfffd
	v_cndmask_b32_e64 v5, 0, 1, vcc_lo
	s_delay_alu instid0(VALU_DEP_1) | instskip(SKIP_1) | instid1(VALU_DEP_1)
	v_or_b32_e32 v5, v8, v5
	v_add_nc_u32_e32 v6, 0xfffffc10, v6
	v_lshl_or_b32 v7, v6, 12, v1
	v_cmp_gt_i32_e32 vcc_lo, 1, v6
	s_wait_alu 0xfffd
	s_delay_alu instid0(VALU_DEP_2) | instskip(NEXT) | instid1(VALU_DEP_1)
	v_cndmask_b32_e32 v5, v7, v5, vcc_lo
	v_and_b32_e32 v7, 7, v5
	v_lshrrev_b32_e32 v5, 2, v5
	s_delay_alu instid0(VALU_DEP_2)
	v_cmp_lt_i32_e32 vcc_lo, 5, v7
	s_wait_alu 0xfffd
	v_cndmask_b32_e64 v8, 0, 1, vcc_lo
	v_cmp_eq_u32_e32 vcc_lo, 3, v7
	s_wait_alu 0xfffd
	v_cndmask_b32_e64 v7, 0, 1, vcc_lo
	v_cmp_ne_u32_e32 vcc_lo, 0, v1
	s_delay_alu instid0(VALU_DEP_2) | instskip(SKIP_3) | instid1(VALU_DEP_3)
	v_or_b32_e32 v7, v7, v8
	s_wait_alu 0xfffd
	v_cndmask_b32_e32 v1, 0x7c00, v16, vcc_lo
	v_cmp_gt_i32_e32 vcc_lo, 31, v6
	v_add_nc_u32_e32 v5, v5, v7
	s_wait_alu 0xfffd
	s_delay_alu instid0(VALU_DEP_1) | instskip(SKIP_2) | instid1(VALU_DEP_2)
	v_cndmask_b32_e32 v5, 0x7c00, v5, vcc_lo
	v_cmp_eq_u32_e32 vcc_lo, 0x40f, v6
	s_wait_alu 0xfffd
	v_cndmask_b32_e32 v1, v5, v1, vcc_lo
	s_delay_alu instid0(VALU_DEP_1)
	v_and_or_b32 v5, 0x8000, v2, v1
	v_add_co_u32 v1, vcc_lo, s10, v3
	s_wait_alu 0xfffd
	v_add_co_ci_u32_e64 v2, null, s11, v4, vcc_lo
	global_store_b16 v[1:2], v5, off
	s_branch .LBB19_2
.LBB19_20:
	s_endpgm
	.section	.rodata,"a",@progbits
	.p2align	6, 0x0
	.amdhsa_kernel naive_conv_ab_nonpacked_fwd_nhwc_half_double_half_0
		.amdhsa_group_segment_fixed_size 0
		.amdhsa_private_segment_fixed_size 0
		.amdhsa_kernarg_size 480
		.amdhsa_user_sgpr_count 2
		.amdhsa_user_sgpr_dispatch_ptr 0
		.amdhsa_user_sgpr_queue_ptr 0
		.amdhsa_user_sgpr_kernarg_segment_ptr 1
		.amdhsa_user_sgpr_dispatch_id 0
		.amdhsa_user_sgpr_private_segment_size 0
		.amdhsa_wavefront_size32 1
		.amdhsa_uses_dynamic_stack 0
		.amdhsa_enable_private_segment 0
		.amdhsa_system_sgpr_workgroup_id_x 1
		.amdhsa_system_sgpr_workgroup_id_y 0
		.amdhsa_system_sgpr_workgroup_id_z 0
		.amdhsa_system_sgpr_workgroup_info 0
		.amdhsa_system_vgpr_workitem_id 0
		.amdhsa_next_free_vgpr 27
		.amdhsa_next_free_sgpr 71
		.amdhsa_reserve_vcc 1
		.amdhsa_float_round_mode_32 0
		.amdhsa_float_round_mode_16_64 0
		.amdhsa_float_denorm_mode_32 3
		.amdhsa_float_denorm_mode_16_64 3
		.amdhsa_fp16_overflow 0
		.amdhsa_workgroup_processor_mode 1
		.amdhsa_memory_ordered 1
		.amdhsa_forward_progress 1
		.amdhsa_inst_pref_size 19
		.amdhsa_round_robin_scheduling 0
		.amdhsa_exception_fp_ieee_invalid_op 0
		.amdhsa_exception_fp_denorm_src 0
		.amdhsa_exception_fp_ieee_div_zero 0
		.amdhsa_exception_fp_ieee_overflow 0
		.amdhsa_exception_fp_ieee_underflow 0
		.amdhsa_exception_fp_ieee_inexact 0
		.amdhsa_exception_int_div_zero 0
	.end_amdhsa_kernel
	.text
.Lfunc_end19:
	.size	naive_conv_ab_nonpacked_fwd_nhwc_half_double_half_0, .Lfunc_end19-naive_conv_ab_nonpacked_fwd_nhwc_half_double_half_0
                                        ; -- End function
	.set naive_conv_ab_nonpacked_fwd_nhwc_half_double_half_0.num_vgpr, 27
	.set naive_conv_ab_nonpacked_fwd_nhwc_half_double_half_0.num_agpr, 0
	.set naive_conv_ab_nonpacked_fwd_nhwc_half_double_half_0.numbered_sgpr, 71
	.set naive_conv_ab_nonpacked_fwd_nhwc_half_double_half_0.num_named_barrier, 0
	.set naive_conv_ab_nonpacked_fwd_nhwc_half_double_half_0.private_seg_size, 0
	.set naive_conv_ab_nonpacked_fwd_nhwc_half_double_half_0.uses_vcc, 1
	.set naive_conv_ab_nonpacked_fwd_nhwc_half_double_half_0.uses_flat_scratch, 0
	.set naive_conv_ab_nonpacked_fwd_nhwc_half_double_half_0.has_dyn_sized_stack, 0
	.set naive_conv_ab_nonpacked_fwd_nhwc_half_double_half_0.has_recursion, 0
	.set naive_conv_ab_nonpacked_fwd_nhwc_half_double_half_0.has_indirect_call, 0
	.section	.AMDGPU.csdata,"",@progbits
; Kernel info:
; codeLenInByte = 2372
; TotalNumSgprs: 73
; NumVgprs: 27
; ScratchSize: 0
; MemoryBound: 0
; FloatMode: 240
; IeeeMode: 1
; LDSByteSize: 0 bytes/workgroup (compile time only)
; SGPRBlocks: 0
; VGPRBlocks: 3
; NumSGPRsForWavesPerEU: 73
; NumVGPRsForWavesPerEU: 27
; Occupancy: 16
; WaveLimiterHint : 0
; COMPUTE_PGM_RSRC2:SCRATCH_EN: 0
; COMPUTE_PGM_RSRC2:USER_SGPR: 2
; COMPUTE_PGM_RSRC2:TRAP_HANDLER: 0
; COMPUTE_PGM_RSRC2:TGID_X_EN: 1
; COMPUTE_PGM_RSRC2:TGID_Y_EN: 0
; COMPUTE_PGM_RSRC2:TGID_Z_EN: 0
; COMPUTE_PGM_RSRC2:TIDIG_COMP_CNT: 0
	.text
	.protected	naive_conv_ab_packed_fwd_nhwc_ushort_double_ushort_0 ; -- Begin function naive_conv_ab_packed_fwd_nhwc_ushort_double_ushort_0
	.globl	naive_conv_ab_packed_fwd_nhwc_ushort_double_ushort_0
	.p2align	8
	.type	naive_conv_ab_packed_fwd_nhwc_ushort_double_ushort_0,@function
naive_conv_ab_packed_fwd_nhwc_ushort_double_ushort_0: ; @naive_conv_ab_packed_fwd_nhwc_ushort_double_ushort_0
; %bb.0:
	s_load_b512 s[4:19], s[0:1], 0xa0
	s_abs_i32 s21, ttmp9
	s_mov_b32 s29, 0
	s_wait_kmcnt 0x0
	s_abs_i32 s2, s9
	s_delay_alu instid0(SALU_CYCLE_1) | instskip(SKIP_1) | instid1(SALU_CYCLE_2)
	s_cvt_f32_u32 s3, s2
	s_sub_co_i32 s20, 0, s2
	v_rcp_iflag_f32_e32 v1, s3
	s_delay_alu instid0(TRANS32_DEP_1) | instskip(SKIP_2) | instid1(SALU_CYCLE_2)
	v_readfirstlane_b32 s3, v1
	s_mul_f32 s3, s3, 0x4f7ffffe
	s_wait_alu 0xfffe
	s_cvt_u32_f32 s3, s3
	s_wait_alu 0xfffe
	s_delay_alu instid0(SALU_CYCLE_2) | instskip(NEXT) | instid1(SALU_CYCLE_1)
	s_mul_i32 s20, s20, s3
	s_mul_hi_u32 s20, s3, s20
	s_delay_alu instid0(SALU_CYCLE_1) | instskip(SKIP_4) | instid1(SALU_CYCLE_1)
	s_add_co_i32 s3, s3, s20
	s_wait_alu 0xfffe
	s_mul_hi_u32 s3, s21, s3
	s_wait_alu 0xfffe
	s_mul_i32 s20, s3, s2
	s_sub_co_i32 s20, s21, s20
	s_add_co_i32 s21, s3, 1
	s_sub_co_i32 s22, s20, s2
	s_cmp_ge_u32 s20, s2
	s_cselect_b32 s3, s21, s3
	s_cselect_b32 s20, s22, s20
	s_wait_alu 0xfffe
	s_add_co_i32 s21, s3, 1
	s_cmp_ge_u32 s20, s2
	s_cselect_b32 s28, s21, s3
	s_abs_i32 s3, s6
	s_mov_b32 s21, exec_lo
	s_wait_alu 0xfffe
	s_cvt_f32_u32 s2, s3
	s_wait_alu 0xfffe
	s_delay_alu instid0(SALU_CYCLE_2) | instskip(SKIP_3) | instid1(TRANS32_DEP_1)
	v_rcp_iflag_f32_e32 v1, s2
	s_mul_i32 s2, s19, s7
	s_wait_alu 0xfffe
	s_mul_i32 s6, s2, s10
	v_readfirstlane_b32 s20, v1
	v_cmpx_gt_i32_e64 s6, v0
	s_cbranch_execz .LBB20_20
; %bb.1:
	s_mul_f32 s30, s20, 0x4f7ffffe
	s_xor_b32 s31, ttmp9, s9
	s_sub_co_i32 s33, 0, s3
	s_ashr_i32 s34, s31, 31
	s_cvt_u32_f32 s30, s30
	s_xor_b32 s28, s28, s34
	s_mov_b32 s31, s29
	s_sub_co_i32 s34, s28, s34
	s_mul_i32 s33, s33, s30
	s_abs_i32 s28, s34
	s_mul_hi_u32 s33, s30, s33
	s_load_b256 s[20:27], s[0:1], 0x0
	s_add_co_i32 s30, s30, s33
	s_mul_i32 s33, s19, s8
	s_mul_u64 s[30:31], s[28:29], s[30:31]
	s_ashr_i32 s19, s34, 31
	s_mul_i32 s30, s31, s3
	s_mul_i32 s34, s34, s9
	s_sub_co_i32 s28, s28, s30
	s_sub_co_i32 s34, ttmp9, s34
	s_sub_co_i32 s31, s28, s3
	s_cmp_ge_u32 s28, s3
	s_mov_b32 s40, s10
	s_cselect_b32 s28, s31, s28
	s_mov_b32 s38, s9
	s_sub_co_i32 s31, s28, s3
	s_cmp_ge_u32 s28, s3
	s_mov_b32 s30, s4
	s_cselect_b32 s3, s31, s28
	s_ashr_i32 s41, s10, 31
	s_wait_alu 0xfffe
	s_xor_b32 s3, s3, s19
	s_wait_kmcnt 0x0
	v_cmp_neq_f64_e64 s28, s[24:25], 1.0
	s_wait_alu 0xfffe
	s_sub_co_i32 s42, s3, s19
	v_cmp_neq_f64_e64 s10, s[26:27], 0
	s_ashr_i32 s39, s9, 31
	s_ashr_i32 s43, s42, 31
	;; [unrolled: 1-line block ×3, first 2 shown]
	s_mul_u64 s[38:39], s[42:43], s[38:39]
	s_ashr_i32 s35, s34, 31
	s_wait_alu 0xfffe
	s_mul_u64 s[40:41], s[2:3], s[40:41]
	s_add_nc_u64 s[38:39], s[38:39], s[34:35]
	s_ashr_i32 s31, s4, 31
	s_mul_u64 s[38:39], s[40:41], s[38:39]
	s_ashr_i32 s35, s5, 31
	s_ashr_i32 s44, s33, 31
	s_lshl_b64 s[38:39], s[38:39], 1
	s_cmp_lt_i32 s17, 1
	s_mul_i32 s4, s34, s11
	s_cselect_b32 s45, -1, 0
	s_sub_co_i32 s15, s4, s15
	s_load_b64 s[36:37], s[0:1], 0x20
	s_cmp_gt_i32 s18, 0
	s_load_b32 s0, s[0:1], 0xec
	s_cselect_b32 s46, -1, 0
	s_cmp_gt_i32 s8, 0
	s_mov_b32 s34, s5
	s_cselect_b32 s1, -1, 0
	s_abs_i32 s47, s2
	s_abs_i32 s48, s7
	s_cvt_f32_u32 s9, s47
	s_cvt_f32_u32 s11, s48
	s_mul_u64 s[4:5], s[34:35], s[30:31]
	s_ashr_i32 s19, s18, 31
	v_rcp_iflag_f32_e32 v1, s9
	v_rcp_iflag_f32_e32 v2, s11
	s_mul_u64 s[42:43], s[4:5], s[42:43]
	s_ashr_i32 s9, s8, 31
	s_mov_b32 s40, s17
	s_ashr_i32 s41, s17, 31
	s_wait_alu 0xfffe
	s_mul_u64 s[52:53], s[18:19], s[8:9]
	s_wait_kmcnt 0x0
	s_add_nc_u64 s[4:5], s[36:37], s[38:39]
	s_or_b32 s51, s28, s10
	s_and_b32 s50, s0, 0xffff
	v_readfirstlane_b32 s11, v1
	v_readfirstlane_b32 s36, v2
	s_sub_co_i32 s28, 0, s47
	s_mul_u64 s[38:39], s[52:53], s[40:41]
	s_mov_b32 s31, s7
	s_mul_f32 s0, s11, 0x4f7ffffe
	s_mul_f32 s10, s36, 0x4f7ffffe
	s_sub_co_i32 s36, 0, s48
	s_ashr_i32 s49, s7, 31
	s_cvt_u32_f32 s0, s0
	s_wait_alu 0xfffe
	s_cvt_u32_f32 s37, s10
	s_lshl_b64 s[10:11], s[8:9], 1
	s_lshl_b64 s[38:39], s[38:39], 1
	s_mul_i32 s28, s28, s0
	s_mul_i32 s36, s36, s37
	s_mul_hi_u32 s9, s0, s28
	s_mul_hi_u32 s19, s37, s36
	s_wait_alu 0xfffe
	s_add_co_i32 s9, s0, s9
	s_add_co_i32 s19, s37, s19
	s_lshl_b64 s[36:37], s[42:43], 1
	s_lshl_b64 s[40:41], s[52:53], 1
	s_mov_b32 s52, 0
	s_branch .LBB20_3
.LBB20_2:                               ;   in Loop: Header=BB20_3 Depth=1
	v_add_nc_u32_e32 v0, s50, v0
	s_delay_alu instid0(VALU_DEP_1) | instskip(SKIP_1) | instid1(SALU_CYCLE_1)
	v_cmp_le_i32_e32 vcc_lo, s6, v0
	s_or_b32 s52, vcc_lo, s52
	s_and_not1_b32 exec_lo, exec_lo, s52
	s_cbranch_execz .LBB20_20
.LBB20_3:                               ; =>This Loop Header: Depth=1
                                        ;     Child Loop BB20_8 Depth 2
                                        ;       Child Loop BB20_11 Depth 3
                                        ;         Child Loop BB20_14 Depth 4
	v_sub_nc_u32_e32 v1, 0, v0
	s_mov_b32 s0, -1
	s_delay_alu instid0(VALU_DEP_1) | instskip(SKIP_1) | instid1(VALU_DEP_1)
	v_max_i32_e32 v1, v0, v1
	s_wait_alu 0xfffe
	v_mul_hi_u32 v2, v1, s9
	s_delay_alu instid0(VALU_DEP_1) | instskip(NEXT) | instid1(VALU_DEP_1)
	v_mul_lo_u32 v3, v2, s47
	v_sub_nc_u32_e32 v1, v1, v3
	v_add_nc_u32_e32 v3, 1, v2
	s_delay_alu instid0(VALU_DEP_2) | instskip(SKIP_2) | instid1(VALU_DEP_2)
	v_subrev_nc_u32_e32 v4, s47, v1
	v_cmp_le_u32_e32 vcc_lo, s47, v1
	s_wait_alu 0xfffd
	v_dual_cndmask_b32 v2, v2, v3 :: v_dual_cndmask_b32 v1, v1, v4
	v_ashrrev_i32_e32 v3, 31, v0
	s_delay_alu instid0(VALU_DEP_2) | instskip(NEXT) | instid1(VALU_DEP_3)
	v_add_nc_u32_e32 v4, 1, v2
	v_cmp_le_u32_e32 vcc_lo, s47, v1
	s_delay_alu instid0(VALU_DEP_3) | instskip(SKIP_1) | instid1(VALU_DEP_3)
	v_xor_b32_e32 v3, s3, v3
	s_wait_alu 0xfffd
	v_cndmask_b32_e32 v1, v2, v4, vcc_lo
	s_delay_alu instid0(VALU_DEP_1) | instskip(NEXT) | instid1(VALU_DEP_1)
	v_xor_b32_e32 v1, v1, v3
	v_sub_nc_u32_e32 v18, v1, v3
	s_delay_alu instid0(VALU_DEP_1) | instskip(NEXT) | instid1(VALU_DEP_1)
	v_mul_lo_u32 v1, v18, s2
	v_sub_nc_u32_e32 v7, v0, v1
	s_delay_alu instid0(VALU_DEP_1) | instskip(SKIP_1) | instid1(VALU_DEP_2)
	v_sub_nc_u32_e32 v1, 0, v7
	v_ashrrev_i32_e32 v8, 31, v7
	v_max_i32_e32 v1, v7, v1
	s_delay_alu instid0(VALU_DEP_1) | instskip(NEXT) | instid1(VALU_DEP_1)
	v_mul_hi_u32 v2, v1, s19
	v_mul_lo_u32 v3, v2, s48
	s_delay_alu instid0(VALU_DEP_1) | instskip(SKIP_1) | instid1(VALU_DEP_2)
	v_sub_nc_u32_e32 v1, v1, v3
	v_add_nc_u32_e32 v3, 1, v2
	v_subrev_nc_u32_e32 v4, s48, v1
	v_cmp_le_u32_e32 vcc_lo, s48, v1
	s_wait_alu 0xfffd
	s_delay_alu instid0(VALU_DEP_2) | instskip(SKIP_1) | instid1(VALU_DEP_2)
	v_dual_cndmask_b32 v2, v2, v3 :: v_dual_cndmask_b32 v1, v1, v4
	v_xor_b32_e32 v4, s49, v8
	v_add_nc_u32_e32 v3, 1, v2
	s_delay_alu instid0(VALU_DEP_3) | instskip(SKIP_1) | instid1(VALU_DEP_2)
	v_cmp_le_u32_e32 vcc_lo, s48, v1
	s_wait_alu 0xfffd
	v_cndmask_b32_e32 v1, v2, v3, vcc_lo
	s_and_not1_b32 vcc_lo, exec_lo, s45
	s_delay_alu instid0(VALU_DEP_1) | instskip(NEXT) | instid1(VALU_DEP_1)
	v_xor_b32_e32 v1, v1, v4
	v_sub_nc_u32_e32 v9, v1, v4
                                        ; implicit-def: $vgpr3_vgpr4
	s_delay_alu instid0(VALU_DEP_1) | instskip(NEXT) | instid1(VALU_DEP_1)
	v_mul_lo_u32 v10, v9, s7
	v_sub_nc_u32_e32 v1, v7, v10
	s_delay_alu instid0(VALU_DEP_1)
	v_ashrrev_i32_e32 v2, 31, v1
	s_wait_alu 0xfffe
	s_cbranch_vccnz .LBB20_5
; %bb.4:                                ;   in Loop: Header=BB20_3 Depth=1
	v_mad_co_i64_i32 v[3:4], null, v9, s31, 0
	s_mov_b32 s0, 0
.LBB20_5:                               ;   in Loop: Header=BB20_3 Depth=1
	v_mov_b32_e32 v5, 0
	v_mov_b32_e32 v6, 0
	s_wait_alu 0xfffe
	s_and_not1_b32 vcc_lo, exec_lo, s0
	s_wait_alu 0xfffe
	s_cbranch_vccnz .LBB20_16
; %bb.6:                                ;   in Loop: Header=BB20_3 Depth=1
	v_mad_co_i64_i32 v[3:4], null, v9, s31, 0
	v_ashrrev_i32_e32 v6, 31, v10
	v_ashrrev_i32_e32 v11, 31, v9
	v_mul_lo_u32 v5, v18, s12
	v_mul_lo_u32 v12, s11, v9
	s_mov_b32 s53, 0
	s_mov_b32 s28, s15
	v_add_co_u32 v7, vcc_lo, v3, v7
	s_wait_alu 0xfffd
	v_add_co_ci_u32_e64 v8, null, v4, v8, vcc_lo
	v_mul_lo_u32 v13, s10, v11
	s_delay_alu instid0(VALU_DEP_3) | instskip(SKIP_1) | instid1(VALU_DEP_3)
	v_sub_co_u32 v10, vcc_lo, v7, v10
	s_wait_alu 0xfffd
	v_sub_co_ci_u32_e64 v6, null, v8, v6, vcc_lo
	v_mad_co_u64_u32 v[7:8], null, s10, v9, s[20:21]
	s_delay_alu instid0(VALU_DEP_3) | instskip(NEXT) | instid1(VALU_DEP_3)
	v_mul_lo_u32 v15, s39, v10
	v_mul_lo_u32 v14, s38, v6
	v_mad_co_u64_u32 v[9:10], null, s38, v10, s[22:23]
	v_subrev_nc_u32_e32 v11, s16, v5
	v_mov_b32_e32 v5, 0
	v_add3_u32 v8, v12, v8, v13
	v_mov_b32_e32 v6, 0
	v_add3_u32 v10, v15, v10, v14
	s_branch .LBB20_8
.LBB20_7:                               ;   in Loop: Header=BB20_8 Depth=2
	v_add_co_u32 v9, vcc_lo, v9, s40
	s_wait_alu 0xfffd
	v_add_co_ci_u32_e64 v10, null, s41, v10, vcc_lo
	s_add_co_i32 s53, s53, 1
	s_add_co_i32 s28, s28, s13
	s_cmp_eq_u32 s53, s17
	s_cbranch_scc1 .LBB20_16
.LBB20_8:                               ;   Parent Loop BB20_3 Depth=1
                                        ; =>  This Loop Header: Depth=2
                                        ;       Child Loop BB20_11 Depth 3
                                        ;         Child Loop BB20_14 Depth 4
	s_and_not1_b32 vcc_lo, exec_lo, s46
	s_wait_alu 0xfffe
	s_cbranch_vccnz .LBB20_7
; %bb.9:                                ;   in Loop: Header=BB20_8 Depth=2
	s_mul_i32 s0, s53, s13
	v_dual_mov_b32 v13, v10 :: v_dual_mov_b32 v12, v9
	s_wait_alu 0xfffe
	s_add_co_i32 s0, s0, s15
	v_mov_b32_e32 v19, v11
	s_wait_alu 0xfffe
	s_cmp_lt_i32 s0, 0
	s_mul_u64 s[42:43], s[34:35], s[28:29]
	s_cselect_b32 s55, -1, 0
	s_cmp_ge_i32 s0, s30
	s_mov_b32 s54, 0
	s_cselect_b32 s0, -1, 0
	s_wait_alu 0xfffe
	s_or_b32 s55, s55, s0
	s_branch .LBB20_11
.LBB20_10:                              ;   in Loop: Header=BB20_11 Depth=3
	v_add_co_u32 v12, vcc_lo, v12, s10
	v_add_nc_u32_e32 v19, s14, v19
	s_wait_alu 0xfffd
	v_add_co_ci_u32_e64 v13, null, s11, v13, vcc_lo
	s_add_co_i32 s54, s54, 1
	s_wait_alu 0xfffe
	s_cmp_eq_u32 s54, s18
	s_cbranch_scc1 .LBB20_7
.LBB20_11:                              ;   Parent Loop BB20_3 Depth=1
                                        ;     Parent Loop BB20_8 Depth=2
                                        ; =>    This Loop Header: Depth=3
                                        ;         Child Loop BB20_14 Depth 4
	s_and_not1_b32 vcc_lo, exec_lo, s1
	s_wait_alu 0xfffe
	s_cbranch_vccnz .LBB20_10
; %bb.12:                               ;   in Loop: Header=BB20_11 Depth=3
	v_add_co_u32 v14, s0, s42, v19
	s_wait_alu 0xf1ff
	v_add_co_ci_u32_e64 v15, null, s43, 0, s0
	v_mad_co_u64_u32 v[16:17], null, s54, s14, v[11:12]
	s_mov_b32 s56, s8
	v_lshlrev_b64_e32 v[14:15], 1, v[14:15]
	v_cmp_le_i32_e64 s0, s34, v16
	s_delay_alu instid0(VALU_DEP_2) | instskip(SKIP_1) | instid1(VALU_DEP_3)
	v_add_co_u32 v14, vcc_lo, s36, v14
	s_wait_alu 0xfffd
	v_add_co_ci_u32_e64 v15, null, s37, v15, vcc_lo
	v_cmp_gt_i32_e32 vcc_lo, 0, v16
	s_delay_alu instid0(VALU_DEP_3) | instskip(NEXT) | instid1(VALU_DEP_3)
	v_mul_lo_u32 v20, s44, v14
	v_mul_lo_u32 v17, s33, v15
	v_mad_co_u64_u32 v[14:15], null, s33, v14, v[7:8]
	s_or_b32 s0, vcc_lo, s0
	s_wait_alu 0xfffe
	s_nor_b32 s0, s55, s0
	v_add3_u32 v15, v20, v15, v17
	v_dual_mov_b32 v17, v13 :: v_dual_mov_b32 v16, v12
	s_branch .LBB20_14
.LBB20_13:                              ;   in Loop: Header=BB20_14 Depth=4
	s_or_b32 exec_lo, exec_lo, s57
	v_add_co_u32 v14, vcc_lo, v14, 2
	s_wait_alu 0xfffd
	v_add_co_ci_u32_e64 v15, null, 0, v15, vcc_lo
	v_add_co_u32 v16, vcc_lo, v16, 2
	s_wait_alu 0xfffd
	v_add_co_ci_u32_e64 v17, null, 0, v17, vcc_lo
	s_add_co_i32 s56, s56, -1
	s_delay_alu instid0(SALU_CYCLE_1)
	s_cmp_eq_u32 s56, 0
	s_cbranch_scc1 .LBB20_10
.LBB20_14:                              ;   Parent Loop BB20_3 Depth=1
                                        ;     Parent Loop BB20_8 Depth=2
                                        ;       Parent Loop BB20_11 Depth=3
                                        ; =>      This Inner Loop Header: Depth=4
	s_wait_alu 0xfffe
	s_and_saveexec_b32 s57, s0
	s_cbranch_execz .LBB20_13
; %bb.15:                               ;   in Loop: Header=BB20_14 Depth=4
	global_load_u16 v20, v[16:17], off
	global_load_u16 v21, v[14:15], off
	s_wait_loadcnt 0x1
	v_lshlrev_b32_e32 v20, 16, v20
	s_wait_loadcnt 0x0
	v_lshlrev_b32_e32 v22, 16, v21
	s_delay_alu instid0(VALU_DEP_2) | instskip(NEXT) | instid1(VALU_DEP_2)
	v_cvt_f64_f32_e32 v[20:21], v20
	v_cvt_f64_f32_e32 v[22:23], v22
	s_delay_alu instid0(VALU_DEP_1)
	v_fma_f64 v[5:6], v[22:23], v[20:21], v[5:6]
	s_branch .LBB20_13
.LBB20_16:                              ;   in Loop: Header=BB20_3 Depth=1
	v_mad_co_i64_i32 v[1:2], null, v18, s2, v[1:2]
	s_mov_b32 s0, -1
	v_add_co_u32 v1, vcc_lo, v1, v3
	s_wait_alu 0xfffd
	v_add_co_ci_u32_e64 v2, null, v2, v4, vcc_lo
	s_and_b32 vcc_lo, exec_lo, s51
	v_lshlrev_b64_e32 v[1:2], 1, v[1:2]
	s_wait_alu 0xfffe
	s_cbranch_vccz .LBB20_18
; %bb.17:                               ;   in Loop: Header=BB20_3 Depth=1
	s_delay_alu instid0(VALU_DEP_1) | instskip(SKIP_1) | instid1(VALU_DEP_2)
	v_add_co_u32 v3, vcc_lo, s4, v1
	s_wait_alu 0xfffd
	v_add_co_ci_u32_e64 v4, null, s5, v2, vcc_lo
	global_load_u16 v7, v[3:4], off
	s_wait_loadcnt 0x0
	v_lshlrev_b32_e32 v7, 16, v7
	s_delay_alu instid0(VALU_DEP_1) | instskip(NEXT) | instid1(VALU_DEP_1)
	v_cvt_f64_f32_e32 v[7:8], v7
	v_mul_f64_e32 v[7:8], s[26:27], v[7:8]
	s_delay_alu instid0(VALU_DEP_1) | instskip(NEXT) | instid1(VALU_DEP_1)
	v_fma_f64 v[7:8], s[24:25], v[5:6], v[7:8]
	v_cvt_f32_f64_e32 v7, v[7:8]
	s_delay_alu instid0(VALU_DEP_1) | instskip(SKIP_2) | instid1(VALU_DEP_3)
	v_and_b32_e32 v8, 0x7f800000, v7
	v_and_b32_e32 v9, 0xffff, v7
	v_lshrrev_b32_e32 v7, 16, v7
	v_cmp_eq_u32_e32 vcc_lo, 0x7f800000, v8
	s_delay_alu instid0(VALU_DEP_3) | instskip(SKIP_4) | instid1(VALU_DEP_1)
	v_cmp_ne_u32_e64 s0, 0, v9
	s_and_b32 s0, vcc_lo, s0
	s_wait_alu 0xfffe
	v_cndmask_b32_e64 v8, 0, 1, s0
	s_mov_b32 s0, 0
	v_or_b32_e32 v7, v7, v8
	global_store_b16 v[3:4], v7, off
.LBB20_18:                              ;   in Loop: Header=BB20_3 Depth=1
	s_wait_alu 0xfffe
	s_and_not1_b32 vcc_lo, exec_lo, s0
	s_wait_alu 0xfffe
	s_cbranch_vccnz .LBB20_2
; %bb.19:                               ;   in Loop: Header=BB20_3 Depth=1
	v_cvt_f32_f64_e32 v3, v[5:6]
	s_delay_alu instid0(VALU_DEP_1) | instskip(SKIP_2) | instid1(VALU_DEP_3)
	v_and_b32_e32 v4, 0x7f800000, v3
	v_and_b32_e32 v5, 0xffff, v3
	v_lshrrev_b32_e32 v3, 16, v3
	v_cmp_eq_u32_e32 vcc_lo, 0x7f800000, v4
	s_delay_alu instid0(VALU_DEP_3)
	v_cmp_ne_u32_e64 s0, 0, v5
	s_and_b32 s0, vcc_lo, s0
	v_add_co_u32 v1, vcc_lo, s4, v1
	s_wait_alu 0xfffe
	v_cndmask_b32_e64 v4, 0, 1, s0
	s_wait_alu 0xfffd
	v_add_co_ci_u32_e64 v2, null, s5, v2, vcc_lo
	s_delay_alu instid0(VALU_DEP_2)
	v_or_b32_e32 v3, v3, v4
	global_store_b16 v[1:2], v3, off
	s_branch .LBB20_2
.LBB20_20:
	s_endpgm
	.section	.rodata,"a",@progbits
	.p2align	6, 0x0
	.amdhsa_kernel naive_conv_ab_packed_fwd_nhwc_ushort_double_ushort_0
		.amdhsa_group_segment_fixed_size 0
		.amdhsa_private_segment_fixed_size 0
		.amdhsa_kernarg_size 480
		.amdhsa_user_sgpr_count 2
		.amdhsa_user_sgpr_dispatch_ptr 0
		.amdhsa_user_sgpr_queue_ptr 0
		.amdhsa_user_sgpr_kernarg_segment_ptr 1
		.amdhsa_user_sgpr_dispatch_id 0
		.amdhsa_user_sgpr_private_segment_size 0
		.amdhsa_wavefront_size32 1
		.amdhsa_uses_dynamic_stack 0
		.amdhsa_enable_private_segment 0
		.amdhsa_system_sgpr_workgroup_id_x 1
		.amdhsa_system_sgpr_workgroup_id_y 0
		.amdhsa_system_sgpr_workgroup_id_z 0
		.amdhsa_system_sgpr_workgroup_info 0
		.amdhsa_system_vgpr_workitem_id 0
		.amdhsa_next_free_vgpr 24
		.amdhsa_next_free_sgpr 58
		.amdhsa_reserve_vcc 1
		.amdhsa_float_round_mode_32 0
		.amdhsa_float_round_mode_16_64 0
		.amdhsa_float_denorm_mode_32 3
		.amdhsa_float_denorm_mode_16_64 3
		.amdhsa_fp16_overflow 0
		.amdhsa_workgroup_processor_mode 1
		.amdhsa_memory_ordered 1
		.amdhsa_forward_progress 1
		.amdhsa_inst_pref_size 15
		.amdhsa_round_robin_scheduling 0
		.amdhsa_exception_fp_ieee_invalid_op 0
		.amdhsa_exception_fp_denorm_src 0
		.amdhsa_exception_fp_ieee_div_zero 0
		.amdhsa_exception_fp_ieee_overflow 0
		.amdhsa_exception_fp_ieee_underflow 0
		.amdhsa_exception_fp_ieee_inexact 0
		.amdhsa_exception_int_div_zero 0
	.end_amdhsa_kernel
	.text
.Lfunc_end20:
	.size	naive_conv_ab_packed_fwd_nhwc_ushort_double_ushort_0, .Lfunc_end20-naive_conv_ab_packed_fwd_nhwc_ushort_double_ushort_0
                                        ; -- End function
	.set naive_conv_ab_packed_fwd_nhwc_ushort_double_ushort_0.num_vgpr, 24
	.set naive_conv_ab_packed_fwd_nhwc_ushort_double_ushort_0.num_agpr, 0
	.set naive_conv_ab_packed_fwd_nhwc_ushort_double_ushort_0.numbered_sgpr, 58
	.set naive_conv_ab_packed_fwd_nhwc_ushort_double_ushort_0.num_named_barrier, 0
	.set naive_conv_ab_packed_fwd_nhwc_ushort_double_ushort_0.private_seg_size, 0
	.set naive_conv_ab_packed_fwd_nhwc_ushort_double_ushort_0.uses_vcc, 1
	.set naive_conv_ab_packed_fwd_nhwc_ushort_double_ushort_0.uses_flat_scratch, 0
	.set naive_conv_ab_packed_fwd_nhwc_ushort_double_ushort_0.has_dyn_sized_stack, 0
	.set naive_conv_ab_packed_fwd_nhwc_ushort_double_ushort_0.has_recursion, 0
	.set naive_conv_ab_packed_fwd_nhwc_ushort_double_ushort_0.has_indirect_call, 0
	.section	.AMDGPU.csdata,"",@progbits
; Kernel info:
; codeLenInByte = 1912
; TotalNumSgprs: 60
; NumVgprs: 24
; ScratchSize: 0
; MemoryBound: 0
; FloatMode: 240
; IeeeMode: 1
; LDSByteSize: 0 bytes/workgroup (compile time only)
; SGPRBlocks: 0
; VGPRBlocks: 2
; NumSGPRsForWavesPerEU: 60
; NumVGPRsForWavesPerEU: 24
; Occupancy: 16
; WaveLimiterHint : 0
; COMPUTE_PGM_RSRC2:SCRATCH_EN: 0
; COMPUTE_PGM_RSRC2:USER_SGPR: 2
; COMPUTE_PGM_RSRC2:TRAP_HANDLER: 0
; COMPUTE_PGM_RSRC2:TGID_X_EN: 1
; COMPUTE_PGM_RSRC2:TGID_Y_EN: 0
; COMPUTE_PGM_RSRC2:TGID_Z_EN: 0
; COMPUTE_PGM_RSRC2:TIDIG_COMP_CNT: 0
	.text
	.protected	naive_conv_ab_nonpacked_fwd_nhwc_ushort_double_ushort_0 ; -- Begin function naive_conv_ab_nonpacked_fwd_nhwc_ushort_double_ushort_0
	.globl	naive_conv_ab_nonpacked_fwd_nhwc_ushort_double_ushort_0
	.p2align	8
	.type	naive_conv_ab_nonpacked_fwd_nhwc_ushort_double_ushort_0,@function
naive_conv_ab_nonpacked_fwd_nhwc_ushort_double_ushort_0: ; @naive_conv_ab_nonpacked_fwd_nhwc_ushort_double_ushort_0
; %bb.0:
	s_load_b512 s[4:19], s[0:1], 0xa0
	s_abs_i32 s21, ttmp9
	s_wait_kmcnt 0x0
	s_abs_i32 s2, s9
	s_delay_alu instid0(SALU_CYCLE_1) | instskip(SKIP_1) | instid1(SALU_CYCLE_2)
	s_cvt_f32_u32 s3, s2
	s_sub_co_i32 s20, 0, s2
	v_rcp_iflag_f32_e32 v1, s3
	s_delay_alu instid0(TRANS32_DEP_1) | instskip(SKIP_2) | instid1(SALU_CYCLE_2)
	v_readfirstlane_b32 s3, v1
	s_mul_f32 s3, s3, 0x4f7ffffe
	s_wait_alu 0xfffe
	s_cvt_u32_f32 s3, s3
	s_wait_alu 0xfffe
	s_delay_alu instid0(SALU_CYCLE_2) | instskip(NEXT) | instid1(SALU_CYCLE_1)
	s_mul_i32 s20, s20, s3
	s_mul_hi_u32 s20, s3, s20
	s_delay_alu instid0(SALU_CYCLE_1) | instskip(SKIP_4) | instid1(SALU_CYCLE_1)
	s_add_co_i32 s3, s3, s20
	s_wait_alu 0xfffe
	s_mul_hi_u32 s3, s21, s3
	s_wait_alu 0xfffe
	s_mul_i32 s20, s3, s2
	s_sub_co_i32 s20, s21, s20
	s_add_co_i32 s21, s3, 1
	s_sub_co_i32 s22, s20, s2
	s_cmp_ge_u32 s20, s2
	s_cselect_b32 s3, s21, s3
	s_cselect_b32 s20, s22, s20
	s_wait_alu 0xfffe
	s_add_co_i32 s21, s3, 1
	s_cmp_ge_u32 s20, s2
	s_mov_b32 s20, exec_lo
	s_cselect_b32 s2, s21, s3
	s_abs_i32 s33, s6
	s_mul_i32 s6, s19, s7
	s_cvt_f32_u32 s3, s33
	s_mul_i32 s19, s6, s10
	s_wait_alu 0xfffe
	s_delay_alu instid0(SALU_CYCLE_1) | instskip(SKIP_1) | instid1(TRANS32_DEP_1)
	v_rcp_iflag_f32_e32 v1, s3
	s_mov_b32 s3, 0
	v_readfirstlane_b32 s10, v1
	v_cmpx_gt_i32_e64 s19, v0
	s_cbranch_execz .LBB21_20
; %bb.1:
	s_mul_f32 s10, s10, 0x4f7ffffe
	s_xor_b32 s28, ttmp9, s9
	s_sub_co_i32 s30, 0, s33
	s_ashr_i32 s28, s28, 31
	s_cvt_u32_f32 s10, s10
	s_xor_b32 s2, s2, s28
	s_wait_alu 0xfffe
	s_mov_b32 s29, s3
	s_sub_co_i32 s38, s2, s28
	s_mul_i32 s30, s30, s10
	s_abs_i32 s2, s38
	s_mul_hi_u32 s28, s10, s30
	s_load_b256 s[20:27], s[0:1], 0x0
	s_add_co_i32 s28, s10, s28
	s_ashr_i32 s10, s38, 31
	s_mul_u64 s[36:37], s[2:3], s[28:29]
	s_clause 0x2
	s_load_b64 s[34:35], s[0:1], 0x20
	s_load_b64 s[60:61], s[0:1], 0x98
	s_load_b128 s[28:31], s[0:1], 0x88
	s_mul_i32 s36, s37, s33
	s_mul_i32 s38, s38, s9
	s_sub_co_i32 s2, s2, s36
	s_sub_co_i32 s62, ttmp9, s38
	s_wait_alu 0xfffe
	s_sub_co_i32 s9, s2, s33
	s_cmp_ge_u32 s2, s33
	s_load_b512 s[36:51], s[0:1], 0x28
	s_cselect_b32 s2, s9, s2
	s_load_b256 s[52:59], s[0:1], 0x68
	s_sub_co_i32 s9, s2, s33
	s_cmp_ge_u32 s2, s33
	s_load_b32 s68, s[0:1], 0xec
	s_cselect_b32 s0, s9, s2
	s_ashr_i32 s63, s62, 31
	s_xor_b32 s0, s0, s10
	s_wait_kmcnt 0x0
	v_cmp_neq_f64_e64 s69, s[24:25], 1.0
	s_sub_co_i32 s64, s0, s10
	v_cmp_neq_f64_e64 s70, s[26:27], 0
	s_ashr_i32 s65, s64, 31
	s_mul_u64 s[0:1], s[30:31], s[62:63]
	s_mul_u64 s[30:31], s[60:61], s[64:65]
	s_lshl_b64 s[66:67], s[0:1], 1
	s_lshl_b64 s[30:31], s[30:31], 1
	s_cmp_lt_i32 s17, 1
	s_mul_i32 s0, s62, s11
	s_cselect_b32 s1, -1, 0
	s_sub_co_i32 s2, s0, s15
	s_cmp_gt_i32 s18, 0
	s_add_nc_u64 s[10:11], s[34:35], s[30:31]
	s_cselect_b32 s9, -1, 0
	s_cmp_gt_i32 s8, 0
	s_mul_u64 s[64:65], s[44:45], s[64:65]
	s_cselect_b32 s15, -1, 0
	s_abs_i32 s33, s6
	s_abs_i32 s60, s7
	s_cvt_f32_u32 s0, s33
	s_cvt_f32_u32 s61, s60
	s_lshl_b64 s[30:31], s[52:53], 1
	s_lshl_b64 s[34:35], s[54:55], 1
	v_rcp_iflag_f32_e32 v1, s0
	v_rcp_iflag_f32_e32 v2, s61
	s_sub_co_i32 s53, 0, s33
	s_sub_co_i32 s54, 0, s60
	s_lshl_b64 s[44:45], s[50:51], 1
	s_lshl_b64 s[50:51], s[64:65], 1
	s_add_nc_u64 s[10:11], s[10:11], s[66:67]
	s_add_nc_u64 s[20:21], s[20:21], s[50:51]
	s_and_b32 s61, s68, 0xffff
	s_ashr_i32 s62, s6, 31
	v_readfirstlane_b32 s0, v1
	v_readfirstlane_b32 s52, v2
	s_ashr_i32 s63, s7, 31
	s_lshl_b64 s[48:49], s[48:49], 1
	s_lshl_b64 s[46:47], s[46:47], 1
	s_mul_f32 s0, s0, 0x4f7ffffe
	s_mul_f32 s52, s52, 0x4f7ffffe
	s_or_b32 s50, s69, s70
	s_lshl_b64 s[38:39], s[38:39], 1
	s_wait_alu 0xfffe
	s_cvt_u32_f32 s0, s0
	s_cvt_u32_f32 s52, s52
	s_lshl_b64 s[42:43], s[42:43], 1
	s_lshl_b64 s[40:41], s[40:41], 1
	s_wait_alu 0xfffe
	s_mul_i32 s53, s53, s0
	s_mul_i32 s54, s54, s52
	s_mul_hi_u32 s51, s0, s53
	s_mul_hi_u32 s53, s52, s54
	s_add_co_i32 s51, s0, s51
	s_add_co_i32 s52, s52, s53
	s_lshl_b64 s[36:37], s[36:37], 1
	s_branch .LBB21_3
.LBB21_2:                               ;   in Loop: Header=BB21_3 Depth=1
	v_add_nc_u32_e32 v0, s61, v0
	s_delay_alu instid0(VALU_DEP_1)
	v_cmp_le_i32_e32 vcc_lo, s19, v0
	s_or_b32 s3, vcc_lo, s3
	s_wait_alu 0xfffe
	s_and_not1_b32 exec_lo, exec_lo, s3
	s_cbranch_execz .LBB21_20
.LBB21_3:                               ; =>This Loop Header: Depth=1
                                        ;     Child Loop BB21_8 Depth 2
                                        ;       Child Loop BB21_11 Depth 3
                                        ;         Child Loop BB21_14 Depth 4
	v_sub_nc_u32_e32 v1, 0, v0
	s_mov_b32 s0, -1
	s_delay_alu instid0(VALU_DEP_1) | instskip(NEXT) | instid1(VALU_DEP_1)
	v_max_i32_e32 v1, v0, v1
	v_mul_hi_u32 v2, v1, s51
	s_delay_alu instid0(VALU_DEP_1) | instskip(NEXT) | instid1(VALU_DEP_1)
	v_mul_lo_u32 v3, v2, s33
	v_sub_nc_u32_e32 v1, v1, v3
	v_add_nc_u32_e32 v3, 1, v2
	s_delay_alu instid0(VALU_DEP_2) | instskip(SKIP_2) | instid1(VALU_DEP_2)
	v_subrev_nc_u32_e32 v4, s33, v1
	v_cmp_le_u32_e32 vcc_lo, s33, v1
	s_wait_alu 0xfffd
	v_dual_cndmask_b32 v2, v2, v3 :: v_dual_cndmask_b32 v1, v1, v4
	v_ashrrev_i32_e32 v3, 31, v0
	s_delay_alu instid0(VALU_DEP_2) | instskip(NEXT) | instid1(VALU_DEP_3)
	v_add_nc_u32_e32 v4, 1, v2
	v_cmp_le_u32_e32 vcc_lo, s33, v1
	s_delay_alu instid0(VALU_DEP_3) | instskip(SKIP_1) | instid1(VALU_DEP_3)
	v_xor_b32_e32 v3, s62, v3
	s_wait_alu 0xfffd
	v_cndmask_b32_e32 v1, v2, v4, vcc_lo
	s_delay_alu instid0(VALU_DEP_1) | instskip(NEXT) | instid1(VALU_DEP_1)
	v_xor_b32_e32 v1, v1, v3
	v_sub_nc_u32_e32 v16, v1, v3
	s_delay_alu instid0(VALU_DEP_1) | instskip(NEXT) | instid1(VALU_DEP_1)
	v_mul_lo_u32 v1, v16, s6
	v_sub_nc_u32_e32 v3, v0, v1
	s_delay_alu instid0(VALU_DEP_1) | instskip(NEXT) | instid1(VALU_DEP_1)
	v_sub_nc_u32_e32 v1, 0, v3
	v_max_i32_e32 v1, v3, v1
	s_delay_alu instid0(VALU_DEP_1) | instskip(NEXT) | instid1(VALU_DEP_1)
	v_mul_hi_u32 v2, v1, s52
	v_mul_lo_u32 v4, v2, s60
	s_delay_alu instid0(VALU_DEP_1) | instskip(SKIP_1) | instid1(VALU_DEP_2)
	v_sub_nc_u32_e32 v1, v1, v4
	v_add_nc_u32_e32 v4, 1, v2
	v_subrev_nc_u32_e32 v5, s60, v1
	v_cmp_le_u32_e32 vcc_lo, s60, v1
	s_wait_alu 0xfffd
	s_delay_alu instid0(VALU_DEP_2) | instskip(SKIP_1) | instid1(VALU_DEP_2)
	v_dual_cndmask_b32 v2, v2, v4 :: v_dual_cndmask_b32 v1, v1, v5
	v_ashrrev_i32_e32 v4, 31, v3
	v_add_nc_u32_e32 v5, 1, v2
	s_delay_alu instid0(VALU_DEP_3) | instskip(NEXT) | instid1(VALU_DEP_3)
	v_cmp_le_u32_e32 vcc_lo, s60, v1
	v_xor_b32_e32 v6, s63, v4
	s_wait_alu 0xfffd
	s_delay_alu instid0(VALU_DEP_3) | instskip(SKIP_1) | instid1(VALU_DEP_1)
	v_cndmask_b32_e32 v1, v2, v5, vcc_lo
	s_and_not1_b32 vcc_lo, exec_lo, s1
	v_xor_b32_e32 v1, v1, v6
	s_delay_alu instid0(VALU_DEP_1) | instskip(NEXT) | instid1(VALU_DEP_1)
	v_sub_nc_u32_e32 v17, v1, v6
	v_mul_lo_u32 v5, v17, s7
	v_ashrrev_i32_e32 v18, 31, v17
	s_delay_alu instid0(VALU_DEP_2) | instskip(NEXT) | instid1(VALU_DEP_1)
	v_sub_nc_u32_e32 v19, v3, v5
	v_ashrrev_i32_e32 v20, 31, v19
	s_wait_alu 0xfffe
	s_cbranch_vccnz .LBB21_5
; %bb.4:                                ;   in Loop: Header=BB21_3 Depth=1
	s_mov_b32 s0, 0
.LBB21_5:                               ;   in Loop: Header=BB21_3 Depth=1
	v_mov_b32_e32 v1, 0
	v_mov_b32_e32 v2, 0
	s_wait_alu 0xfffe
	s_and_not1_b32 vcc_lo, exec_lo, s0
	s_wait_alu 0xfffe
	s_cbranch_vccnz .LBB21_16
; %bb.6:                                ;   in Loop: Header=BB21_3 Depth=1
	v_mul_lo_u32 v6, s35, v17
	v_mul_lo_u32 v7, s34, v18
	v_mad_co_u64_u32 v[1:2], null, s34, v17, 0
	v_ashrrev_i32_e32 v8, 31, v5
	v_sub_co_u32 v3, vcc_lo, v3, v5
	v_mul_lo_u32 v9, v16, s12
	v_mul_lo_u32 v10, s39, v17
	s_wait_alu 0xfffd
	v_sub_co_ci_u32_e64 v4, null, v4, v8, vcc_lo
	v_add3_u32 v2, v2, v7, v6
	v_mul_lo_u32 v5, s31, v3
	v_mul_lo_u32 v11, s38, v18
	s_delay_alu instid0(VALU_DEP_4)
	v_mul_lo_u32 v8, s30, v4
	s_mov_b32 s53, 0
	v_mad_co_u64_u32 v[6:7], null, s30, v3, v[1:2]
	v_mad_co_u64_u32 v[3:4], null, s38, v17, s[20:21]
	v_mov_b32_e32 v1, 0
	v_mov_b32_e32 v2, 0
	s_mov_b32 s54, s2
	s_delay_alu instid0(VALU_DEP_4)
	v_add3_u32 v7, v5, v7, v8
	v_add_co_u32 v6, vcc_lo, s22, v6
	v_subrev_nc_u32_e32 v5, s16, v9
	v_add3_u32 v4, v10, v4, v11
	s_wait_alu 0xfffd
	v_add_co_ci_u32_e64 v7, null, s23, v7, vcc_lo
	s_branch .LBB21_8
.LBB21_7:                               ;   in Loop: Header=BB21_8 Depth=2
	v_add_co_u32 v6, vcc_lo, v6, s44
	s_wait_alu 0xfffd
	v_add_co_ci_u32_e64 v7, null, s45, v7, vcc_lo
	s_add_co_i32 s53, s53, 1
	s_add_co_i32 s54, s54, s13
	s_wait_alu 0xfffe
	s_cmp_eq_u32 s53, s17
	s_cbranch_scc1 .LBB21_16
.LBB21_8:                               ;   Parent Loop BB21_3 Depth=1
                                        ; =>  This Loop Header: Depth=2
                                        ;       Child Loop BB21_11 Depth 3
                                        ;         Child Loop BB21_14 Depth 4
	s_and_not1_b32 vcc_lo, exec_lo, s9
	s_wait_alu 0xfffe
	s_cbranch_vccnz .LBB21_7
; %bb.9:                                ;   in Loop: Header=BB21_8 Depth=2
	v_mad_co_u64_u32 v[8:9], null, s42, s54, v[3:4]
	s_mul_i32 s0, s53, s13
	v_mov_b32_e32 v21, v5
	s_wait_alu 0xfffe
	s_add_co_i32 s0, s0, s2
	s_mov_b32 s55, 0
	s_wait_alu 0xfffe
	s_cmp_lt_i32 s0, 0
	s_cselect_b32 s64, -1, 0
	v_mad_co_u64_u32 v[9:10], null, s43, s54, v[9:10]
	s_cmp_ge_i32 s0, s4
	v_dual_mov_b32 v11, v7 :: v_dual_mov_b32 v10, v6
	s_cselect_b32 s0, -1, 0
	s_wait_alu 0xfffe
	s_or_b32 s64, s64, s0
	s_branch .LBB21_11
.LBB21_10:                              ;   in Loop: Header=BB21_11 Depth=3
	v_add_co_u32 v10, vcc_lo, v10, s48
	s_wait_alu 0xfffd
	v_add_co_ci_u32_e64 v11, null, s49, v11, vcc_lo
	v_add_nc_u32_e32 v21, s14, v21
	s_add_co_i32 s55, s55, 1
	s_wait_alu 0xfffe
	s_cmp_eq_u32 s55, s18
	s_cbranch_scc1 .LBB21_7
.LBB21_11:                              ;   Parent Loop BB21_3 Depth=1
                                        ;     Parent Loop BB21_8 Depth=2
                                        ; =>    This Loop Header: Depth=3
                                        ;         Child Loop BB21_14 Depth 4
	s_and_not1_b32 vcc_lo, exec_lo, s15
	s_wait_alu 0xfffe
	s_cbranch_vccnz .LBB21_10
; %bb.12:                               ;   in Loop: Header=BB21_11 Depth=3
	v_mad_co_u64_u32 v[12:13], null, s40, v21, v[8:9]
	v_mad_co_u64_u32 v[14:15], null, s55, s14, v[5:6]
	s_mov_b32 s65, s8
	v_mad_co_u64_u32 v[22:23], null, s41, v21, v[13:14]
	v_cmp_gt_i32_e32 vcc_lo, 0, v14
	v_cmp_le_i32_e64 s0, s5, v14
	v_dual_mov_b32 v15, v11 :: v_dual_mov_b32 v14, v10
	s_delay_alu instid0(VALU_DEP_4)
	v_mov_b32_e32 v13, v22
	s_or_b32 s0, vcc_lo, s0
	s_wait_alu 0xfffe
	s_nor_b32 s0, s64, s0
	s_branch .LBB21_14
.LBB21_13:                              ;   in Loop: Header=BB21_14 Depth=4
	s_or_b32 exec_lo, exec_lo, s66
	v_add_co_u32 v14, vcc_lo, v14, s46
	s_wait_alu 0xfffd
	v_add_co_ci_u32_e64 v15, null, s47, v15, vcc_lo
	v_add_co_u32 v12, vcc_lo, v12, s36
	s_wait_alu 0xfffd
	v_add_co_ci_u32_e64 v13, null, s37, v13, vcc_lo
	s_add_co_i32 s65, s65, -1
	s_delay_alu instid0(SALU_CYCLE_1)
	s_cmp_eq_u32 s65, 0
	s_cbranch_scc1 .LBB21_10
.LBB21_14:                              ;   Parent Loop BB21_3 Depth=1
                                        ;     Parent Loop BB21_8 Depth=2
                                        ;       Parent Loop BB21_11 Depth=3
                                        ; =>      This Inner Loop Header: Depth=4
	s_wait_alu 0xfffe
	s_and_saveexec_b32 s66, s0
	s_cbranch_execz .LBB21_13
; %bb.15:                               ;   in Loop: Header=BB21_14 Depth=4
	global_load_u16 v22, v[14:15], off
	global_load_u16 v23, v[12:13], off
	s_wait_loadcnt 0x1
	v_lshlrev_b32_e32 v22, 16, v22
	s_wait_loadcnt 0x0
	v_lshlrev_b32_e32 v24, 16, v23
	s_delay_alu instid0(VALU_DEP_2) | instskip(NEXT) | instid1(VALU_DEP_2)
	v_cvt_f64_f32_e32 v[22:23], v22
	v_cvt_f64_f32_e32 v[24:25], v24
	s_delay_alu instid0(VALU_DEP_1)
	v_fma_f64 v[1:2], v[24:25], v[22:23], v[1:2]
	s_branch .LBB21_13
.LBB21_16:                              ;   in Loop: Header=BB21_3 Depth=1
	v_ashrrev_i32_e32 v5, 31, v16
	v_mul_lo_u32 v6, s29, v16
	v_mad_co_u64_u32 v[3:4], null, s28, v16, 0
	s_and_b32 vcc_lo, exec_lo, s50
	v_mul_lo_u32 v5, s28, v5
	s_mov_b32 s0, -1
	s_delay_alu instid0(VALU_DEP_1) | instskip(SKIP_2) | instid1(VALU_DEP_3)
	v_add3_u32 v4, v4, v5, v6
	v_mul_lo_u32 v5, v19, s57
	v_mul_lo_u32 v6, v20, s56
	v_mad_co_u64_u32 v[3:4], null, v19, s56, v[3:4]
	s_delay_alu instid0(VALU_DEP_1) | instskip(SKIP_2) | instid1(VALU_DEP_3)
	v_add3_u32 v4, v6, v4, v5
	v_mul_lo_u32 v5, v17, s59
	v_mul_lo_u32 v6, v18, s58
	v_mad_co_u64_u32 v[3:4], null, v17, s58, v[3:4]
	s_delay_alu instid0(VALU_DEP_1) | instskip(NEXT) | instid1(VALU_DEP_1)
	v_add3_u32 v4, v6, v4, v5
	v_lshlrev_b64_e32 v[3:4], 1, v[3:4]
	s_wait_alu 0xfffe
	s_cbranch_vccz .LBB21_18
; %bb.17:                               ;   in Loop: Header=BB21_3 Depth=1
	s_delay_alu instid0(VALU_DEP_1) | instskip(SKIP_1) | instid1(VALU_DEP_2)
	v_add_co_u32 v5, vcc_lo, s10, v3
	s_wait_alu 0xfffd
	v_add_co_ci_u32_e64 v6, null, s11, v4, vcc_lo
	global_load_u16 v7, v[5:6], off
	s_wait_loadcnt 0x0
	v_lshlrev_b32_e32 v7, 16, v7
	s_delay_alu instid0(VALU_DEP_1) | instskip(NEXT) | instid1(VALU_DEP_1)
	v_cvt_f64_f32_e32 v[7:8], v7
	v_mul_f64_e32 v[7:8], s[26:27], v[7:8]
	s_delay_alu instid0(VALU_DEP_1) | instskip(NEXT) | instid1(VALU_DEP_1)
	v_fma_f64 v[7:8], s[24:25], v[1:2], v[7:8]
	v_cvt_f32_f64_e32 v7, v[7:8]
	s_delay_alu instid0(VALU_DEP_1) | instskip(SKIP_2) | instid1(VALU_DEP_3)
	v_and_b32_e32 v8, 0x7f800000, v7
	v_and_b32_e32 v9, 0xffff, v7
	v_lshrrev_b32_e32 v7, 16, v7
	v_cmp_eq_u32_e32 vcc_lo, 0x7f800000, v8
	s_delay_alu instid0(VALU_DEP_3) | instskip(SKIP_4) | instid1(VALU_DEP_1)
	v_cmp_ne_u32_e64 s0, 0, v9
	s_and_b32 s0, vcc_lo, s0
	s_wait_alu 0xfffe
	v_cndmask_b32_e64 v8, 0, 1, s0
	s_mov_b32 s0, 0
	v_or_b32_e32 v7, v7, v8
	global_store_b16 v[5:6], v7, off
.LBB21_18:                              ;   in Loop: Header=BB21_3 Depth=1
	s_wait_alu 0xfffe
	s_and_not1_b32 vcc_lo, exec_lo, s0
	s_wait_alu 0xfffe
	s_cbranch_vccnz .LBB21_2
; %bb.19:                               ;   in Loop: Header=BB21_3 Depth=1
	v_cvt_f32_f64_e32 v1, v[1:2]
	s_delay_alu instid0(VALU_DEP_1) | instskip(SKIP_2) | instid1(VALU_DEP_3)
	v_and_b32_e32 v2, 0x7f800000, v1
	v_and_b32_e32 v5, 0xffff, v1
	v_lshrrev_b32_e32 v1, 16, v1
	v_cmp_eq_u32_e32 vcc_lo, 0x7f800000, v2
	s_delay_alu instid0(VALU_DEP_3) | instskip(SKIP_3) | instid1(VALU_DEP_1)
	v_cmp_ne_u32_e64 s0, 0, v5
	s_and_b32 s0, vcc_lo, s0
	s_wait_alu 0xfffe
	v_cndmask_b32_e64 v2, 0, 1, s0
	v_or_b32_e32 v5, v1, v2
	v_add_co_u32 v1, vcc_lo, s10, v3
	s_wait_alu 0xfffd
	v_add_co_ci_u32_e64 v2, null, s11, v4, vcc_lo
	global_store_b16 v[1:2], v5, off
	s_branch .LBB21_2
.LBB21_20:
	s_endpgm
	.section	.rodata,"a",@progbits
	.p2align	6, 0x0
	.amdhsa_kernel naive_conv_ab_nonpacked_fwd_nhwc_ushort_double_ushort_0
		.amdhsa_group_segment_fixed_size 0
		.amdhsa_private_segment_fixed_size 0
		.amdhsa_kernarg_size 480
		.amdhsa_user_sgpr_count 2
		.amdhsa_user_sgpr_dispatch_ptr 0
		.amdhsa_user_sgpr_queue_ptr 0
		.amdhsa_user_sgpr_kernarg_segment_ptr 1
		.amdhsa_user_sgpr_dispatch_id 0
		.amdhsa_user_sgpr_private_segment_size 0
		.amdhsa_wavefront_size32 1
		.amdhsa_uses_dynamic_stack 0
		.amdhsa_enable_private_segment 0
		.amdhsa_system_sgpr_workgroup_id_x 1
		.amdhsa_system_sgpr_workgroup_id_y 0
		.amdhsa_system_sgpr_workgroup_id_z 0
		.amdhsa_system_sgpr_workgroup_info 0
		.amdhsa_system_vgpr_workitem_id 0
		.amdhsa_next_free_vgpr 26
		.amdhsa_next_free_sgpr 71
		.amdhsa_reserve_vcc 1
		.amdhsa_float_round_mode_32 0
		.amdhsa_float_round_mode_16_64 0
		.amdhsa_float_denorm_mode_32 3
		.amdhsa_float_denorm_mode_16_64 3
		.amdhsa_fp16_overflow 0
		.amdhsa_workgroup_processor_mode 1
		.amdhsa_memory_ordered 1
		.amdhsa_forward_progress 1
		.amdhsa_inst_pref_size 16
		.amdhsa_round_robin_scheduling 0
		.amdhsa_exception_fp_ieee_invalid_op 0
		.amdhsa_exception_fp_denorm_src 0
		.amdhsa_exception_fp_ieee_div_zero 0
		.amdhsa_exception_fp_ieee_overflow 0
		.amdhsa_exception_fp_ieee_underflow 0
		.amdhsa_exception_fp_ieee_inexact 0
		.amdhsa_exception_int_div_zero 0
	.end_amdhsa_kernel
	.text
.Lfunc_end21:
	.size	naive_conv_ab_nonpacked_fwd_nhwc_ushort_double_ushort_0, .Lfunc_end21-naive_conv_ab_nonpacked_fwd_nhwc_ushort_double_ushort_0
                                        ; -- End function
	.set naive_conv_ab_nonpacked_fwd_nhwc_ushort_double_ushort_0.num_vgpr, 26
	.set naive_conv_ab_nonpacked_fwd_nhwc_ushort_double_ushort_0.num_agpr, 0
	.set naive_conv_ab_nonpacked_fwd_nhwc_ushort_double_ushort_0.numbered_sgpr, 71
	.set naive_conv_ab_nonpacked_fwd_nhwc_ushort_double_ushort_0.num_named_barrier, 0
	.set naive_conv_ab_nonpacked_fwd_nhwc_ushort_double_ushort_0.private_seg_size, 0
	.set naive_conv_ab_nonpacked_fwd_nhwc_ushort_double_ushort_0.uses_vcc, 1
	.set naive_conv_ab_nonpacked_fwd_nhwc_ushort_double_ushort_0.uses_flat_scratch, 0
	.set naive_conv_ab_nonpacked_fwd_nhwc_ushort_double_ushort_0.has_dyn_sized_stack, 0
	.set naive_conv_ab_nonpacked_fwd_nhwc_ushort_double_ushort_0.has_recursion, 0
	.set naive_conv_ab_nonpacked_fwd_nhwc_ushort_double_ushort_0.has_indirect_call, 0
	.section	.AMDGPU.csdata,"",@progbits
; Kernel info:
; codeLenInByte = 1932
; TotalNumSgprs: 73
; NumVgprs: 26
; ScratchSize: 0
; MemoryBound: 0
; FloatMode: 240
; IeeeMode: 1
; LDSByteSize: 0 bytes/workgroup (compile time only)
; SGPRBlocks: 0
; VGPRBlocks: 3
; NumSGPRsForWavesPerEU: 73
; NumVGPRsForWavesPerEU: 26
; Occupancy: 16
; WaveLimiterHint : 0
; COMPUTE_PGM_RSRC2:SCRATCH_EN: 0
; COMPUTE_PGM_RSRC2:USER_SGPR: 2
; COMPUTE_PGM_RSRC2:TRAP_HANDLER: 0
; COMPUTE_PGM_RSRC2:TGID_X_EN: 1
; COMPUTE_PGM_RSRC2:TGID_Y_EN: 0
; COMPUTE_PGM_RSRC2:TGID_Z_EN: 0
; COMPUTE_PGM_RSRC2:TIDIG_COMP_CNT: 0
	.text
	.protected	naive_conv_ab_packed_fwd_nhwc_int8_t_int32_t_int8_t_0 ; -- Begin function naive_conv_ab_packed_fwd_nhwc_int8_t_int32_t_int8_t_0
	.globl	naive_conv_ab_packed_fwd_nhwc_int8_t_int32_t_int8_t_0
	.p2align	8
	.type	naive_conv_ab_packed_fwd_nhwc_int8_t_int32_t_int8_t_0,@function
naive_conv_ab_packed_fwd_nhwc_int8_t_int32_t_int8_t_0: ; @naive_conv_ab_packed_fwd_nhwc_int8_t_int32_t_int8_t_0
; %bb.0:
	s_load_b512 s[4:19], s[0:1], 0xa0
	s_abs_i32 s21, ttmp9
	s_mov_b32 s29, 0
	s_wait_kmcnt 0x0
	s_abs_i32 s2, s9
	s_delay_alu instid0(SALU_CYCLE_1) | instskip(SKIP_1) | instid1(SALU_CYCLE_2)
	s_cvt_f32_u32 s3, s2
	s_sub_co_i32 s20, 0, s2
	v_rcp_iflag_f32_e32 v1, s3
	s_delay_alu instid0(TRANS32_DEP_1) | instskip(SKIP_2) | instid1(SALU_CYCLE_2)
	v_readfirstlane_b32 s3, v1
	s_mul_f32 s3, s3, 0x4f7ffffe
	s_wait_alu 0xfffe
	s_cvt_u32_f32 s3, s3
	s_wait_alu 0xfffe
	s_delay_alu instid0(SALU_CYCLE_2) | instskip(NEXT) | instid1(SALU_CYCLE_1)
	s_mul_i32 s20, s20, s3
	s_mul_hi_u32 s20, s3, s20
	s_delay_alu instid0(SALU_CYCLE_1) | instskip(SKIP_4) | instid1(SALU_CYCLE_1)
	s_add_co_i32 s3, s3, s20
	s_wait_alu 0xfffe
	s_mul_hi_u32 s3, s21, s3
	s_wait_alu 0xfffe
	s_mul_i32 s20, s3, s2
	s_sub_co_i32 s20, s21, s20
	s_add_co_i32 s21, s3, 1
	s_sub_co_i32 s22, s20, s2
	s_cmp_ge_u32 s20, s2
	s_cselect_b32 s3, s21, s3
	s_cselect_b32 s20, s22, s20
	s_wait_alu 0xfffe
	s_add_co_i32 s21, s3, 1
	s_cmp_ge_u32 s20, s2
	s_mov_b32 s22, exec_lo
	s_cselect_b32 s20, s21, s3
	s_abs_i32 s3, s6
	s_wait_alu 0xfffe
	s_cvt_f32_u32 s2, s3
	s_wait_alu 0xfffe
	s_delay_alu instid0(SALU_CYCLE_2) | instskip(SKIP_3) | instid1(TRANS32_DEP_1)
	v_rcp_iflag_f32_e32 v1, s2
	s_mul_i32 s2, s19, s7
	s_wait_alu 0xfffe
	s_mul_i32 s6, s2, s10
	v_readfirstlane_b32 s21, v1
	v_cmpx_gt_i32_e64 s6, v0
	s_cbranch_execz .LBB22_18
; %bb.1:
	s_mul_f32 s21, s21, 0x4f7ffffe
	s_xor_b32 s22, ttmp9, s9
	s_sub_co_i32 s23, 0, s3
	s_ashr_i32 s22, s22, 31
	s_cvt_u32_f32 s24, s21
	s_xor_b32 s20, s20, s22
	s_mov_b32 s21, s29
	s_sub_co_i32 s33, s20, s22
	s_mul_i32 s23, s23, s24
	s_abs_i32 s28, s33
	s_mul_hi_u32 s20, s24, s23
	s_mov_b32 s40, s9
	s_add_co_i32 s20, s24, s20
	s_clause 0x1
	s_load_b64 s[44:45], s[0:1], 0x20
	s_load_b32 s51, s[0:1], 0xec
	s_mul_u64 s[30:31], s[28:29], s[20:21]
	s_ashr_i32 s30, s33, 31
	s_mul_i32 s31, s31, s3
	s_mul_i32 s33, s33, s9
	s_sub_co_i32 s28, s28, s31
	s_load_b256 s[20:27], s[0:1], 0x0
	s_sub_co_i32 s36, ttmp9, s33
	s_sub_co_i32 s31, s28, s3
	s_cmp_ge_u32 s28, s3
	s_mul_i32 s33, s19, s8
	s_cselect_b32 s28, s31, s28
	s_mov_b32 s42, s10
	s_sub_co_i32 s19, s28, s3
	s_cmp_ge_u32 s28, s3
	s_mov_b32 s34, s5
	s_cselect_b32 s3, s19, s28
	s_ashr_i32 s41, s9, 31
	s_wait_alu 0xfffe
	s_xor_b32 s9, s3, s30
	s_ashr_i32 s31, s4, 31
	s_sub_co_i32 s48, s9, s30
	s_ashr_i32 s35, s5, 31
	s_ashr_i32 s38, s33, 31
	;; [unrolled: 1-line block ×6, first 2 shown]
	s_cmp_lt_i32 s17, 1
	s_mul_i32 s9, s36, s11
	s_cselect_b32 s39, -1, 0
	s_sub_co_i32 s15, s9, s15
	s_cmp_gt_i32 s18, 0
	s_wait_kmcnt 0x0
	v_cmp_neq_f64_e64 s28, s[24:25], 1.0
	v_cmp_neq_f64_e64 s50, s[26:27], 0
	s_mul_u64 s[46:47], s[48:49], s[40:41]
	s_cselect_b32 s40, -1, 0
	s_cmp_gt_i32 s8, 0
	v_cvt_i32_f64_e32 v15, s[24:25]
	v_cvt_i32_f64_e32 v16, s[26:27]
	s_wait_alu 0xfffe
	s_mul_u64 s[10:11], s[2:3], s[42:43]
	s_cselect_b32 s41, -1, 0
	s_abs_i32 s42, s2
	s_abs_i32 s43, s7
	s_cvt_f32_u32 s9, s42
	s_cvt_f32_u32 s0, s43
	s_mov_b32 s30, s4
	s_ashr_i32 s19, s18, 31
	v_rcp_iflag_f32_e32 v1, s9
	v_rcp_iflag_f32_e32 v2, s0
	s_add_nc_u64 s[0:1], s[46:47], s[36:37]
	s_ashr_i32 s9, s8, 31
	s_wait_alu 0xfffe
	s_mul_u64 s[0:1], s[10:11], s[0:1]
	s_sub_co_i32 s11, 0, s42
	s_wait_alu 0xfffe
	s_add_nc_u64 s[4:5], s[44:45], s[0:1]
	s_ashr_i32 s27, s17, 31
	s_mov_b32 s26, s17
	s_mul_u64 s[24:25], s[18:19], s[8:9]
	v_readfirstlane_b32 s0, v1
	v_readfirstlane_b32 s10, v2
	s_ashr_i32 s1, s7, 31
	s_mov_b32 s44, s7
	s_and_b32 s45, s51, 0xffff
	s_mul_f32 s0, s0, 0x4f7ffffe
	s_mul_f32 s10, s10, 0x4f7ffffe
	s_wait_alu 0xfffe
	s_mul_u64 s[26:27], s[24:25], s[26:27]
	s_mov_b32 s47, 0
	s_cvt_u32_f32 s0, s0
	s_cvt_u32_f32 s36, s10
	s_sub_co_i32 s10, 0, s43
	s_wait_alu 0xfffe
	s_mul_i32 s11, s11, s0
	s_mul_i32 s10, s10, s36
	s_mul_hi_u32 s11, s0, s11
	s_or_b32 s19, s28, s50
	s_add_co_i32 s46, s0, s11
	s_mul_hi_u32 s0, s36, s10
	s_mul_u64 s[10:11], s[30:31], s[48:49]
	s_wait_alu 0xfffe
	s_add_co_i32 s31, s36, s0
	s_branch .LBB22_3
.LBB22_2:                               ;   in Loop: Header=BB22_3 Depth=1
	v_add_nc_u32_e32 v0, s45, v0
	global_store_b8 v[1:2], v3, off
	v_cmp_le_i32_e32 vcc_lo, s6, v0
	s_or_b32 s47, vcc_lo, s47
	s_wait_alu 0xfffe
	s_and_not1_b32 exec_lo, exec_lo, s47
	s_cbranch_execz .LBB22_18
.LBB22_3:                               ; =>This Loop Header: Depth=1
                                        ;     Child Loop BB22_8 Depth 2
                                        ;       Child Loop BB22_11 Depth 3
                                        ;         Child Loop BB22_14 Depth 4
	v_sub_nc_u32_e32 v1, 0, v0
	s_mov_b32 s0, -1
	s_delay_alu instid0(VALU_DEP_1) | instskip(NEXT) | instid1(VALU_DEP_1)
	v_max_i32_e32 v1, v0, v1
	v_mul_hi_u32 v2, v1, s46
	s_delay_alu instid0(VALU_DEP_1) | instskip(NEXT) | instid1(VALU_DEP_1)
	v_mul_lo_u32 v3, v2, s42
	v_sub_nc_u32_e32 v1, v1, v3
	v_add_nc_u32_e32 v3, 1, v2
	s_delay_alu instid0(VALU_DEP_2) | instskip(SKIP_2) | instid1(VALU_DEP_2)
	v_subrev_nc_u32_e32 v4, s42, v1
	v_cmp_le_u32_e32 vcc_lo, s42, v1
	s_wait_alu 0xfffd
	v_dual_cndmask_b32 v2, v2, v3 :: v_dual_cndmask_b32 v1, v1, v4
	v_ashrrev_i32_e32 v3, 31, v0
	s_delay_alu instid0(VALU_DEP_2) | instskip(NEXT) | instid1(VALU_DEP_3)
	v_add_nc_u32_e32 v4, 1, v2
	v_cmp_le_u32_e32 vcc_lo, s42, v1
	s_delay_alu instid0(VALU_DEP_3) | instskip(SKIP_1) | instid1(VALU_DEP_3)
	v_xor_b32_e32 v3, s3, v3
	s_wait_alu 0xfffd
	v_cndmask_b32_e32 v1, v2, v4, vcc_lo
	s_delay_alu instid0(VALU_DEP_1) | instskip(NEXT) | instid1(VALU_DEP_1)
	v_xor_b32_e32 v1, v1, v3
	v_sub_nc_u32_e32 v17, v1, v3
	s_delay_alu instid0(VALU_DEP_1) | instskip(NEXT) | instid1(VALU_DEP_1)
	v_mul_lo_u32 v1, v17, s2
	v_sub_nc_u32_e32 v4, v0, v1
	s_delay_alu instid0(VALU_DEP_1) | instskip(SKIP_1) | instid1(VALU_DEP_2)
	v_sub_nc_u32_e32 v1, 0, v4
	v_ashrrev_i32_e32 v5, 31, v4
	v_max_i32_e32 v1, v4, v1
	s_delay_alu instid0(VALU_DEP_1) | instskip(NEXT) | instid1(VALU_DEP_1)
	v_mul_hi_u32 v2, v1, s31
	v_mul_lo_u32 v3, v2, s43
	s_delay_alu instid0(VALU_DEP_1) | instskip(SKIP_1) | instid1(VALU_DEP_2)
	v_sub_nc_u32_e32 v1, v1, v3
	v_add_nc_u32_e32 v3, 1, v2
	v_subrev_nc_u32_e32 v6, s43, v1
	v_cmp_le_u32_e32 vcc_lo, s43, v1
	s_wait_alu 0xfffd
	s_delay_alu instid0(VALU_DEP_2) | instskip(SKIP_1) | instid1(VALU_DEP_2)
	v_dual_cndmask_b32 v2, v2, v3 :: v_dual_cndmask_b32 v1, v1, v6
	v_xor_b32_e32 v6, s1, v5
	v_add_nc_u32_e32 v3, 1, v2
	s_delay_alu instid0(VALU_DEP_3) | instskip(SKIP_1) | instid1(VALU_DEP_2)
	v_cmp_le_u32_e32 vcc_lo, s43, v1
	s_wait_alu 0xfffd
	v_cndmask_b32_e32 v1, v2, v3, vcc_lo
	s_and_not1_b32 vcc_lo, exec_lo, s39
	s_delay_alu instid0(VALU_DEP_1) | instskip(NEXT) | instid1(VALU_DEP_1)
	v_xor_b32_e32 v1, v1, v6
	v_sub_nc_u32_e32 v6, v1, v6
                                        ; implicit-def: $vgpr1_vgpr2
	s_delay_alu instid0(VALU_DEP_1) | instskip(NEXT) | instid1(VALU_DEP_1)
	v_mul_lo_u32 v7, v6, s7
	v_sub_nc_u32_e32 v18, v4, v7
	s_delay_alu instid0(VALU_DEP_1)
	v_ashrrev_i32_e32 v19, 31, v18
	s_wait_alu 0xfffe
	s_cbranch_vccnz .LBB22_5
; %bb.4:                                ;   in Loop: Header=BB22_3 Depth=1
	v_mad_co_i64_i32 v[1:2], null, v6, s44, 0
	s_mov_b32 s0, 0
.LBB22_5:                               ;   in Loop: Header=BB22_3 Depth=1
	v_mov_b32_e32 v3, 0
	s_wait_alu 0xfffe
	s_and_not1_b32 vcc_lo, exec_lo, s0
	s_wait_alu 0xfffe
	s_cbranch_vccnz .LBB22_16
; %bb.6:                                ;   in Loop: Header=BB22_3 Depth=1
	v_mad_co_i64_i32 v[1:2], null, v6, s44, 0
	v_ashrrev_i32_e32 v3, 31, v7
	v_mul_lo_u32 v8, v17, s12
	s_mov_b32 s48, 0
	s_mov_b32 s28, s15
	s_delay_alu instid0(VALU_DEP_3) | instskip(SKIP_1) | instid1(VALU_DEP_4)
	v_add_co_u32 v4, vcc_lo, v1, v4
	s_wait_alu 0xfffd
	v_add_co_ci_u32_e64 v5, null, v2, v5, vcc_lo
	s_delay_alu instid0(VALU_DEP_3) | instskip(NEXT) | instid1(VALU_DEP_3)
	v_subrev_nc_u32_e32 v8, s16, v8
	v_sub_co_u32 v4, vcc_lo, v4, v7
	s_wait_alu 0xfffd
	s_delay_alu instid0(VALU_DEP_3) | instskip(SKIP_1) | instid1(VALU_DEP_3)
	v_sub_co_ci_u32_e64 v3, null, v5, v3, vcc_lo
	v_mad_co_i64_i32 v[6:7], null, v6, s8, s[20:21]
	v_mul_lo_u32 v9, s27, v4
	s_delay_alu instid0(VALU_DEP_3) | instskip(SKIP_1) | instid1(VALU_DEP_1)
	v_mul_lo_u32 v3, s26, v3
	v_mad_co_u64_u32 v[4:5], null, s26, v4, s[22:23]
	v_add3_u32 v5, v9, v5, v3
	v_mov_b32_e32 v3, 0
	s_branch .LBB22_8
.LBB22_7:                               ;   in Loop: Header=BB22_8 Depth=2
	s_delay_alu instid0(VALU_DEP_3)
	v_add_co_u32 v4, vcc_lo, v4, s24
	s_wait_alu 0xfffd
	v_add_co_ci_u32_e64 v5, null, s25, v5, vcc_lo
	s_add_co_i32 s48, s48, 1
	s_add_co_i32 s28, s28, s13
	s_wait_alu 0xfffe
	s_cmp_eq_u32 s48, s17
	s_cbranch_scc1 .LBB22_16
.LBB22_8:                               ;   Parent Loop BB22_3 Depth=1
                                        ; =>  This Loop Header: Depth=2
                                        ;       Child Loop BB22_11 Depth 3
                                        ;         Child Loop BB22_14 Depth 4
	s_and_not1_b32 vcc_lo, exec_lo, s40
	s_wait_alu 0xfffe
	s_cbranch_vccnz .LBB22_7
; %bb.9:                                ;   in Loop: Header=BB22_8 Depth=2
	s_mul_i32 s0, s48, s13
	v_dual_mov_b32 v10, v5 :: v_dual_mov_b32 v9, v4
	s_wait_alu 0xfffe
	s_add_co_i32 s0, s0, s15
	v_mov_b32_e32 v20, v8
	s_wait_alu 0xfffe
	s_cmp_lt_i32 s0, 0
	s_add_nc_u64 s[36:37], s[10:11], s[28:29]
	s_cselect_b32 s50, -1, 0
	s_cmp_ge_i32 s0, s30
	s_wait_alu 0xfffe
	s_mul_u64 s[36:37], s[34:35], s[36:37]
	s_cselect_b32 s0, -1, 0
	s_mov_b32 s49, 0
	s_wait_alu 0xfffe
	s_or_b32 s50, s50, s0
	s_branch .LBB22_11
.LBB22_10:                              ;   in Loop: Header=BB22_11 Depth=3
	v_add_co_u32 v9, vcc_lo, v9, s8
	v_add_nc_u32_e32 v20, s14, v20
	s_wait_alu 0xfffd
	v_add_co_ci_u32_e64 v10, null, s9, v10, vcc_lo
	s_add_co_i32 s49, s49, 1
	s_wait_alu 0xfffe
	s_cmp_eq_u32 s49, s18
	s_cbranch_scc1 .LBB22_7
.LBB22_11:                              ;   Parent Loop BB22_3 Depth=1
                                        ;     Parent Loop BB22_8 Depth=2
                                        ; =>    This Loop Header: Depth=3
                                        ;         Child Loop BB22_14 Depth 4
	s_and_not1_b32 vcc_lo, exec_lo, s41
	s_wait_alu 0xfffe
	s_cbranch_vccnz .LBB22_10
; %bb.12:                               ;   in Loop: Header=BB22_11 Depth=3
	v_add_co_u32 v11, s0, s36, v20
	s_wait_alu 0xf1ff
	v_add_co_ci_u32_e64 v12, null, s37, 0, s0
	v_mad_co_u64_u32 v[13:14], null, s49, s14, v[8:9]
	s_delay_alu instid0(VALU_DEP_3) | instskip(NEXT) | instid1(VALU_DEP_3)
	v_mul_lo_u32 v21, s38, v11
	v_mul_lo_u32 v14, s33, v12
	v_mad_co_u64_u32 v[11:12], null, s33, v11, v[6:7]
	s_mov_b32 s51, s8
	v_cmp_gt_i32_e32 vcc_lo, 0, v13
	v_cmp_le_i32_e64 s0, s34, v13
	v_add3_u32 v12, v21, v12, v14
	v_dual_mov_b32 v14, v10 :: v_dual_mov_b32 v13, v9
	s_or_b32 s0, vcc_lo, s0
	s_wait_alu 0xfffe
	s_nor_b32 s0, s50, s0
	s_branch .LBB22_14
.LBB22_13:                              ;   in Loop: Header=BB22_14 Depth=4
	s_or_b32 exec_lo, exec_lo, s52
	v_add_co_u32 v11, vcc_lo, v11, 1
	s_wait_alu 0xfffd
	v_add_co_ci_u32_e64 v12, null, 0, v12, vcc_lo
	v_add_co_u32 v13, vcc_lo, v13, 1
	s_wait_alu 0xfffd
	v_add_co_ci_u32_e64 v14, null, 0, v14, vcc_lo
	s_add_co_i32 s51, s51, -1
	s_delay_alu instid0(SALU_CYCLE_1)
	s_cmp_eq_u32 s51, 0
	s_cbranch_scc1 .LBB22_10
.LBB22_14:                              ;   Parent Loop BB22_3 Depth=1
                                        ;     Parent Loop BB22_8 Depth=2
                                        ;       Parent Loop BB22_11 Depth=3
                                        ; =>      This Inner Loop Header: Depth=4
	s_wait_alu 0xfffe
	s_and_saveexec_b32 s52, s0
	s_cbranch_execz .LBB22_13
; %bb.15:                               ;   in Loop: Header=BB22_14 Depth=4
	global_load_u8 v21, v[11:12], off
	global_load_u8 v22, v[13:14], off
	s_wait_loadcnt 0x0
	v_mad_u32_u24 v3, v22, v21, v3
	s_branch .LBB22_13
.LBB22_16:                              ;   in Loop: Header=BB22_3 Depth=1
	v_add_co_u32 v1, vcc_lo, s4, v1
	s_wait_alu 0xfffd
	v_add_co_ci_u32_e64 v2, null, s5, v2, vcc_lo
	s_delay_alu instid0(VALU_DEP_1) | instskip(NEXT) | instid1(VALU_DEP_1)
	v_mad_co_i64_i32 v[1:2], null, v17, s2, v[1:2]
	v_add_co_u32 v1, vcc_lo, v1, v18
	s_wait_alu 0xfffd
	s_delay_alu instid0(VALU_DEP_2)
	v_add_co_ci_u32_e64 v2, null, v2, v19, vcc_lo
	s_and_not1_b32 vcc_lo, exec_lo, s19
	s_wait_alu 0xfffe
	s_cbranch_vccnz .LBB22_2
; %bb.17:                               ;   in Loop: Header=BB22_3 Depth=1
	global_load_u8 v4, v[1:2], off
	v_mul_lo_u32 v3, v3, v15
	s_wait_loadcnt 0x0
	s_delay_alu instid0(VALU_DEP_1)
	v_mad_co_u64_u32 v[3:4], null, v4, v16, v[3:4]
	s_branch .LBB22_2
.LBB22_18:
	s_endpgm
	.section	.rodata,"a",@progbits
	.p2align	6, 0x0
	.amdhsa_kernel naive_conv_ab_packed_fwd_nhwc_int8_t_int32_t_int8_t_0
		.amdhsa_group_segment_fixed_size 0
		.amdhsa_private_segment_fixed_size 0
		.amdhsa_kernarg_size 480
		.amdhsa_user_sgpr_count 2
		.amdhsa_user_sgpr_dispatch_ptr 0
		.amdhsa_user_sgpr_queue_ptr 0
		.amdhsa_user_sgpr_kernarg_segment_ptr 1
		.amdhsa_user_sgpr_dispatch_id 0
		.amdhsa_user_sgpr_private_segment_size 0
		.amdhsa_wavefront_size32 1
		.amdhsa_uses_dynamic_stack 0
		.amdhsa_enable_private_segment 0
		.amdhsa_system_sgpr_workgroup_id_x 1
		.amdhsa_system_sgpr_workgroup_id_y 0
		.amdhsa_system_sgpr_workgroup_id_z 0
		.amdhsa_system_sgpr_workgroup_info 0
		.amdhsa_system_vgpr_workitem_id 0
		.amdhsa_next_free_vgpr 23
		.amdhsa_next_free_sgpr 53
		.amdhsa_reserve_vcc 1
		.amdhsa_float_round_mode_32 0
		.amdhsa_float_round_mode_16_64 0
		.amdhsa_float_denorm_mode_32 3
		.amdhsa_float_denorm_mode_16_64 3
		.amdhsa_fp16_overflow 0
		.amdhsa_workgroup_processor_mode 1
		.amdhsa_memory_ordered 1
		.amdhsa_forward_progress 1
		.amdhsa_inst_pref_size 13
		.amdhsa_round_robin_scheduling 0
		.amdhsa_exception_fp_ieee_invalid_op 0
		.amdhsa_exception_fp_denorm_src 0
		.amdhsa_exception_fp_ieee_div_zero 0
		.amdhsa_exception_fp_ieee_overflow 0
		.amdhsa_exception_fp_ieee_underflow 0
		.amdhsa_exception_fp_ieee_inexact 0
		.amdhsa_exception_int_div_zero 0
	.end_amdhsa_kernel
	.text
.Lfunc_end22:
	.size	naive_conv_ab_packed_fwd_nhwc_int8_t_int32_t_int8_t_0, .Lfunc_end22-naive_conv_ab_packed_fwd_nhwc_int8_t_int32_t_int8_t_0
                                        ; -- End function
	.set naive_conv_ab_packed_fwd_nhwc_int8_t_int32_t_int8_t_0.num_vgpr, 23
	.set naive_conv_ab_packed_fwd_nhwc_int8_t_int32_t_int8_t_0.num_agpr, 0
	.set naive_conv_ab_packed_fwd_nhwc_int8_t_int32_t_int8_t_0.numbered_sgpr, 53
	.set naive_conv_ab_packed_fwd_nhwc_int8_t_int32_t_int8_t_0.num_named_barrier, 0
	.set naive_conv_ab_packed_fwd_nhwc_int8_t_int32_t_int8_t_0.private_seg_size, 0
	.set naive_conv_ab_packed_fwd_nhwc_int8_t_int32_t_int8_t_0.uses_vcc, 1
	.set naive_conv_ab_packed_fwd_nhwc_int8_t_int32_t_int8_t_0.uses_flat_scratch, 0
	.set naive_conv_ab_packed_fwd_nhwc_int8_t_int32_t_int8_t_0.has_dyn_sized_stack, 0
	.set naive_conv_ab_packed_fwd_nhwc_int8_t_int32_t_int8_t_0.has_recursion, 0
	.set naive_conv_ab_packed_fwd_nhwc_int8_t_int32_t_int8_t_0.has_indirect_call, 0
	.section	.AMDGPU.csdata,"",@progbits
; Kernel info:
; codeLenInByte = 1624
; TotalNumSgprs: 55
; NumVgprs: 23
; ScratchSize: 0
; MemoryBound: 0
; FloatMode: 240
; IeeeMode: 1
; LDSByteSize: 0 bytes/workgroup (compile time only)
; SGPRBlocks: 0
; VGPRBlocks: 2
; NumSGPRsForWavesPerEU: 55
; NumVGPRsForWavesPerEU: 23
; Occupancy: 16
; WaveLimiterHint : 0
; COMPUTE_PGM_RSRC2:SCRATCH_EN: 0
; COMPUTE_PGM_RSRC2:USER_SGPR: 2
; COMPUTE_PGM_RSRC2:TRAP_HANDLER: 0
; COMPUTE_PGM_RSRC2:TGID_X_EN: 1
; COMPUTE_PGM_RSRC2:TGID_Y_EN: 0
; COMPUTE_PGM_RSRC2:TGID_Z_EN: 0
; COMPUTE_PGM_RSRC2:TIDIG_COMP_CNT: 0
	.text
	.protected	naive_conv_ab_nonpacked_fwd_nhwc_int8_t_int32_t_int8_t_0 ; -- Begin function naive_conv_ab_nonpacked_fwd_nhwc_int8_t_int32_t_int8_t_0
	.globl	naive_conv_ab_nonpacked_fwd_nhwc_int8_t_int32_t_int8_t_0
	.p2align	8
	.type	naive_conv_ab_nonpacked_fwd_nhwc_int8_t_int32_t_int8_t_0,@function
naive_conv_ab_nonpacked_fwd_nhwc_int8_t_int32_t_int8_t_0: ; @naive_conv_ab_nonpacked_fwd_nhwc_int8_t_int32_t_int8_t_0
; %bb.0:
	s_load_b512 s[4:19], s[0:1], 0xa0
	s_abs_i32 s21, ttmp9
	s_wait_kmcnt 0x0
	s_abs_i32 s2, s9
	s_delay_alu instid0(SALU_CYCLE_1) | instskip(SKIP_1) | instid1(SALU_CYCLE_2)
	s_cvt_f32_u32 s3, s2
	s_sub_co_i32 s20, 0, s2
	v_rcp_iflag_f32_e32 v1, s3
	s_delay_alu instid0(TRANS32_DEP_1) | instskip(SKIP_2) | instid1(SALU_CYCLE_2)
	v_readfirstlane_b32 s3, v1
	s_mul_f32 s3, s3, 0x4f7ffffe
	s_wait_alu 0xfffe
	s_cvt_u32_f32 s3, s3
	s_wait_alu 0xfffe
	s_delay_alu instid0(SALU_CYCLE_2) | instskip(NEXT) | instid1(SALU_CYCLE_1)
	s_mul_i32 s20, s20, s3
	s_mul_hi_u32 s20, s3, s20
	s_delay_alu instid0(SALU_CYCLE_1) | instskip(SKIP_4) | instid1(SALU_CYCLE_1)
	s_add_co_i32 s3, s3, s20
	s_wait_alu 0xfffe
	s_mul_hi_u32 s3, s21, s3
	s_wait_alu 0xfffe
	s_mul_i32 s20, s3, s2
	s_sub_co_i32 s20, s21, s20
	s_add_co_i32 s21, s3, 1
	s_sub_co_i32 s22, s20, s2
	s_cmp_ge_u32 s20, s2
	s_cselect_b32 s3, s21, s3
	s_cselect_b32 s20, s22, s20
	s_wait_alu 0xfffe
	s_add_co_i32 s21, s3, 1
	s_cmp_ge_u32 s20, s2
	s_mov_b32 s20, exec_lo
	s_cselect_b32 s2, s21, s3
	s_abs_i32 s28, s6
	s_mul_i32 s6, s19, s7
	s_cvt_f32_u32 s3, s28
	s_mul_i32 s19, s6, s10
	s_wait_alu 0xfffe
	s_delay_alu instid0(SALU_CYCLE_1) | instskip(SKIP_1) | instid1(TRANS32_DEP_1)
	v_rcp_iflag_f32_e32 v1, s3
	s_mov_b32 s3, 0
	v_readfirstlane_b32 s10, v1
	v_cmpx_gt_i32_e64 s19, v0
	s_cbranch_execz .LBB23_18
; %bb.1:
	s_mul_f32 s10, s10, 0x4f7ffffe
	s_xor_b32 s20, ttmp9, s9
	s_sub_co_i32 s21, 0, s28
	s_ashr_i32 s20, s20, 31
	s_cvt_u32_f32 s10, s10
	s_xor_b32 s2, s2, s20
	s_wait_alu 0xfffe
	s_mov_b32 s31, s3
	s_sub_co_i32 s29, s2, s20
	s_mul_i32 s21, s21, s10
	s_abs_i32 s2, s29
	s_mul_hi_u32 s20, s10, s21
	s_clause 0x1
	s_load_b64 s[60:61], s[0:1], 0x98
	s_load_b128 s[52:55], s[0:1], 0x88
	s_add_co_i32 s30, s10, s20
	s_load_b256 s[20:27], s[0:1], 0x0
	s_mul_u64 s[30:31], s[2:3], s[30:31]
	s_ashr_i32 s10, s29, 31
	s_mul_i32 s30, s31, s28
	s_mul_i32 s29, s29, s9
	s_sub_co_i32 s2, s2, s30
	s_sub_co_i32 s58, ttmp9, s29
	s_wait_alu 0xfffe
	s_sub_co_i32 s9, s2, s28
	s_cmp_ge_u32 s2, s28
	s_load_b64 s[34:35], s[0:1], 0x20
	s_cselect_b32 s2, s9, s2
	s_load_b512 s[36:51], s[0:1], 0x28
	s_sub_co_i32 s9, s2, s28
	s_cmp_ge_u32 s2, s28
	s_load_b32 s64, s[0:1], 0xec
	s_cselect_b32 s2, s9, s2
	s_ashr_i32 s59, s58, 31
	s_wait_alu 0xfffe
	s_xor_b32 s2, s2, s10
	s_mul_i32 s9, s58, s11
	s_wait_alu 0xfffe
	s_sub_co_i32 s62, s2, s10
	s_wait_kmcnt 0x0
	v_cmp_neq_f64_e64 s65, s[24:25], 1.0
	s_ashr_i32 s63, s62, 31
	s_cmp_lt_i32 s17, 1
	v_cmp_neq_f64_e64 s66, s[26:27], 0
	s_cselect_b32 s2, -1, 0
	s_sub_co_i32 s9, s9, s15
	s_cmp_gt_i32 s18, 0
	v_cvt_i32_f64_e32 v15, s[24:25]
	v_cvt_i32_f64_e32 v16, s[26:27]
	s_cselect_b32 s15, -1, 0
	s_cmp_gt_i32 s8, 0
	s_load_b256 s[24:31], s[0:1], 0x68
	s_cselect_b32 s33, -1, 0
	s_abs_i32 s56, s6
	s_abs_i32 s57, s7
	s_cvt_f32_u32 s10, s56
	s_cvt_f32_u32 s11, s57
	s_mul_u64 s[0:1], s[54:55], s[58:59]
	s_mul_u64 s[58:59], s[44:45], s[62:63]
	v_rcp_iflag_f32_e32 v1, s10
	v_rcp_iflag_f32_e32 v2, s11
	s_mul_u64 s[10:11], s[60:61], s[62:63]
	s_sub_co_i32 s45, 0, s56
	s_wait_alu 0xfffe
	s_add_nc_u64 s[10:11], s[34:35], s[10:11]
	s_sub_co_i32 s55, 0, s57
	s_wait_alu 0xfffe
	s_add_nc_u64 s[10:11], s[10:11], s[0:1]
	s_and_b32 s1, s64, 0xffff
	s_ashr_i32 s34, s6, 31
	s_ashr_i32 s35, s7, 31
	v_readfirstlane_b32 s0, v1
	v_readfirstlane_b32 s44, v2
	s_add_nc_u64 s[20:21], s[20:21], s[58:59]
	s_mul_f32 s0, s0, 0x4f7ffffe
	s_mul_f32 s44, s44, 0x4f7ffffe
	s_delay_alu instid0(SALU_CYCLE_2) | instskip(NEXT) | instid1(SALU_CYCLE_2)
	s_cvt_u32_f32 s0, s0
	s_cvt_u32_f32 s54, s44
	s_or_b32 s44, s65, s66
	s_delay_alu instid0(SALU_CYCLE_1) | instskip(NEXT) | instid1(SALU_CYCLE_1)
	s_mul_i32 s45, s45, s0
	s_mul_i32 s55, s55, s54
	s_mul_hi_u32 s45, s0, s45
	s_mul_hi_u32 s55, s54, s55
	s_add_co_i32 s45, s0, s45
	s_add_co_i32 s54, s54, s55
	s_branch .LBB23_3
.LBB23_2:                               ;   in Loop: Header=BB23_3 Depth=1
	v_add_nc_u32_e32 v0, s1, v0
	global_store_b8 v[3:4], v1, off
	v_cmp_le_i32_e32 vcc_lo, s19, v0
	s_or_b32 s3, vcc_lo, s3
	s_wait_alu 0xfffe
	s_and_not1_b32 exec_lo, exec_lo, s3
	s_cbranch_execz .LBB23_18
.LBB23_3:                               ; =>This Loop Header: Depth=1
                                        ;     Child Loop BB23_8 Depth 2
                                        ;       Child Loop BB23_11 Depth 3
                                        ;         Child Loop BB23_14 Depth 4
	v_sub_nc_u32_e32 v1, 0, v0
	s_mov_b32 s0, -1
	s_delay_alu instid0(VALU_DEP_1) | instskip(NEXT) | instid1(VALU_DEP_1)
	v_max_i32_e32 v1, v0, v1
	v_mul_hi_u32 v2, v1, s45
	s_delay_alu instid0(VALU_DEP_1) | instskip(NEXT) | instid1(VALU_DEP_1)
	v_mul_lo_u32 v3, v2, s56
	v_sub_nc_u32_e32 v1, v1, v3
	v_add_nc_u32_e32 v3, 1, v2
	s_delay_alu instid0(VALU_DEP_2) | instskip(SKIP_2) | instid1(VALU_DEP_2)
	v_subrev_nc_u32_e32 v4, s56, v1
	v_cmp_le_u32_e32 vcc_lo, s56, v1
	s_wait_alu 0xfffd
	v_dual_cndmask_b32 v2, v2, v3 :: v_dual_cndmask_b32 v1, v1, v4
	v_ashrrev_i32_e32 v3, 31, v0
	s_delay_alu instid0(VALU_DEP_2) | instskip(NEXT) | instid1(VALU_DEP_3)
	v_add_nc_u32_e32 v4, 1, v2
	v_cmp_le_u32_e32 vcc_lo, s56, v1
	s_delay_alu instid0(VALU_DEP_3) | instskip(SKIP_1) | instid1(VALU_DEP_3)
	v_xor_b32_e32 v3, s34, v3
	s_wait_alu 0xfffd
	v_cndmask_b32_e32 v1, v2, v4, vcc_lo
	s_delay_alu instid0(VALU_DEP_1) | instskip(NEXT) | instid1(VALU_DEP_1)
	v_xor_b32_e32 v1, v1, v3
	v_sub_nc_u32_e32 v17, v1, v3
	s_delay_alu instid0(VALU_DEP_1) | instskip(NEXT) | instid1(VALU_DEP_1)
	v_mul_lo_u32 v1, v17, s6
	v_sub_nc_u32_e32 v2, v0, v1
	s_delay_alu instid0(VALU_DEP_1) | instskip(NEXT) | instid1(VALU_DEP_1)
	v_sub_nc_u32_e32 v1, 0, v2
	v_max_i32_e32 v1, v2, v1
	s_delay_alu instid0(VALU_DEP_1) | instskip(NEXT) | instid1(VALU_DEP_1)
	v_mul_hi_u32 v3, v1, s54
	v_mul_lo_u32 v4, v3, s57
	s_delay_alu instid0(VALU_DEP_1) | instskip(SKIP_1) | instid1(VALU_DEP_2)
	v_sub_nc_u32_e32 v1, v1, v4
	v_add_nc_u32_e32 v4, 1, v3
	v_subrev_nc_u32_e32 v5, s57, v1
	v_cmp_le_u32_e32 vcc_lo, s57, v1
	s_wait_alu 0xfffd
	s_delay_alu instid0(VALU_DEP_2) | instskip(SKIP_1) | instid1(VALU_DEP_2)
	v_dual_cndmask_b32 v4, v3, v4 :: v_dual_cndmask_b32 v1, v1, v5
	v_ashrrev_i32_e32 v3, 31, v2
	v_add_nc_u32_e32 v5, 1, v4
	s_delay_alu instid0(VALU_DEP_3) | instskip(NEXT) | instid1(VALU_DEP_3)
	v_cmp_le_u32_e32 vcc_lo, s57, v1
	v_xor_b32_e32 v6, s35, v3
	s_wait_alu 0xfffd
	s_delay_alu instid0(VALU_DEP_3) | instskip(SKIP_1) | instid1(VALU_DEP_1)
	v_cndmask_b32_e32 v1, v4, v5, vcc_lo
	s_and_not1_b32 vcc_lo, exec_lo, s2
	v_xor_b32_e32 v1, v1, v6
	s_delay_alu instid0(VALU_DEP_1) | instskip(NEXT) | instid1(VALU_DEP_1)
	v_sub_nc_u32_e32 v20, v1, v6
	v_mul_lo_u32 v4, v20, s7
	v_ashrrev_i32_e32 v21, 31, v20
	s_delay_alu instid0(VALU_DEP_2) | instskip(NEXT) | instid1(VALU_DEP_1)
	v_sub_nc_u32_e32 v18, v2, v4
	v_ashrrev_i32_e32 v19, 31, v18
	s_wait_alu 0xfffe
	s_cbranch_vccnz .LBB23_5
; %bb.4:                                ;   in Loop: Header=BB23_3 Depth=1
	s_mov_b32 s0, 0
.LBB23_5:                               ;   in Loop: Header=BB23_3 Depth=1
	v_mov_b32_e32 v1, 0
	s_wait_alu 0xfffe
	s_and_not1_b32 vcc_lo, exec_lo, s0
	s_wait_alu 0xfffe
	s_cbranch_vccnz .LBB23_16
; %bb.6:                                ;   in Loop: Header=BB23_3 Depth=1
	s_wait_kmcnt 0x0
	v_mul_lo_u32 v1, s27, v20
	v_mul_lo_u32 v7, s26, v21
	v_mad_co_u64_u32 v[5:6], null, s26, v20, 0
	v_ashrrev_i32_e32 v8, 31, v4
	v_sub_co_u32 v2, vcc_lo, v2, v4
	v_mul_lo_u32 v9, s39, v20
	v_mul_lo_u32 v10, s38, v21
	s_wait_alu 0xfffd
	v_sub_co_ci_u32_e64 v3, null, v3, v8, vcc_lo
	v_add3_u32 v6, v6, v7, v1
	v_mul_lo_u32 v1, v17, s12
	v_mul_lo_u32 v8, s25, v2
	s_delay_alu instid0(VALU_DEP_4)
	v_mul_lo_u32 v7, s24, v3
	s_mov_b32 s55, 0
	v_mad_co_u64_u32 v[5:6], null, s24, v2, v[5:6]
	v_mad_co_u64_u32 v[2:3], null, s38, v20, s[20:21]
	v_subrev_nc_u32_e32 v4, s16, v1
	s_mov_b32 s58, s9
	s_delay_alu instid0(VALU_DEP_3) | instskip(NEXT) | instid1(VALU_DEP_4)
	v_add3_u32 v1, v8, v6, v7
	v_add_co_u32 v5, vcc_lo, s22, v5
	s_delay_alu instid0(VALU_DEP_4) | instskip(SKIP_1) | instid1(VALU_DEP_3)
	v_add3_u32 v3, v9, v3, v10
	s_wait_alu 0xfffd
	v_add_co_ci_u32_e64 v6, null, s23, v1, vcc_lo
	v_mov_b32_e32 v1, 0
	s_branch .LBB23_8
.LBB23_7:                               ;   in Loop: Header=BB23_8 Depth=2
	v_add_co_u32 v5, vcc_lo, v5, s50
	s_wait_alu 0xfffd
	v_add_co_ci_u32_e64 v6, null, s51, v6, vcc_lo
	s_add_co_i32 s55, s55, 1
	s_add_co_i32 s58, s58, s13
	s_wait_alu 0xfffe
	s_cmp_eq_u32 s55, s17
	s_cbranch_scc1 .LBB23_16
.LBB23_8:                               ;   Parent Loop BB23_3 Depth=1
                                        ; =>  This Loop Header: Depth=2
                                        ;       Child Loop BB23_11 Depth 3
                                        ;         Child Loop BB23_14 Depth 4
	s_and_not1_b32 vcc_lo, exec_lo, s15
	s_wait_alu 0xfffe
	s_cbranch_vccnz .LBB23_7
; %bb.9:                                ;   in Loop: Header=BB23_8 Depth=2
	v_mad_co_u64_u32 v[7:8], null, s42, s58, v[2:3]
	s_mul_i32 s0, s55, s13
	v_mov_b32_e32 v22, v4
	s_wait_alu 0xfffe
	s_add_co_i32 s0, s0, s9
	s_mov_b32 s59, 0
	s_wait_alu 0xfffe
	s_cmp_lt_i32 s0, 0
	s_cselect_b32 s60, -1, 0
	v_mad_co_u64_u32 v[8:9], null, s43, s58, v[8:9]
	s_cmp_ge_i32 s0, s4
	v_dual_mov_b32 v10, v6 :: v_dual_mov_b32 v9, v5
	s_cselect_b32 s0, -1, 0
	s_wait_alu 0xfffe
	s_or_b32 s60, s60, s0
	s_branch .LBB23_11
.LBB23_10:                              ;   in Loop: Header=BB23_11 Depth=3
	v_add_co_u32 v9, vcc_lo, v9, s48
	s_wait_alu 0xfffd
	v_add_co_ci_u32_e64 v10, null, s49, v10, vcc_lo
	v_add_nc_u32_e32 v22, s14, v22
	s_add_co_i32 s59, s59, 1
	s_wait_alu 0xfffe
	s_cmp_eq_u32 s59, s18
	s_cbranch_scc1 .LBB23_7
.LBB23_11:                              ;   Parent Loop BB23_3 Depth=1
                                        ;     Parent Loop BB23_8 Depth=2
                                        ; =>    This Loop Header: Depth=3
                                        ;         Child Loop BB23_14 Depth 4
	s_and_not1_b32 vcc_lo, exec_lo, s33
	s_wait_alu 0xfffe
	s_cbranch_vccnz .LBB23_10
; %bb.12:                               ;   in Loop: Header=BB23_11 Depth=3
	v_mad_co_u64_u32 v[11:12], null, s40, v22, v[7:8]
	v_mad_co_u64_u32 v[13:14], null, s59, s14, v[4:5]
	s_mov_b32 s61, s8
	v_mad_co_u64_u32 v[23:24], null, s41, v22, v[12:13]
	v_cmp_gt_i32_e32 vcc_lo, 0, v13
	v_cmp_le_i32_e64 s0, s5, v13
	v_dual_mov_b32 v14, v10 :: v_dual_mov_b32 v13, v9
	s_delay_alu instid0(VALU_DEP_4)
	v_mov_b32_e32 v12, v23
	s_or_b32 s0, vcc_lo, s0
	s_wait_alu 0xfffe
	s_nor_b32 s0, s60, s0
	s_branch .LBB23_14
.LBB23_13:                              ;   in Loop: Header=BB23_14 Depth=4
	s_or_b32 exec_lo, exec_lo, s62
	v_add_co_u32 v13, vcc_lo, v13, s46
	s_wait_alu 0xfffd
	v_add_co_ci_u32_e64 v14, null, s47, v14, vcc_lo
	v_add_co_u32 v11, vcc_lo, v11, s36
	s_wait_alu 0xfffd
	v_add_co_ci_u32_e64 v12, null, s37, v12, vcc_lo
	s_add_co_i32 s61, s61, -1
	s_delay_alu instid0(SALU_CYCLE_1)
	s_cmp_eq_u32 s61, 0
	s_cbranch_scc1 .LBB23_10
.LBB23_14:                              ;   Parent Loop BB23_3 Depth=1
                                        ;     Parent Loop BB23_8 Depth=2
                                        ;       Parent Loop BB23_11 Depth=3
                                        ; =>      This Inner Loop Header: Depth=4
	s_wait_alu 0xfffe
	s_and_saveexec_b32 s62, s0
	s_cbranch_execz .LBB23_13
; %bb.15:                               ;   in Loop: Header=BB23_14 Depth=4
	global_load_u8 v23, v[11:12], off
	global_load_u8 v24, v[13:14], off
	s_wait_loadcnt 0x0
	v_mad_u32_u24 v1, v24, v23, v1
	s_branch .LBB23_13
.LBB23_16:                              ;   in Loop: Header=BB23_3 Depth=1
	s_wait_kmcnt 0x0
	v_mad_co_u64_u32 v[2:3], null, v20, s30, s[10:11]
	v_mul_lo_u32 v4, v20, s31
	v_mul_lo_u32 v5, v21, s30
	v_ashrrev_i32_e32 v6, 31, v17
	s_and_not1_b32 vcc_lo, exec_lo, s44
	s_delay_alu instid0(VALU_DEP_2) | instskip(SKIP_1) | instid1(VALU_DEP_3)
	v_add3_u32 v3, v5, v3, v4
	v_mul_lo_u32 v4, s53, v17
	v_mul_lo_u32 v5, s52, v6
	;; [unrolled: 1-line block ×3, first 2 shown]
	s_delay_alu instid0(VALU_DEP_4) | instskip(NEXT) | instid1(VALU_DEP_1)
	v_mad_co_u64_u32 v[2:3], null, s52, v17, v[2:3]
	v_add3_u32 v3, v4, v3, v5
	v_mul_lo_u32 v5, v18, s29
	s_delay_alu instid0(VALU_DEP_2) | instskip(NEXT) | instid1(VALU_DEP_1)
	v_mad_co_u64_u32 v[3:4], null, v18, s28, v[2:3]
	v_add3_u32 v4, v6, v4, v5
	s_wait_alu 0xfffe
	s_cbranch_vccnz .LBB23_2
; %bb.17:                               ;   in Loop: Header=BB23_3 Depth=1
	global_load_u8 v2, v[3:4], off
	v_mul_lo_u32 v1, v1, v15
	s_wait_loadcnt 0x0
	s_delay_alu instid0(VALU_DEP_1)
	v_mad_co_u64_u32 v[1:2], null, v2, v16, v[1:2]
	s_branch .LBB23_2
.LBB23_18:
	s_endpgm
	.section	.rodata,"a",@progbits
	.p2align	6, 0x0
	.amdhsa_kernel naive_conv_ab_nonpacked_fwd_nhwc_int8_t_int32_t_int8_t_0
		.amdhsa_group_segment_fixed_size 0
		.amdhsa_private_segment_fixed_size 0
		.amdhsa_kernarg_size 480
		.amdhsa_user_sgpr_count 2
		.amdhsa_user_sgpr_dispatch_ptr 0
		.amdhsa_user_sgpr_queue_ptr 0
		.amdhsa_user_sgpr_kernarg_segment_ptr 1
		.amdhsa_user_sgpr_dispatch_id 0
		.amdhsa_user_sgpr_private_segment_size 0
		.amdhsa_wavefront_size32 1
		.amdhsa_uses_dynamic_stack 0
		.amdhsa_enable_private_segment 0
		.amdhsa_system_sgpr_workgroup_id_x 1
		.amdhsa_system_sgpr_workgroup_id_y 0
		.amdhsa_system_sgpr_workgroup_id_z 0
		.amdhsa_system_sgpr_workgroup_info 0
		.amdhsa_system_vgpr_workitem_id 0
		.amdhsa_next_free_vgpr 25
		.amdhsa_next_free_sgpr 67
		.amdhsa_reserve_vcc 1
		.amdhsa_float_round_mode_32 0
		.amdhsa_float_round_mode_16_64 0
		.amdhsa_float_denorm_mode_32 3
		.amdhsa_float_denorm_mode_16_64 3
		.amdhsa_fp16_overflow 0
		.amdhsa_workgroup_processor_mode 1
		.amdhsa_memory_ordered 1
		.amdhsa_forward_progress 1
		.amdhsa_inst_pref_size 13
		.amdhsa_round_robin_scheduling 0
		.amdhsa_exception_fp_ieee_invalid_op 0
		.amdhsa_exception_fp_denorm_src 0
		.amdhsa_exception_fp_ieee_div_zero 0
		.amdhsa_exception_fp_ieee_overflow 0
		.amdhsa_exception_fp_ieee_underflow 0
		.amdhsa_exception_fp_ieee_inexact 0
		.amdhsa_exception_int_div_zero 0
	.end_amdhsa_kernel
	.text
.Lfunc_end23:
	.size	naive_conv_ab_nonpacked_fwd_nhwc_int8_t_int32_t_int8_t_0, .Lfunc_end23-naive_conv_ab_nonpacked_fwd_nhwc_int8_t_int32_t_int8_t_0
                                        ; -- End function
	.set naive_conv_ab_nonpacked_fwd_nhwc_int8_t_int32_t_int8_t_0.num_vgpr, 25
	.set naive_conv_ab_nonpacked_fwd_nhwc_int8_t_int32_t_int8_t_0.num_agpr, 0
	.set naive_conv_ab_nonpacked_fwd_nhwc_int8_t_int32_t_int8_t_0.numbered_sgpr, 67
	.set naive_conv_ab_nonpacked_fwd_nhwc_int8_t_int32_t_int8_t_0.num_named_barrier, 0
	.set naive_conv_ab_nonpacked_fwd_nhwc_int8_t_int32_t_int8_t_0.private_seg_size, 0
	.set naive_conv_ab_nonpacked_fwd_nhwc_int8_t_int32_t_int8_t_0.uses_vcc, 1
	.set naive_conv_ab_nonpacked_fwd_nhwc_int8_t_int32_t_int8_t_0.uses_flat_scratch, 0
	.set naive_conv_ab_nonpacked_fwd_nhwc_int8_t_int32_t_int8_t_0.has_dyn_sized_stack, 0
	.set naive_conv_ab_nonpacked_fwd_nhwc_int8_t_int32_t_int8_t_0.has_recursion, 0
	.set naive_conv_ab_nonpacked_fwd_nhwc_int8_t_int32_t_int8_t_0.has_indirect_call, 0
	.section	.AMDGPU.csdata,"",@progbits
; Kernel info:
; codeLenInByte = 1652
; TotalNumSgprs: 69
; NumVgprs: 25
; ScratchSize: 0
; MemoryBound: 0
; FloatMode: 240
; IeeeMode: 1
; LDSByteSize: 0 bytes/workgroup (compile time only)
; SGPRBlocks: 0
; VGPRBlocks: 3
; NumSGPRsForWavesPerEU: 69
; NumVGPRsForWavesPerEU: 25
; Occupancy: 16
; WaveLimiterHint : 0
; COMPUTE_PGM_RSRC2:SCRATCH_EN: 0
; COMPUTE_PGM_RSRC2:USER_SGPR: 2
; COMPUTE_PGM_RSRC2:TRAP_HANDLER: 0
; COMPUTE_PGM_RSRC2:TGID_X_EN: 1
; COMPUTE_PGM_RSRC2:TGID_Y_EN: 0
; COMPUTE_PGM_RSRC2:TGID_Z_EN: 0
; COMPUTE_PGM_RSRC2:TIDIG_COMP_CNT: 0
	.text
	.protected	naive_conv_ab_packed_fwd_nhwc_int8_t_int32_t_int32_t_0 ; -- Begin function naive_conv_ab_packed_fwd_nhwc_int8_t_int32_t_int32_t_0
	.globl	naive_conv_ab_packed_fwd_nhwc_int8_t_int32_t_int32_t_0
	.p2align	8
	.type	naive_conv_ab_packed_fwd_nhwc_int8_t_int32_t_int32_t_0,@function
naive_conv_ab_packed_fwd_nhwc_int8_t_int32_t_int32_t_0: ; @naive_conv_ab_packed_fwd_nhwc_int8_t_int32_t_int32_t_0
; %bb.0:
	s_load_b512 s[4:19], s[0:1], 0xa0
	s_abs_i32 s21, ttmp9
	s_mov_b32 s29, 0
	s_wait_kmcnt 0x0
	s_abs_i32 s2, s9
	s_delay_alu instid0(SALU_CYCLE_1) | instskip(SKIP_1) | instid1(SALU_CYCLE_2)
	s_cvt_f32_u32 s3, s2
	s_sub_co_i32 s20, 0, s2
	v_rcp_iflag_f32_e32 v1, s3
	s_delay_alu instid0(TRANS32_DEP_1) | instskip(SKIP_2) | instid1(SALU_CYCLE_2)
	v_readfirstlane_b32 s3, v1
	s_mul_f32 s3, s3, 0x4f7ffffe
	s_wait_alu 0xfffe
	s_cvt_u32_f32 s3, s3
	s_wait_alu 0xfffe
	s_delay_alu instid0(SALU_CYCLE_2) | instskip(NEXT) | instid1(SALU_CYCLE_1)
	s_mul_i32 s20, s20, s3
	s_mul_hi_u32 s20, s3, s20
	s_delay_alu instid0(SALU_CYCLE_1) | instskip(SKIP_4) | instid1(SALU_CYCLE_1)
	s_add_co_i32 s3, s3, s20
	s_wait_alu 0xfffe
	s_mul_hi_u32 s3, s21, s3
	s_wait_alu 0xfffe
	s_mul_i32 s20, s3, s2
	s_sub_co_i32 s20, s21, s20
	s_add_co_i32 s21, s3, 1
	s_sub_co_i32 s22, s20, s2
	s_cmp_ge_u32 s20, s2
	s_cselect_b32 s3, s21, s3
	s_cselect_b32 s20, s22, s20
	s_wait_alu 0xfffe
	s_add_co_i32 s21, s3, 1
	s_cmp_ge_u32 s20, s2
	s_mov_b32 s22, exec_lo
	s_cselect_b32 s20, s21, s3
	s_abs_i32 s3, s6
	s_wait_alu 0xfffe
	s_cvt_f32_u32 s2, s3
	s_wait_alu 0xfffe
	s_delay_alu instid0(SALU_CYCLE_2) | instskip(SKIP_3) | instid1(TRANS32_DEP_1)
	v_rcp_iflag_f32_e32 v1, s2
	s_mul_i32 s2, s19, s7
	s_wait_alu 0xfffe
	s_mul_i32 s6, s2, s10
	v_readfirstlane_b32 s21, v1
	v_cmpx_gt_i32_e64 s6, v0
	s_cbranch_execz .LBB24_20
; %bb.1:
	s_mul_f32 s21, s21, 0x4f7ffffe
	s_xor_b32 s22, ttmp9, s9
	s_sub_co_i32 s23, 0, s3
	s_ashr_i32 s22, s22, 31
	s_cvt_u32_f32 s21, s21
	s_xor_b32 s20, s20, s22
	s_mov_b32 s31, s29
	s_sub_co_i32 s34, s20, s22
	s_mul_i32 s23, s23, s21
	s_abs_i32 s28, s34
	s_mul_hi_u32 s20, s21, s23
	s_mul_i32 s33, s19, s8
	s_add_co_i32 s30, s21, s20
	s_ashr_i32 s19, s34, 31
	s_mul_u64 s[30:31], s[28:29], s[30:31]
	s_mul_i32 s34, s34, s9
	s_mul_i32 s30, s31, s3
	s_load_b256 s[20:27], s[0:1], 0x0
	s_sub_co_i32 s28, s28, s30
	s_sub_co_i32 s34, ttmp9, s34
	s_sub_co_i32 s31, s28, s3
	s_cmp_ge_u32 s28, s3
	s_clause 0x1
	s_load_b64 s[44:45], s[0:1], 0x20
	s_load_b32 s48, s[0:1], 0xec
	s_cselect_b32 s28, s31, s28
	s_mov_b32 s30, s9
	s_sub_co_i32 s31, s28, s3
	s_cmp_ge_u32 s28, s3
	s_mov_b32 s36, s10
	s_cselect_b32 s0, s31, s28
	s_ashr_i32 s31, s9, 31
	s_xor_b32 s0, s0, s19
	s_ashr_i32 s37, s10, 31
	s_sub_co_i32 s46, s0, s19
	s_ashr_i32 s3, s2, 31
	s_ashr_i32 s47, s46, 31
	;; [unrolled: 1-line block ×3, first 2 shown]
	s_mul_u64 s[0:1], s[46:47], s[30:31]
	s_wait_alu 0xfffe
	s_mul_u64 s[36:37], s[2:3], s[36:37]
	s_add_nc_u64 s[0:1], s[0:1], s[34:35]
	s_wait_kmcnt 0x0
	v_cmp_neq_f64_e64 s28, s[24:25], 1.0
	v_cmp_neq_f64_e64 s49, s[26:27], 0
	s_mul_u64 s[36:37], s[36:37], s[0:1]
	s_ashr_i32 s31, s4, 31
	s_ashr_i32 s35, s5, 31
	;; [unrolled: 1-line block ×3, first 2 shown]
	s_lshl_b64 s[36:37], s[36:37], 2
	s_cmp_lt_i32 s17, 1
	s_mul_i32 s0, s34, s11
	s_cselect_b32 s38, -1, 0
	s_sub_co_i32 s15, s0, s15
	s_cmp_gt_i32 s18, 0
	v_cvt_i32_f64_e32 v16, s[24:25]
	v_cvt_i32_f64_e32 v17, s[26:27]
	s_cselect_b32 s39, -1, 0
	s_cmp_gt_i32 s8, 0
	s_add_nc_u64 s[10:11], s[44:45], s[36:37]
	s_cselect_b32 s40, -1, 0
	s_abs_i32 s41, s2
	s_abs_i32 s42, s7
	s_cvt_f32_u32 s0, s41
	s_cvt_f32_u32 s9, s42
	s_sub_co_i32 s37, 0, s42
	s_ashr_i32 s19, s18, 31
	v_rcp_iflag_f32_e32 v1, s0
	v_rcp_iflag_f32_e32 v2, s9
	s_ashr_i32 s9, s8, 31
	s_mov_b32 s30, s4
	s_mov_b32 s26, s17
	s_ashr_i32 s27, s17, 31
	s_mov_b32 s34, s5
	s_mov_b32 s43, s7
	s_mul_u64 s[4:5], s[30:31], s[46:47]
	s_ashr_i32 s31, s7, 31
	v_readfirstlane_b32 s0, v1
	v_readfirstlane_b32 s24, v2
	s_and_b32 s44, s48, 0xffff
	s_mov_b32 s47, 0
	s_mul_f32 s0, s0, 0x4f7ffffe
	s_mul_f32 s24, s24, 0x4f7ffffe
	s_or_b32 s45, s28, s49
	s_sub_co_i32 s28, 0, s41
	s_wait_alu 0xfffe
	s_cvt_u32_f32 s0, s0
	s_cvt_u32_f32 s36, s24
	s_mul_u64 s[24:25], s[18:19], s[8:9]
	s_wait_alu 0xfffe
	s_mul_i32 s28, s28, s0
	s_mul_i32 s37, s37, s36
	s_mul_hi_u32 s19, s0, s28
	s_mul_hi_u32 s28, s36, s37
	s_add_co_i32 s19, s0, s19
	s_add_co_i32 s46, s36, s28
	s_mul_u64 s[26:27], s[24:25], s[26:27]
	s_branch .LBB24_3
.LBB24_2:                               ;   in Loop: Header=BB24_3 Depth=1
	v_add_nc_u32_e32 v0, s44, v0
	s_delay_alu instid0(VALU_DEP_1)
	v_cmp_le_i32_e32 vcc_lo, s6, v0
	s_or_b32 s47, vcc_lo, s47
	s_wait_alu 0xfffe
	s_and_not1_b32 exec_lo, exec_lo, s47
	s_cbranch_execz .LBB24_20
.LBB24_3:                               ; =>This Loop Header: Depth=1
                                        ;     Child Loop BB24_8 Depth 2
                                        ;       Child Loop BB24_11 Depth 3
                                        ;         Child Loop BB24_14 Depth 4
	v_sub_nc_u32_e32 v1, 0, v0
	s_mov_b32 s0, -1
	s_delay_alu instid0(VALU_DEP_1) | instskip(NEXT) | instid1(VALU_DEP_1)
	v_max_i32_e32 v1, v0, v1
	v_mul_hi_u32 v2, v1, s19
	s_delay_alu instid0(VALU_DEP_1) | instskip(NEXT) | instid1(VALU_DEP_1)
	v_mul_lo_u32 v3, v2, s41
	v_sub_nc_u32_e32 v1, v1, v3
	v_add_nc_u32_e32 v3, 1, v2
	s_delay_alu instid0(VALU_DEP_2) | instskip(SKIP_2) | instid1(VALU_DEP_2)
	v_subrev_nc_u32_e32 v4, s41, v1
	v_cmp_le_u32_e32 vcc_lo, s41, v1
	s_wait_alu 0xfffd
	v_dual_cndmask_b32 v2, v2, v3 :: v_dual_cndmask_b32 v1, v1, v4
	v_ashrrev_i32_e32 v3, 31, v0
	s_delay_alu instid0(VALU_DEP_2) | instskip(NEXT) | instid1(VALU_DEP_3)
	v_add_nc_u32_e32 v4, 1, v2
	v_cmp_le_u32_e32 vcc_lo, s41, v1
	s_delay_alu instid0(VALU_DEP_3) | instskip(SKIP_1) | instid1(VALU_DEP_3)
	v_xor_b32_e32 v3, s3, v3
	s_wait_alu 0xfffd
	v_cndmask_b32_e32 v1, v2, v4, vcc_lo
	s_delay_alu instid0(VALU_DEP_1) | instskip(NEXT) | instid1(VALU_DEP_1)
	v_xor_b32_e32 v1, v1, v3
	v_sub_nc_u32_e32 v18, v1, v3
	s_delay_alu instid0(VALU_DEP_1) | instskip(NEXT) | instid1(VALU_DEP_1)
	v_mul_lo_u32 v1, v18, s2
	v_sub_nc_u32_e32 v5, v0, v1
	s_delay_alu instid0(VALU_DEP_1) | instskip(SKIP_1) | instid1(VALU_DEP_2)
	v_sub_nc_u32_e32 v1, 0, v5
	v_ashrrev_i32_e32 v6, 31, v5
	v_max_i32_e32 v1, v5, v1
	s_delay_alu instid0(VALU_DEP_1) | instskip(NEXT) | instid1(VALU_DEP_1)
	v_mul_hi_u32 v2, v1, s46
	v_mul_lo_u32 v3, v2, s42
	s_delay_alu instid0(VALU_DEP_1) | instskip(SKIP_1) | instid1(VALU_DEP_2)
	v_sub_nc_u32_e32 v1, v1, v3
	v_add_nc_u32_e32 v3, 1, v2
	v_subrev_nc_u32_e32 v4, s42, v1
	v_cmp_le_u32_e32 vcc_lo, s42, v1
	s_wait_alu 0xfffd
	s_delay_alu instid0(VALU_DEP_2) | instskip(SKIP_1) | instid1(VALU_DEP_2)
	v_dual_cndmask_b32 v2, v2, v3 :: v_dual_cndmask_b32 v1, v1, v4
	v_xor_b32_e32 v4, s31, v6
	v_add_nc_u32_e32 v3, 1, v2
	s_delay_alu instid0(VALU_DEP_3) | instskip(SKIP_1) | instid1(VALU_DEP_2)
	v_cmp_le_u32_e32 vcc_lo, s42, v1
	s_wait_alu 0xfffd
	v_cndmask_b32_e32 v1, v2, v3, vcc_lo
	s_and_not1_b32 vcc_lo, exec_lo, s38
	s_delay_alu instid0(VALU_DEP_1) | instskip(NEXT) | instid1(VALU_DEP_1)
	v_xor_b32_e32 v1, v1, v4
	v_sub_nc_u32_e32 v7, v1, v4
                                        ; implicit-def: $vgpr3_vgpr4
	s_delay_alu instid0(VALU_DEP_1) | instskip(NEXT) | instid1(VALU_DEP_1)
	v_mul_lo_u32 v8, v7, s7
	v_sub_nc_u32_e32 v1, v5, v8
	s_delay_alu instid0(VALU_DEP_1)
	v_ashrrev_i32_e32 v2, 31, v1
	s_wait_alu 0xfffe
	s_cbranch_vccnz .LBB24_5
; %bb.4:                                ;   in Loop: Header=BB24_3 Depth=1
	v_mad_co_i64_i32 v[3:4], null, v7, s43, 0
	s_mov_b32 s0, 0
.LBB24_5:                               ;   in Loop: Header=BB24_3 Depth=1
	v_mov_b32_e32 v19, 0
	s_wait_alu 0xfffe
	s_and_not1_b32 vcc_lo, exec_lo, s0
	s_wait_alu 0xfffe
	s_cbranch_vccnz .LBB24_16
; %bb.6:                                ;   in Loop: Header=BB24_3 Depth=1
	v_mad_co_i64_i32 v[3:4], null, v7, s43, 0
	v_ashrrev_i32_e32 v9, 31, v8
	v_mov_b32_e32 v19, 0
	s_mov_b32 s48, 0
	s_mov_b32 s28, s15
	s_delay_alu instid0(VALU_DEP_3) | instskip(SKIP_1) | instid1(VALU_DEP_4)
	v_add_co_u32 v5, vcc_lo, v3, v5
	s_wait_alu 0xfffd
	v_add_co_ci_u32_e64 v6, null, v4, v6, vcc_lo
	s_delay_alu instid0(VALU_DEP_2) | instskip(SKIP_1) | instid1(VALU_DEP_2)
	v_sub_co_u32 v5, vcc_lo, v5, v8
	s_wait_alu 0xfffd
	v_sub_co_ci_u32_e64 v6, null, v6, v9, vcc_lo
	v_mul_lo_u32 v9, v18, s12
	s_delay_alu instid0(VALU_DEP_3) | instskip(SKIP_1) | instid1(VALU_DEP_4)
	v_mul_lo_u32 v11, s27, v5
	v_mad_co_i64_i32 v[7:8], null, v7, s8, s[20:21]
	v_mul_lo_u32 v10, s26, v6
	v_mad_co_u64_u32 v[5:6], null, s26, v5, s[22:23]
	v_subrev_nc_u32_e32 v9, s16, v9
	s_delay_alu instid0(VALU_DEP_2)
	v_add3_u32 v6, v11, v6, v10
	s_branch .LBB24_8
.LBB24_7:                               ;   in Loop: Header=BB24_8 Depth=2
	s_delay_alu instid0(VALU_DEP_3)
	v_add_co_u32 v5, vcc_lo, v5, s24
	s_wait_alu 0xfffd
	v_add_co_ci_u32_e64 v6, null, s25, v6, vcc_lo
	s_add_co_i32 s48, s48, 1
	s_add_co_i32 s28, s28, s13
	s_wait_alu 0xfffe
	s_cmp_eq_u32 s48, s17
	s_cbranch_scc1 .LBB24_16
.LBB24_8:                               ;   Parent Loop BB24_3 Depth=1
                                        ; =>  This Loop Header: Depth=2
                                        ;       Child Loop BB24_11 Depth 3
                                        ;         Child Loop BB24_14 Depth 4
	s_and_not1_b32 vcc_lo, exec_lo, s39
	s_wait_alu 0xfffe
	s_cbranch_vccnz .LBB24_7
; %bb.9:                                ;   in Loop: Header=BB24_8 Depth=2
	s_mul_i32 s0, s48, s13
	v_dual_mov_b32 v11, v6 :: v_dual_mov_b32 v10, v5
	s_wait_alu 0xfffe
	s_add_co_i32 s0, s0, s15
	v_mov_b32_e32 v20, v9
	s_wait_alu 0xfffe
	s_cmp_lt_i32 s0, 0
	s_add_nc_u64 s[36:37], s[4:5], s[28:29]
	s_cselect_b32 s50, -1, 0
	s_cmp_ge_i32 s0, s30
	s_wait_alu 0xfffe
	s_mul_u64 s[36:37], s[34:35], s[36:37]
	s_cselect_b32 s0, -1, 0
	s_mov_b32 s49, 0
	s_wait_alu 0xfffe
	s_or_b32 s50, s50, s0
	s_branch .LBB24_11
.LBB24_10:                              ;   in Loop: Header=BB24_11 Depth=3
	v_add_co_u32 v10, vcc_lo, v10, s8
	v_add_nc_u32_e32 v20, s14, v20
	s_wait_alu 0xfffd
	v_add_co_ci_u32_e64 v11, null, s9, v11, vcc_lo
	s_add_co_i32 s49, s49, 1
	s_wait_alu 0xfffe
	s_cmp_eq_u32 s49, s18
	s_cbranch_scc1 .LBB24_7
.LBB24_11:                              ;   Parent Loop BB24_3 Depth=1
                                        ;     Parent Loop BB24_8 Depth=2
                                        ; =>    This Loop Header: Depth=3
                                        ;         Child Loop BB24_14 Depth 4
	s_and_not1_b32 vcc_lo, exec_lo, s40
	s_wait_alu 0xfffe
	s_cbranch_vccnz .LBB24_10
; %bb.12:                               ;   in Loop: Header=BB24_11 Depth=3
	v_add_co_u32 v12, s0, s36, v20
	s_wait_alu 0xf1ff
	v_add_co_ci_u32_e64 v13, null, s37, 0, s0
	v_mad_co_u64_u32 v[14:15], null, s49, s14, v[9:10]
	s_delay_alu instid0(VALU_DEP_3) | instskip(NEXT) | instid1(VALU_DEP_3)
	v_mul_lo_u32 v21, s1, v12
	v_mul_lo_u32 v15, s33, v13
	v_mad_co_u64_u32 v[12:13], null, s33, v12, v[7:8]
	s_mov_b32 s51, s8
	v_cmp_gt_i32_e32 vcc_lo, 0, v14
	v_cmp_le_i32_e64 s0, s34, v14
	v_add3_u32 v13, v21, v13, v15
	v_dual_mov_b32 v15, v11 :: v_dual_mov_b32 v14, v10
	s_or_b32 s0, vcc_lo, s0
	s_wait_alu 0xfffe
	s_nor_b32 s0, s50, s0
	s_branch .LBB24_14
.LBB24_13:                              ;   in Loop: Header=BB24_14 Depth=4
	s_or_b32 exec_lo, exec_lo, s52
	v_add_co_u32 v12, vcc_lo, v12, 1
	s_wait_alu 0xfffd
	v_add_co_ci_u32_e64 v13, null, 0, v13, vcc_lo
	v_add_co_u32 v14, vcc_lo, v14, 1
	s_wait_alu 0xfffd
	v_add_co_ci_u32_e64 v15, null, 0, v15, vcc_lo
	s_add_co_i32 s51, s51, -1
	s_delay_alu instid0(SALU_CYCLE_1)
	s_cmp_eq_u32 s51, 0
	s_cbranch_scc1 .LBB24_10
.LBB24_14:                              ;   Parent Loop BB24_3 Depth=1
                                        ;     Parent Loop BB24_8 Depth=2
                                        ;       Parent Loop BB24_11 Depth=3
                                        ; =>      This Inner Loop Header: Depth=4
	s_wait_alu 0xfffe
	s_and_saveexec_b32 s52, s0
	s_cbranch_execz .LBB24_13
; %bb.15:                               ;   in Loop: Header=BB24_14 Depth=4
	global_load_i8 v21, v[12:13], off
	global_load_i8 v22, v[14:15], off
	s_wait_loadcnt 0x0
	v_mad_i32_i24 v19, v22, v21, v19
	s_branch .LBB24_13
.LBB24_16:                              ;   in Loop: Header=BB24_3 Depth=1
	v_mad_co_i64_i32 v[1:2], null, v18, s2, v[1:2]
	s_mov_b32 s0, -1
	v_add_co_u32 v1, vcc_lo, v1, v3
	s_wait_alu 0xfffd
	v_add_co_ci_u32_e64 v2, null, v2, v4, vcc_lo
	s_and_b32 vcc_lo, exec_lo, s45
	v_lshlrev_b64_e32 v[1:2], 2, v[1:2]
	s_wait_alu 0xfffe
	s_cbranch_vccz .LBB24_18
; %bb.17:                               ;   in Loop: Header=BB24_3 Depth=1
	s_delay_alu instid0(VALU_DEP_1) | instskip(SKIP_1) | instid1(VALU_DEP_2)
	v_add_co_u32 v3, vcc_lo, s10, v1
	s_wait_alu 0xfffd
	v_add_co_ci_u32_e64 v4, null, s11, v2, vcc_lo
	v_mul_lo_u32 v5, v19, v16
	s_mov_b32 s0, 0
	global_load_b32 v6, v[3:4], off
	s_wait_loadcnt 0x0
	v_mad_co_u64_u32 v[5:6], null, v6, v17, v[5:6]
	global_store_b32 v[3:4], v5, off
.LBB24_18:                              ;   in Loop: Header=BB24_3 Depth=1
	s_wait_alu 0xfffe
	s_and_not1_b32 vcc_lo, exec_lo, s0
	s_wait_alu 0xfffe
	s_cbranch_vccnz .LBB24_2
; %bb.19:                               ;   in Loop: Header=BB24_3 Depth=1
	v_add_co_u32 v1, vcc_lo, s10, v1
	s_wait_alu 0xfffd
	v_add_co_ci_u32_e64 v2, null, s11, v2, vcc_lo
	global_store_b32 v[1:2], v19, off
	s_branch .LBB24_2
.LBB24_20:
	s_endpgm
	.section	.rodata,"a",@progbits
	.p2align	6, 0x0
	.amdhsa_kernel naive_conv_ab_packed_fwd_nhwc_int8_t_int32_t_int32_t_0
		.amdhsa_group_segment_fixed_size 0
		.amdhsa_private_segment_fixed_size 0
		.amdhsa_kernarg_size 480
		.amdhsa_user_sgpr_count 2
		.amdhsa_user_sgpr_dispatch_ptr 0
		.amdhsa_user_sgpr_queue_ptr 0
		.amdhsa_user_sgpr_kernarg_segment_ptr 1
		.amdhsa_user_sgpr_dispatch_id 0
		.amdhsa_user_sgpr_private_segment_size 0
		.amdhsa_wavefront_size32 1
		.amdhsa_uses_dynamic_stack 0
		.amdhsa_enable_private_segment 0
		.amdhsa_system_sgpr_workgroup_id_x 1
		.amdhsa_system_sgpr_workgroup_id_y 0
		.amdhsa_system_sgpr_workgroup_id_z 0
		.amdhsa_system_sgpr_workgroup_info 0
		.amdhsa_system_vgpr_workitem_id 0
		.amdhsa_next_free_vgpr 23
		.amdhsa_next_free_sgpr 53
		.amdhsa_reserve_vcc 1
		.amdhsa_float_round_mode_32 0
		.amdhsa_float_round_mode_16_64 0
		.amdhsa_float_denorm_mode_32 3
		.amdhsa_float_denorm_mode_16_64 3
		.amdhsa_fp16_overflow 0
		.amdhsa_workgroup_processor_mode 1
		.amdhsa_memory_ordered 1
		.amdhsa_forward_progress 1
		.amdhsa_inst_pref_size 14
		.amdhsa_round_robin_scheduling 0
		.amdhsa_exception_fp_ieee_invalid_op 0
		.amdhsa_exception_fp_denorm_src 0
		.amdhsa_exception_fp_ieee_div_zero 0
		.amdhsa_exception_fp_ieee_overflow 0
		.amdhsa_exception_fp_ieee_underflow 0
		.amdhsa_exception_fp_ieee_inexact 0
		.amdhsa_exception_int_div_zero 0
	.end_amdhsa_kernel
	.text
.Lfunc_end24:
	.size	naive_conv_ab_packed_fwd_nhwc_int8_t_int32_t_int32_t_0, .Lfunc_end24-naive_conv_ab_packed_fwd_nhwc_int8_t_int32_t_int32_t_0
                                        ; -- End function
	.set naive_conv_ab_packed_fwd_nhwc_int8_t_int32_t_int32_t_0.num_vgpr, 23
	.set naive_conv_ab_packed_fwd_nhwc_int8_t_int32_t_int32_t_0.num_agpr, 0
	.set naive_conv_ab_packed_fwd_nhwc_int8_t_int32_t_int32_t_0.numbered_sgpr, 53
	.set naive_conv_ab_packed_fwd_nhwc_int8_t_int32_t_int32_t_0.num_named_barrier, 0
	.set naive_conv_ab_packed_fwd_nhwc_int8_t_int32_t_int32_t_0.private_seg_size, 0
	.set naive_conv_ab_packed_fwd_nhwc_int8_t_int32_t_int32_t_0.uses_vcc, 1
	.set naive_conv_ab_packed_fwd_nhwc_int8_t_int32_t_int32_t_0.uses_flat_scratch, 0
	.set naive_conv_ab_packed_fwd_nhwc_int8_t_int32_t_int32_t_0.has_dyn_sized_stack, 0
	.set naive_conv_ab_packed_fwd_nhwc_int8_t_int32_t_int32_t_0.has_recursion, 0
	.set naive_conv_ab_packed_fwd_nhwc_int8_t_int32_t_int32_t_0.has_indirect_call, 0
	.section	.AMDGPU.csdata,"",@progbits
; Kernel info:
; codeLenInByte = 1668
; TotalNumSgprs: 55
; NumVgprs: 23
; ScratchSize: 0
; MemoryBound: 0
; FloatMode: 240
; IeeeMode: 1
; LDSByteSize: 0 bytes/workgroup (compile time only)
; SGPRBlocks: 0
; VGPRBlocks: 2
; NumSGPRsForWavesPerEU: 55
; NumVGPRsForWavesPerEU: 23
; Occupancy: 16
; WaveLimiterHint : 0
; COMPUTE_PGM_RSRC2:SCRATCH_EN: 0
; COMPUTE_PGM_RSRC2:USER_SGPR: 2
; COMPUTE_PGM_RSRC2:TRAP_HANDLER: 0
; COMPUTE_PGM_RSRC2:TGID_X_EN: 1
; COMPUTE_PGM_RSRC2:TGID_Y_EN: 0
; COMPUTE_PGM_RSRC2:TGID_Z_EN: 0
; COMPUTE_PGM_RSRC2:TIDIG_COMP_CNT: 0
	.text
	.protected	naive_conv_ab_nonpacked_fwd_nhwc_int8_t_int32_t_int32_t_0 ; -- Begin function naive_conv_ab_nonpacked_fwd_nhwc_int8_t_int32_t_int32_t_0
	.globl	naive_conv_ab_nonpacked_fwd_nhwc_int8_t_int32_t_int32_t_0
	.p2align	8
	.type	naive_conv_ab_nonpacked_fwd_nhwc_int8_t_int32_t_int32_t_0,@function
naive_conv_ab_nonpacked_fwd_nhwc_int8_t_int32_t_int32_t_0: ; @naive_conv_ab_nonpacked_fwd_nhwc_int8_t_int32_t_int32_t_0
; %bb.0:
	s_load_b512 s[4:19], s[0:1], 0xa0
	s_abs_i32 s21, ttmp9
	s_wait_kmcnt 0x0
	s_abs_i32 s2, s9
	s_delay_alu instid0(SALU_CYCLE_1) | instskip(SKIP_1) | instid1(SALU_CYCLE_2)
	s_cvt_f32_u32 s3, s2
	s_sub_co_i32 s20, 0, s2
	v_rcp_iflag_f32_e32 v1, s3
	s_delay_alu instid0(TRANS32_DEP_1) | instskip(SKIP_2) | instid1(SALU_CYCLE_2)
	v_readfirstlane_b32 s3, v1
	s_mul_f32 s3, s3, 0x4f7ffffe
	s_wait_alu 0xfffe
	s_cvt_u32_f32 s3, s3
	s_wait_alu 0xfffe
	s_delay_alu instid0(SALU_CYCLE_2) | instskip(NEXT) | instid1(SALU_CYCLE_1)
	s_mul_i32 s20, s20, s3
	s_mul_hi_u32 s20, s3, s20
	s_delay_alu instid0(SALU_CYCLE_1) | instskip(SKIP_4) | instid1(SALU_CYCLE_1)
	s_add_co_i32 s3, s3, s20
	s_wait_alu 0xfffe
	s_mul_hi_u32 s3, s21, s3
	s_wait_alu 0xfffe
	s_mul_i32 s20, s3, s2
	s_sub_co_i32 s20, s21, s20
	s_add_co_i32 s21, s3, 1
	s_sub_co_i32 s22, s20, s2
	s_cmp_ge_u32 s20, s2
	s_cselect_b32 s3, s21, s3
	s_cselect_b32 s20, s22, s20
	s_wait_alu 0xfffe
	s_add_co_i32 s21, s3, 1
	s_cmp_ge_u32 s20, s2
	s_mov_b32 s20, exec_lo
	s_cselect_b32 s2, s21, s3
	s_abs_i32 s28, s6
	s_mul_i32 s6, s19, s7
	s_cvt_f32_u32 s3, s28
	s_mul_i32 s19, s6, s10
	s_wait_alu 0xfffe
	s_delay_alu instid0(SALU_CYCLE_1) | instskip(SKIP_1) | instid1(TRANS32_DEP_1)
	v_rcp_iflag_f32_e32 v1, s3
	s_mov_b32 s3, 0
	v_readfirstlane_b32 s10, v1
	v_cmpx_gt_i32_e64 s19, v0
	s_cbranch_execz .LBB25_20
; %bb.1:
	s_mul_f32 s10, s10, 0x4f7ffffe
	s_xor_b32 s29, ttmp9, s9
	s_sub_co_i32 s30, 0, s28
	s_ashr_i32 s29, s29, 31
	s_cvt_u32_f32 s10, s10
	s_xor_b32 s2, s2, s29
	s_wait_alu 0xfffe
	s_mov_b32 s31, s3
	s_sub_co_i32 s29, s2, s29
	s_mul_i32 s30, s30, s10
	s_abs_i32 s2, s29
	s_mul_hi_u32 s30, s10, s30
	s_clause 0x1
	s_load_b64 s[34:35], s[0:1], 0x98
	s_load_b128 s[52:55], s[0:1], 0x88
	s_add_co_i32 s30, s10, s30
	s_ashr_i32 s10, s29, 31
	s_mul_u64 s[30:31], s[2:3], s[30:31]
	s_mul_i32 s29, s29, s9
	s_mul_i32 s30, s31, s28
	s_load_b256 s[20:27], s[0:1], 0x0
	s_sub_co_i32 s2, s2, s30
	s_sub_co_i32 s30, ttmp9, s29
	s_wait_alu 0xfffe
	s_sub_co_i32 s9, s2, s28
	s_cmp_ge_u32 s2, s28
	s_load_b64 s[56:57], s[0:1], 0x20
	s_cselect_b32 s2, s9, s2
	s_load_b512 s[36:51], s[0:1], 0x28
	s_sub_co_i32 s9, s2, s28
	s_cmp_ge_u32 s2, s28
	s_load_b32 s62, s[0:1], 0xec
	s_cselect_b32 s2, s9, s2
	s_ashr_i32 s31, s30, 31
	s_wait_alu 0xfffe
	s_xor_b32 s2, s2, s10
	s_wait_kmcnt 0x0
	s_mul_u64 s[28:29], s[54:55], s[30:31]
	s_wait_alu 0xfffe
	s_sub_co_i32 s58, s2, s10
	s_lshl_b64 s[54:55], s[28:29], 2
	s_ashr_i32 s59, s58, 31
	s_mul_i32 s9, s30, s11
	s_mul_u64 s[34:35], s[34:35], s[58:59]
	v_cmp_neq_f64_e64 s63, s[24:25], 1.0
	s_lshl_b64 s[60:61], s[34:35], 2
	s_cmp_lt_i32 s17, 1
	v_cmp_neq_f64_e64 s64, s[26:27], 0
	s_cselect_b32 s2, -1, 0
	s_sub_co_i32 s9, s9, s15
	s_cmp_gt_i32 s18, 0
	v_cvt_i32_f64_e32 v14, s[24:25]
	v_cvt_i32_f64_e32 v15, s[26:27]
	s_cselect_b32 s15, -1, 0
	s_cmp_gt_i32 s8, 0
	s_load_b256 s[24:31], s[0:1], 0x68
	s_cselect_b32 s33, -1, 0
	s_abs_i32 s34, s6
	s_abs_i32 s35, s7
	s_cvt_f32_u32 s10, s34
	s_cvt_f32_u32 s11, s35
	s_add_nc_u64 s[0:1], s[56:57], s[60:61]
	s_sub_co_i32 s57, 0, s35
	v_rcp_iflag_f32_e32 v1, s10
	v_rcp_iflag_f32_e32 v2, s11
	s_add_nc_u64 s[10:11], s[0:1], s[54:55]
	s_sub_co_i32 s55, 0, s34
	s_mul_u64 s[58:59], s[44:45], s[58:59]
	s_and_b32 s1, s62, 0xffff
	s_ashr_i32 s44, s6, 31
	s_ashr_i32 s45, s7, 31
	s_add_nc_u64 s[20:21], s[20:21], s[58:59]
	s_delay_alu instid0(TRANS32_DEP_2) | instskip(NEXT) | instid1(TRANS32_DEP_1)
	v_readfirstlane_b32 s0, v1
	v_readfirstlane_b32 s54, v2
	s_mul_f32 s0, s0, 0x4f7ffffe
	s_mul_f32 s54, s54, 0x4f7ffffe
	s_delay_alu instid0(SALU_CYCLE_2) | instskip(NEXT) | instid1(SALU_CYCLE_2)
	s_cvt_u32_f32 s0, s0
	s_cvt_u32_f32 s56, s54
	s_or_b32 s54, s63, s64
	s_delay_alu instid0(SALU_CYCLE_1) | instskip(NEXT) | instid1(SALU_CYCLE_1)
	s_mul_i32 s55, s55, s0
	s_mul_i32 s57, s57, s56
	s_mul_hi_u32 s55, s0, s55
	s_mul_hi_u32 s57, s56, s57
	s_add_co_i32 s55, s0, s55
	s_add_co_i32 s56, s56, s57
	s_branch .LBB25_3
.LBB25_2:                               ;   in Loop: Header=BB25_3 Depth=1
	v_add_nc_u32_e32 v0, s1, v0
	s_delay_alu instid0(VALU_DEP_1)
	v_cmp_le_i32_e32 vcc_lo, s19, v0
	s_or_b32 s3, vcc_lo, s3
	s_wait_alu 0xfffe
	s_and_not1_b32 exec_lo, exec_lo, s3
	s_cbranch_execz .LBB25_20
.LBB25_3:                               ; =>This Loop Header: Depth=1
                                        ;     Child Loop BB25_8 Depth 2
                                        ;       Child Loop BB25_11 Depth 3
                                        ;         Child Loop BB25_14 Depth 4
	v_sub_nc_u32_e32 v1, 0, v0
	s_mov_b32 s0, -1
	s_delay_alu instid0(VALU_DEP_1) | instskip(NEXT) | instid1(VALU_DEP_1)
	v_max_i32_e32 v1, v0, v1
	v_mul_hi_u32 v2, v1, s55
	s_delay_alu instid0(VALU_DEP_1) | instskip(NEXT) | instid1(VALU_DEP_1)
	v_mul_lo_u32 v3, v2, s34
	v_sub_nc_u32_e32 v1, v1, v3
	v_add_nc_u32_e32 v3, 1, v2
	s_delay_alu instid0(VALU_DEP_2) | instskip(SKIP_2) | instid1(VALU_DEP_2)
	v_subrev_nc_u32_e32 v4, s34, v1
	v_cmp_le_u32_e32 vcc_lo, s34, v1
	s_wait_alu 0xfffd
	v_dual_cndmask_b32 v2, v2, v3 :: v_dual_cndmask_b32 v1, v1, v4
	v_ashrrev_i32_e32 v3, 31, v0
	s_delay_alu instid0(VALU_DEP_2) | instskip(NEXT) | instid1(VALU_DEP_3)
	v_add_nc_u32_e32 v4, 1, v2
	v_cmp_le_u32_e32 vcc_lo, s34, v1
	s_delay_alu instid0(VALU_DEP_3) | instskip(SKIP_1) | instid1(VALU_DEP_3)
	v_xor_b32_e32 v3, s44, v3
	s_wait_alu 0xfffd
	v_cndmask_b32_e32 v1, v2, v4, vcc_lo
	s_delay_alu instid0(VALU_DEP_1) | instskip(NEXT) | instid1(VALU_DEP_1)
	v_xor_b32_e32 v1, v1, v3
	v_sub_nc_u32_e32 v16, v1, v3
	s_delay_alu instid0(VALU_DEP_1) | instskip(NEXT) | instid1(VALU_DEP_1)
	v_mul_lo_u32 v1, v16, s6
	v_sub_nc_u32_e32 v1, v0, v1
	s_delay_alu instid0(VALU_DEP_1) | instskip(NEXT) | instid1(VALU_DEP_1)
	v_sub_nc_u32_e32 v2, 0, v1
	v_max_i32_e32 v2, v1, v2
	s_delay_alu instid0(VALU_DEP_1) | instskip(NEXT) | instid1(VALU_DEP_1)
	v_mul_hi_u32 v3, v2, s56
	v_mul_lo_u32 v4, v3, s35
	s_delay_alu instid0(VALU_DEP_1) | instskip(SKIP_1) | instid1(VALU_DEP_2)
	v_sub_nc_u32_e32 v4, v2, v4
	v_add_nc_u32_e32 v2, 1, v3
	v_subrev_nc_u32_e32 v5, s35, v4
	v_cmp_le_u32_e32 vcc_lo, s35, v4
	s_wait_alu 0xfffd
	s_delay_alu instid0(VALU_DEP_2) | instskip(SKIP_1) | instid1(VALU_DEP_2)
	v_dual_cndmask_b32 v3, v3, v2 :: v_dual_cndmask_b32 v4, v4, v5
	v_ashrrev_i32_e32 v2, 31, v1
	v_add_nc_u32_e32 v5, 1, v3
	s_delay_alu instid0(VALU_DEP_3) | instskip(NEXT) | instid1(VALU_DEP_3)
	v_cmp_le_u32_e32 vcc_lo, s35, v4
	v_xor_b32_e32 v6, s45, v2
	s_wait_alu 0xfffd
	s_delay_alu instid0(VALU_DEP_3) | instskip(SKIP_1) | instid1(VALU_DEP_1)
	v_cndmask_b32_e32 v3, v3, v5, vcc_lo
	s_and_not1_b32 vcc_lo, exec_lo, s2
	v_xor_b32_e32 v3, v3, v6
	s_delay_alu instid0(VALU_DEP_1) | instskip(NEXT) | instid1(VALU_DEP_1)
	v_sub_nc_u32_e32 v17, v3, v6
	v_mul_lo_u32 v3, v17, s7
	v_ashrrev_i32_e32 v18, 31, v17
	s_delay_alu instid0(VALU_DEP_2) | instskip(NEXT) | instid1(VALU_DEP_1)
	v_sub_nc_u32_e32 v19, v1, v3
	v_ashrrev_i32_e32 v20, 31, v19
	s_wait_alu 0xfffe
	s_cbranch_vccnz .LBB25_5
; %bb.4:                                ;   in Loop: Header=BB25_3 Depth=1
	s_mov_b32 s0, 0
.LBB25_5:                               ;   in Loop: Header=BB25_3 Depth=1
	v_mov_b32_e32 v21, 0
	s_wait_alu 0xfffe
	s_and_not1_b32 vcc_lo, exec_lo, s0
	s_wait_alu 0xfffe
	s_cbranch_vccnz .LBB25_16
; %bb.6:                                ;   in Loop: Header=BB25_3 Depth=1
	s_wait_kmcnt 0x0
	v_mul_lo_u32 v6, s27, v17
	v_mul_lo_u32 v7, s26, v18
	v_mad_co_u64_u32 v[4:5], null, s26, v17, 0
	v_ashrrev_i32_e32 v8, 31, v3
	v_sub_co_u32 v1, vcc_lo, v1, v3
	v_mul_lo_u32 v3, v16, s12
	v_mul_lo_u32 v9, s38, v18
	s_wait_alu 0xfffd
	v_sub_co_ci_u32_e64 v2, null, v2, v8, vcc_lo
	v_add3_u32 v5, v5, v7, v6
	v_mul_lo_u32 v7, s25, v1
	v_mul_lo_u32 v8, s39, v17
	s_delay_alu instid0(VALU_DEP_4)
	v_mul_lo_u32 v6, s24, v2
	v_subrev_nc_u32_e32 v3, s16, v3
	v_mad_co_u64_u32 v[4:5], null, s24, v1, v[4:5]
	v_mad_co_u64_u32 v[1:2], null, s38, v17, s[20:21]
	v_mov_b32_e32 v21, 0
	s_mov_b32 s57, 0
	s_mov_b32 s58, s9
	s_delay_alu instid0(VALU_DEP_3) | instskip(NEXT) | instid1(VALU_DEP_4)
	v_add3_u32 v5, v7, v5, v6
	v_add_co_u32 v4, vcc_lo, s22, v4
	s_delay_alu instid0(VALU_DEP_4) | instskip(SKIP_1) | instid1(VALU_DEP_3)
	v_add3_u32 v2, v8, v2, v9
	s_wait_alu 0xfffd
	v_add_co_ci_u32_e64 v5, null, s23, v5, vcc_lo
	s_branch .LBB25_8
.LBB25_7:                               ;   in Loop: Header=BB25_8 Depth=2
	v_add_co_u32 v4, vcc_lo, v4, s50
	s_wait_alu 0xfffd
	v_add_co_ci_u32_e64 v5, null, s51, v5, vcc_lo
	s_add_co_i32 s57, s57, 1
	s_add_co_i32 s58, s58, s13
	s_wait_alu 0xfffe
	s_cmp_eq_u32 s57, s17
	s_cbranch_scc1 .LBB25_16
.LBB25_8:                               ;   Parent Loop BB25_3 Depth=1
                                        ; =>  This Loop Header: Depth=2
                                        ;       Child Loop BB25_11 Depth 3
                                        ;         Child Loop BB25_14 Depth 4
	s_and_not1_b32 vcc_lo, exec_lo, s15
	s_wait_alu 0xfffe
	s_cbranch_vccnz .LBB25_7
; %bb.9:                                ;   in Loop: Header=BB25_8 Depth=2
	v_mad_co_u64_u32 v[6:7], null, s42, s58, v[1:2]
	s_mul_i32 s0, s57, s13
	v_mov_b32_e32 v22, v3
	s_wait_alu 0xfffe
	s_add_co_i32 s0, s0, s9
	s_mov_b32 s59, 0
	s_wait_alu 0xfffe
	s_cmp_lt_i32 s0, 0
	s_cselect_b32 s60, -1, 0
	v_mad_co_u64_u32 v[7:8], null, s43, s58, v[7:8]
	s_cmp_ge_i32 s0, s4
	v_dual_mov_b32 v9, v5 :: v_dual_mov_b32 v8, v4
	s_cselect_b32 s0, -1, 0
	s_wait_alu 0xfffe
	s_or_b32 s60, s60, s0
	s_branch .LBB25_11
.LBB25_10:                              ;   in Loop: Header=BB25_11 Depth=3
	v_add_co_u32 v8, vcc_lo, v8, s48
	s_wait_alu 0xfffd
	v_add_co_ci_u32_e64 v9, null, s49, v9, vcc_lo
	v_add_nc_u32_e32 v22, s14, v22
	s_add_co_i32 s59, s59, 1
	s_wait_alu 0xfffe
	s_cmp_eq_u32 s59, s18
	s_cbranch_scc1 .LBB25_7
.LBB25_11:                              ;   Parent Loop BB25_3 Depth=1
                                        ;     Parent Loop BB25_8 Depth=2
                                        ; =>    This Loop Header: Depth=3
                                        ;         Child Loop BB25_14 Depth 4
	s_and_not1_b32 vcc_lo, exec_lo, s33
	s_wait_alu 0xfffe
	s_cbranch_vccnz .LBB25_10
; %bb.12:                               ;   in Loop: Header=BB25_11 Depth=3
	v_mad_co_u64_u32 v[10:11], null, s40, v22, v[6:7]
	v_mad_co_u64_u32 v[12:13], null, s59, s14, v[3:4]
	s_mov_b32 s61, s8
	v_mad_co_u64_u32 v[23:24], null, s41, v22, v[11:12]
	v_cmp_gt_i32_e32 vcc_lo, 0, v12
	v_cmp_le_i32_e64 s0, s5, v12
	v_dual_mov_b32 v13, v9 :: v_dual_mov_b32 v12, v8
	s_delay_alu instid0(VALU_DEP_4)
	v_mov_b32_e32 v11, v23
	s_or_b32 s0, vcc_lo, s0
	s_wait_alu 0xfffe
	s_nor_b32 s0, s60, s0
	s_branch .LBB25_14
.LBB25_13:                              ;   in Loop: Header=BB25_14 Depth=4
	s_or_b32 exec_lo, exec_lo, s62
	v_add_co_u32 v12, vcc_lo, v12, s46
	s_wait_alu 0xfffd
	v_add_co_ci_u32_e64 v13, null, s47, v13, vcc_lo
	v_add_co_u32 v10, vcc_lo, v10, s36
	s_wait_alu 0xfffd
	v_add_co_ci_u32_e64 v11, null, s37, v11, vcc_lo
	s_add_co_i32 s61, s61, -1
	s_delay_alu instid0(SALU_CYCLE_1)
	s_cmp_eq_u32 s61, 0
	s_cbranch_scc1 .LBB25_10
.LBB25_14:                              ;   Parent Loop BB25_3 Depth=1
                                        ;     Parent Loop BB25_8 Depth=2
                                        ;       Parent Loop BB25_11 Depth=3
                                        ; =>      This Inner Loop Header: Depth=4
	s_wait_alu 0xfffe
	s_and_saveexec_b32 s62, s0
	s_cbranch_execz .LBB25_13
; %bb.15:                               ;   in Loop: Header=BB25_14 Depth=4
	global_load_i8 v23, v[10:11], off
	global_load_i8 v24, v[12:13], off
	s_wait_loadcnt 0x0
	v_mad_i32_i24 v21, v24, v23, v21
	s_branch .LBB25_13
.LBB25_16:                              ;   in Loop: Header=BB25_3 Depth=1
	v_ashrrev_i32_e32 v3, 31, v16
	v_mul_lo_u32 v4, s53, v16
	v_mad_co_u64_u32 v[1:2], null, s52, v16, 0
	s_and_b32 vcc_lo, exec_lo, s54
	v_mul_lo_u32 v3, s52, v3
	s_mov_b32 s0, -1
	s_delay_alu instid0(VALU_DEP_1) | instskip(SKIP_3) | instid1(VALU_DEP_3)
	v_add3_u32 v2, v2, v3, v4
	s_wait_kmcnt 0x0
	v_mul_lo_u32 v3, v19, s29
	v_mul_lo_u32 v4, v20, s28
	v_mad_co_u64_u32 v[1:2], null, v19, s28, v[1:2]
	s_delay_alu instid0(VALU_DEP_1) | instskip(SKIP_2) | instid1(VALU_DEP_3)
	v_add3_u32 v2, v4, v2, v3
	v_mul_lo_u32 v3, v17, s31
	v_mul_lo_u32 v4, v18, s30
	v_mad_co_u64_u32 v[1:2], null, v17, s30, v[1:2]
	s_delay_alu instid0(VALU_DEP_1) | instskip(NEXT) | instid1(VALU_DEP_1)
	v_add3_u32 v2, v4, v2, v3
	v_lshlrev_b64_e32 v[1:2], 2, v[1:2]
	s_wait_alu 0xfffe
	s_cbranch_vccz .LBB25_18
; %bb.17:                               ;   in Loop: Header=BB25_3 Depth=1
	s_delay_alu instid0(VALU_DEP_1) | instskip(SKIP_1) | instid1(VALU_DEP_2)
	v_add_co_u32 v3, vcc_lo, s10, v1
	s_wait_alu 0xfffd
	v_add_co_ci_u32_e64 v4, null, s11, v2, vcc_lo
	v_mul_lo_u32 v5, v21, v14
	s_mov_b32 s0, 0
	global_load_b32 v6, v[3:4], off
	s_wait_loadcnt 0x0
	v_mad_co_u64_u32 v[5:6], null, v6, v15, v[5:6]
	global_store_b32 v[3:4], v5, off
.LBB25_18:                              ;   in Loop: Header=BB25_3 Depth=1
	s_wait_alu 0xfffe
	s_and_not1_b32 vcc_lo, exec_lo, s0
	s_wait_alu 0xfffe
	s_cbranch_vccnz .LBB25_2
; %bb.19:                               ;   in Loop: Header=BB25_3 Depth=1
	v_add_co_u32 v1, vcc_lo, s10, v1
	s_wait_alu 0xfffd
	v_add_co_ci_u32_e64 v2, null, s11, v2, vcc_lo
	global_store_b32 v[1:2], v21, off
	s_branch .LBB25_2
.LBB25_20:
	s_endpgm
	.section	.rodata,"a",@progbits
	.p2align	6, 0x0
	.amdhsa_kernel naive_conv_ab_nonpacked_fwd_nhwc_int8_t_int32_t_int32_t_0
		.amdhsa_group_segment_fixed_size 0
		.amdhsa_private_segment_fixed_size 0
		.amdhsa_kernarg_size 480
		.amdhsa_user_sgpr_count 2
		.amdhsa_user_sgpr_dispatch_ptr 0
		.amdhsa_user_sgpr_queue_ptr 0
		.amdhsa_user_sgpr_kernarg_segment_ptr 1
		.amdhsa_user_sgpr_dispatch_id 0
		.amdhsa_user_sgpr_private_segment_size 0
		.amdhsa_wavefront_size32 1
		.amdhsa_uses_dynamic_stack 0
		.amdhsa_enable_private_segment 0
		.amdhsa_system_sgpr_workgroup_id_x 1
		.amdhsa_system_sgpr_workgroup_id_y 0
		.amdhsa_system_sgpr_workgroup_id_z 0
		.amdhsa_system_sgpr_workgroup_info 0
		.amdhsa_system_vgpr_workitem_id 0
		.amdhsa_next_free_vgpr 25
		.amdhsa_next_free_sgpr 65
		.amdhsa_reserve_vcc 1
		.amdhsa_float_round_mode_32 0
		.amdhsa_float_round_mode_16_64 0
		.amdhsa_float_denorm_mode_32 3
		.amdhsa_float_denorm_mode_16_64 3
		.amdhsa_fp16_overflow 0
		.amdhsa_workgroup_processor_mode 1
		.amdhsa_memory_ordered 1
		.amdhsa_forward_progress 1
		.amdhsa_inst_pref_size 14
		.amdhsa_round_robin_scheduling 0
		.amdhsa_exception_fp_ieee_invalid_op 0
		.amdhsa_exception_fp_denorm_src 0
		.amdhsa_exception_fp_ieee_div_zero 0
		.amdhsa_exception_fp_ieee_overflow 0
		.amdhsa_exception_fp_ieee_underflow 0
		.amdhsa_exception_fp_ieee_inexact 0
		.amdhsa_exception_int_div_zero 0
	.end_amdhsa_kernel
	.text
.Lfunc_end25:
	.size	naive_conv_ab_nonpacked_fwd_nhwc_int8_t_int32_t_int32_t_0, .Lfunc_end25-naive_conv_ab_nonpacked_fwd_nhwc_int8_t_int32_t_int32_t_0
                                        ; -- End function
	.set naive_conv_ab_nonpacked_fwd_nhwc_int8_t_int32_t_int32_t_0.num_vgpr, 25
	.set naive_conv_ab_nonpacked_fwd_nhwc_int8_t_int32_t_int32_t_0.num_agpr, 0
	.set naive_conv_ab_nonpacked_fwd_nhwc_int8_t_int32_t_int32_t_0.numbered_sgpr, 65
	.set naive_conv_ab_nonpacked_fwd_nhwc_int8_t_int32_t_int32_t_0.num_named_barrier, 0
	.set naive_conv_ab_nonpacked_fwd_nhwc_int8_t_int32_t_int32_t_0.private_seg_size, 0
	.set naive_conv_ab_nonpacked_fwd_nhwc_int8_t_int32_t_int32_t_0.uses_vcc, 1
	.set naive_conv_ab_nonpacked_fwd_nhwc_int8_t_int32_t_int32_t_0.uses_flat_scratch, 0
	.set naive_conv_ab_nonpacked_fwd_nhwc_int8_t_int32_t_int32_t_0.has_dyn_sized_stack, 0
	.set naive_conv_ab_nonpacked_fwd_nhwc_int8_t_int32_t_int32_t_0.has_recursion, 0
	.set naive_conv_ab_nonpacked_fwd_nhwc_int8_t_int32_t_int32_t_0.has_indirect_call, 0
	.section	.AMDGPU.csdata,"",@progbits
; Kernel info:
; codeLenInByte = 1740
; TotalNumSgprs: 67
; NumVgprs: 25
; ScratchSize: 0
; MemoryBound: 0
; FloatMode: 240
; IeeeMode: 1
; LDSByteSize: 0 bytes/workgroup (compile time only)
; SGPRBlocks: 0
; VGPRBlocks: 3
; NumSGPRsForWavesPerEU: 67
; NumVGPRsForWavesPerEU: 25
; Occupancy: 16
; WaveLimiterHint : 0
; COMPUTE_PGM_RSRC2:SCRATCH_EN: 0
; COMPUTE_PGM_RSRC2:USER_SGPR: 2
; COMPUTE_PGM_RSRC2:TRAP_HANDLER: 0
; COMPUTE_PGM_RSRC2:TGID_X_EN: 1
; COMPUTE_PGM_RSRC2:TGID_Y_EN: 0
; COMPUTE_PGM_RSRC2:TGID_Z_EN: 0
; COMPUTE_PGM_RSRC2:TIDIG_COMP_CNT: 0
	.text
	.protected	naive_conv_ab_packed_fwd_nhwc_int8_t_int32_t_float_0 ; -- Begin function naive_conv_ab_packed_fwd_nhwc_int8_t_int32_t_float_0
	.globl	naive_conv_ab_packed_fwd_nhwc_int8_t_int32_t_float_0
	.p2align	8
	.type	naive_conv_ab_packed_fwd_nhwc_int8_t_int32_t_float_0,@function
naive_conv_ab_packed_fwd_nhwc_int8_t_int32_t_float_0: ; @naive_conv_ab_packed_fwd_nhwc_int8_t_int32_t_float_0
; %bb.0:
	s_load_b512 s[4:19], s[0:1], 0xa0
	s_abs_i32 s21, ttmp9
	s_mov_b32 s29, 0
	s_wait_kmcnt 0x0
	s_abs_i32 s2, s9
	s_delay_alu instid0(SALU_CYCLE_1) | instskip(SKIP_1) | instid1(SALU_CYCLE_2)
	s_cvt_f32_u32 s3, s2
	s_sub_co_i32 s20, 0, s2
	v_rcp_iflag_f32_e32 v1, s3
	s_delay_alu instid0(TRANS32_DEP_1) | instskip(SKIP_2) | instid1(SALU_CYCLE_2)
	v_readfirstlane_b32 s3, v1
	s_mul_f32 s3, s3, 0x4f7ffffe
	s_wait_alu 0xfffe
	s_cvt_u32_f32 s3, s3
	s_wait_alu 0xfffe
	s_delay_alu instid0(SALU_CYCLE_2) | instskip(NEXT) | instid1(SALU_CYCLE_1)
	s_mul_i32 s20, s20, s3
	s_mul_hi_u32 s20, s3, s20
	s_delay_alu instid0(SALU_CYCLE_1) | instskip(SKIP_4) | instid1(SALU_CYCLE_1)
	s_add_co_i32 s3, s3, s20
	s_wait_alu 0xfffe
	s_mul_hi_u32 s3, s21, s3
	s_wait_alu 0xfffe
	s_mul_i32 s20, s3, s2
	s_sub_co_i32 s20, s21, s20
	s_add_co_i32 s21, s3, 1
	s_sub_co_i32 s22, s20, s2
	s_cmp_ge_u32 s20, s2
	s_cselect_b32 s3, s21, s3
	s_cselect_b32 s20, s22, s20
	s_wait_alu 0xfffe
	s_add_co_i32 s21, s3, 1
	s_cmp_ge_u32 s20, s2
	s_mov_b32 s22, exec_lo
	s_cselect_b32 s20, s21, s3
	s_abs_i32 s3, s6
	s_wait_alu 0xfffe
	s_cvt_f32_u32 s2, s3
	s_wait_alu 0xfffe
	s_delay_alu instid0(SALU_CYCLE_2) | instskip(SKIP_3) | instid1(TRANS32_DEP_1)
	v_rcp_iflag_f32_e32 v1, s2
	s_mul_i32 s2, s19, s7
	s_wait_alu 0xfffe
	s_mul_i32 s6, s2, s10
	v_readfirstlane_b32 s21, v1
	v_cmpx_gt_i32_e64 s6, v0
	s_cbranch_execz .LBB26_18
; %bb.1:
	s_mul_f32 s21, s21, 0x4f7ffffe
	s_xor_b32 s22, ttmp9, s9
	s_sub_co_i32 s23, 0, s3
	s_ashr_i32 s22, s22, 31
	s_cvt_u32_f32 s24, s21
	s_xor_b32 s20, s20, s22
	s_mov_b32 s21, s29
	s_sub_co_i32 s34, s20, s22
	s_mul_i32 s23, s23, s24
	s_abs_i32 s28, s34
	s_mul_hi_u32 s20, s24, s23
	s_mul_i32 s33, s19, s8
	s_add_co_i32 s20, s24, s20
	s_ashr_i32 s19, s34, 31
	s_mul_u64 s[30:31], s[28:29], s[20:21]
	s_mul_i32 s34, s34, s9
	s_mul_i32 s30, s31, s3
	s_load_b256 s[20:27], s[0:1], 0x0
	s_sub_co_i32 s28, s28, s30
	s_sub_co_i32 s30, ttmp9, s34
	s_sub_co_i32 s31, s28, s3
	s_cmp_ge_u32 s28, s3
	s_clause 0x1
	s_load_b64 s[44:45], s[0:1], 0x20
	s_load_b32 s48, s[0:1], 0xec
	s_cselect_b32 s28, s31, s28
	s_mov_b32 s34, s9
	s_sub_co_i32 s31, s28, s3
	s_cmp_ge_u32 s28, s3
	s_mov_b32 s36, s10
	s_cselect_b32 s0, s31, s28
	s_ashr_i32 s35, s9, 31
	s_xor_b32 s0, s0, s19
	s_ashr_i32 s37, s10, 31
	s_sub_co_i32 s46, s0, s19
	s_ashr_i32 s3, s2, 31
	s_ashr_i32 s47, s46, 31
	;; [unrolled: 1-line block ×3, first 2 shown]
	s_mul_u64 s[0:1], s[46:47], s[34:35]
	s_wait_alu 0xfffe
	s_mul_u64 s[34:35], s[2:3], s[36:37]
	s_add_nc_u64 s[0:1], s[0:1], s[30:31]
	s_mul_i32 s28, s30, s11
	s_mul_u64 s[34:35], s[34:35], s[0:1]
	s_ashr_i32 s11, s4, 31
	s_ashr_i32 s31, s5, 31
	;; [unrolled: 1-line block ×3, first 2 shown]
	s_lshl_b64 s[34:35], s[34:35], 2
	s_cmp_lt_i32 s17, 1
	s_wait_kmcnt 0x0
	v_cmp_neq_f64_e64 s49, s[24:25], 1.0
	v_cmp_neq_f64_e64 s0, s[26:27], 0
	s_cselect_b32 s38, -1, 0
	s_sub_co_i32 s15, s28, s15
	s_cmp_gt_i32 s18, 0
	v_cvt_i32_f64_e32 v17, s[24:25]
	v_cvt_i32_f64_e32 v18, s[26:27]
	s_cselect_b32 s39, -1, 0
	s_cmp_gt_i32 s8, 0
	s_add_nc_u64 s[24:25], s[44:45], s[34:35]
	s_cselect_b32 s40, -1, 0
	s_abs_i32 s41, s2
	s_abs_i32 s42, s7
	s_cvt_f32_u32 s9, s41
	s_cvt_f32_u32 s19, s42
	s_sub_co_i32 s28, 0, s41
	s_sub_co_i32 s45, 0, s42
	v_rcp_iflag_f32_e32 v1, s9
	v_rcp_iflag_f32_e32 v2, s19
	s_ashr_i32 s9, s8, 31
	s_ashr_i32 s19, s18, 31
	s_mov_b32 s10, s4
	s_mov_b32 s36, s17
	s_ashr_i32 s37, s17, 31
	s_mov_b32 s30, s5
	s_mov_b32 s43, s7
	s_mul_u64 s[4:5], s[10:11], s[46:47]
	v_readfirstlane_b32 s26, v1
	v_readfirstlane_b32 s27, v2
	s_ashr_i32 s11, s7, 31
	s_and_b32 s44, s48, 0xffff
	s_mov_b32 s47, 0
	s_mul_f32 s26, s26, 0x4f7ffffe
	s_mul_f32 s27, s27, 0x4f7ffffe
	s_wait_alu 0xfffe
	s_delay_alu instid0(SALU_CYCLE_1) | instskip(NEXT) | instid1(SALU_CYCLE_1)
	s_cvt_u32_f32 s34, s26
	s_cvt_u32_f32 s35, s27
	s_mul_u64 s[26:27], s[18:19], s[8:9]
	s_delay_alu instid0(SALU_CYCLE_1) | instskip(NEXT) | instid1(SALU_CYCLE_1)
	s_mul_i32 s28, s28, s34
	s_mul_i32 s45, s45, s35
	s_mul_hi_u32 s19, s34, s28
	s_mul_hi_u32 s28, s35, s45
	s_wait_alu 0xfffe
	s_add_co_i32 s19, s34, s19
	s_or_b32 s45, s49, s0
	s_add_co_i32 s46, s35, s28
	s_mul_u64 s[34:35], s[26:27], s[36:37]
	s_branch .LBB26_3
.LBB26_2:                               ;   in Loop: Header=BB26_3 Depth=1
	v_add_nc_u32_e32 v0, s44, v0
	s_delay_alu instid0(VALU_DEP_2) | instskip(NEXT) | instid1(VALU_DEP_2)
	v_cvt_f32_i32_e32 v3, v5
	v_cmp_le_i32_e32 vcc_lo, s6, v0
	global_store_b32 v[1:2], v3, off
	s_or_b32 s47, vcc_lo, s47
	s_wait_alu 0xfffe
	s_and_not1_b32 exec_lo, exec_lo, s47
	s_cbranch_execz .LBB26_18
.LBB26_3:                               ; =>This Loop Header: Depth=1
                                        ;     Child Loop BB26_8 Depth 2
                                        ;       Child Loop BB26_11 Depth 3
                                        ;         Child Loop BB26_14 Depth 4
	v_sub_nc_u32_e32 v1, 0, v0
	s_mov_b32 s0, -1
	s_delay_alu instid0(VALU_DEP_1) | instskip(SKIP_1) | instid1(VALU_DEP_1)
	v_max_i32_e32 v1, v0, v1
	s_wait_alu 0xfffe
	v_mul_hi_u32 v2, v1, s19
	s_delay_alu instid0(VALU_DEP_1) | instskip(NEXT) | instid1(VALU_DEP_1)
	v_mul_lo_u32 v3, v2, s41
	v_sub_nc_u32_e32 v1, v1, v3
	v_add_nc_u32_e32 v3, 1, v2
	s_delay_alu instid0(VALU_DEP_2) | instskip(SKIP_2) | instid1(VALU_DEP_2)
	v_subrev_nc_u32_e32 v4, s41, v1
	v_cmp_le_u32_e32 vcc_lo, s41, v1
	s_wait_alu 0xfffd
	v_dual_cndmask_b32 v2, v2, v3 :: v_dual_cndmask_b32 v1, v1, v4
	v_ashrrev_i32_e32 v3, 31, v0
	s_delay_alu instid0(VALU_DEP_2) | instskip(NEXT) | instid1(VALU_DEP_3)
	v_add_nc_u32_e32 v4, 1, v2
	v_cmp_le_u32_e32 vcc_lo, s41, v1
	s_delay_alu instid0(VALU_DEP_3) | instskip(SKIP_1) | instid1(VALU_DEP_3)
	v_xor_b32_e32 v3, s3, v3
	s_wait_alu 0xfffd
	v_cndmask_b32_e32 v1, v2, v4, vcc_lo
	s_delay_alu instid0(VALU_DEP_1) | instskip(NEXT) | instid1(VALU_DEP_1)
	v_xor_b32_e32 v1, v1, v3
	v_sub_nc_u32_e32 v19, v1, v3
	s_delay_alu instid0(VALU_DEP_1) | instskip(NEXT) | instid1(VALU_DEP_1)
	v_mul_lo_u32 v1, v19, s2
	v_sub_nc_u32_e32 v6, v0, v1
	s_delay_alu instid0(VALU_DEP_1) | instskip(SKIP_1) | instid1(VALU_DEP_2)
	v_sub_nc_u32_e32 v1, 0, v6
	v_ashrrev_i32_e32 v7, 31, v6
	v_max_i32_e32 v1, v6, v1
	s_delay_alu instid0(VALU_DEP_1) | instskip(NEXT) | instid1(VALU_DEP_1)
	v_mul_hi_u32 v2, v1, s46
	v_mul_lo_u32 v3, v2, s42
	s_delay_alu instid0(VALU_DEP_1) | instskip(SKIP_1) | instid1(VALU_DEP_2)
	v_sub_nc_u32_e32 v1, v1, v3
	v_add_nc_u32_e32 v3, 1, v2
	v_subrev_nc_u32_e32 v4, s42, v1
	v_cmp_le_u32_e32 vcc_lo, s42, v1
	s_wait_alu 0xfffd
	s_delay_alu instid0(VALU_DEP_2) | instskip(SKIP_1) | instid1(VALU_DEP_2)
	v_dual_cndmask_b32 v2, v2, v3 :: v_dual_cndmask_b32 v1, v1, v4
	v_xor_b32_e32 v4, s11, v7
	v_add_nc_u32_e32 v3, 1, v2
	s_delay_alu instid0(VALU_DEP_3) | instskip(SKIP_1) | instid1(VALU_DEP_2)
	v_cmp_le_u32_e32 vcc_lo, s42, v1
	s_wait_alu 0xfffd
	v_cndmask_b32_e32 v1, v2, v3, vcc_lo
	s_and_not1_b32 vcc_lo, exec_lo, s38
	s_delay_alu instid0(VALU_DEP_1) | instskip(NEXT) | instid1(VALU_DEP_1)
	v_xor_b32_e32 v1, v1, v4
	v_sub_nc_u32_e32 v8, v1, v4
                                        ; implicit-def: $vgpr3_vgpr4
	s_delay_alu instid0(VALU_DEP_1) | instskip(NEXT) | instid1(VALU_DEP_1)
	v_mul_lo_u32 v9, v8, s7
	v_sub_nc_u32_e32 v1, v6, v9
	s_delay_alu instid0(VALU_DEP_1)
	v_ashrrev_i32_e32 v2, 31, v1
	s_wait_alu 0xfffe
	s_cbranch_vccnz .LBB26_5
; %bb.4:                                ;   in Loop: Header=BB26_3 Depth=1
	v_mad_co_i64_i32 v[3:4], null, v8, s43, 0
	s_mov_b32 s0, 0
.LBB26_5:                               ;   in Loop: Header=BB26_3 Depth=1
	v_mov_b32_e32 v5, 0
	s_wait_alu 0xfffe
	s_and_not1_b32 vcc_lo, exec_lo, s0
	s_wait_alu 0xfffe
	s_cbranch_vccnz .LBB26_16
; %bb.6:                                ;   in Loop: Header=BB26_3 Depth=1
	v_mad_co_i64_i32 v[3:4], null, v8, s43, 0
	v_ashrrev_i32_e32 v5, 31, v9
	v_mul_lo_u32 v10, v19, s12
	s_mov_b32 s48, 0
	s_mov_b32 s28, s15
	s_delay_alu instid0(VALU_DEP_3) | instskip(SKIP_1) | instid1(VALU_DEP_4)
	v_add_co_u32 v6, vcc_lo, v3, v6
	s_wait_alu 0xfffd
	v_add_co_ci_u32_e64 v7, null, v4, v7, vcc_lo
	s_delay_alu instid0(VALU_DEP_3) | instskip(NEXT) | instid1(VALU_DEP_3)
	v_subrev_nc_u32_e32 v10, s16, v10
	v_sub_co_u32 v6, vcc_lo, v6, v9
	s_wait_alu 0xfffd
	s_delay_alu instid0(VALU_DEP_3) | instskip(SKIP_1) | instid1(VALU_DEP_3)
	v_sub_co_ci_u32_e64 v5, null, v7, v5, vcc_lo
	v_mad_co_i64_i32 v[8:9], null, v8, s8, s[20:21]
	v_mul_lo_u32 v11, s35, v6
	s_delay_alu instid0(VALU_DEP_3) | instskip(SKIP_1) | instid1(VALU_DEP_1)
	v_mul_lo_u32 v5, s34, v5
	v_mad_co_u64_u32 v[6:7], null, s34, v6, s[22:23]
	v_add3_u32 v7, v11, v7, v5
	v_mov_b32_e32 v5, 0
	s_branch .LBB26_8
.LBB26_7:                               ;   in Loop: Header=BB26_8 Depth=2
	s_delay_alu instid0(VALU_DEP_3)
	v_add_co_u32 v6, vcc_lo, v6, s26
	s_wait_alu 0xfffd
	v_add_co_ci_u32_e64 v7, null, s27, v7, vcc_lo
	s_add_co_i32 s48, s48, 1
	s_add_co_i32 s28, s28, s13
	s_wait_alu 0xfffe
	s_cmp_eq_u32 s48, s17
	s_cbranch_scc1 .LBB26_16
.LBB26_8:                               ;   Parent Loop BB26_3 Depth=1
                                        ; =>  This Loop Header: Depth=2
                                        ;       Child Loop BB26_11 Depth 3
                                        ;         Child Loop BB26_14 Depth 4
	s_and_not1_b32 vcc_lo, exec_lo, s39
	s_wait_alu 0xfffe
	s_cbranch_vccnz .LBB26_7
; %bb.9:                                ;   in Loop: Header=BB26_8 Depth=2
	s_mul_i32 s0, s48, s13
	v_dual_mov_b32 v12, v7 :: v_dual_mov_b32 v11, v6
	s_wait_alu 0xfffe
	s_add_co_i32 s0, s0, s15
	v_mov_b32_e32 v20, v10
	s_wait_alu 0xfffe
	s_cmp_lt_i32 s0, 0
	s_add_nc_u64 s[36:37], s[4:5], s[28:29]
	s_cselect_b32 s50, -1, 0
	s_cmp_ge_i32 s0, s10
	s_wait_alu 0xfffe
	s_mul_u64 s[36:37], s[30:31], s[36:37]
	s_cselect_b32 s0, -1, 0
	s_mov_b32 s49, 0
	s_wait_alu 0xfffe
	s_or_b32 s50, s50, s0
	s_branch .LBB26_11
.LBB26_10:                              ;   in Loop: Header=BB26_11 Depth=3
	v_add_co_u32 v11, vcc_lo, v11, s8
	v_add_nc_u32_e32 v20, s14, v20
	s_wait_alu 0xfffd
	v_add_co_ci_u32_e64 v12, null, s9, v12, vcc_lo
	s_add_co_i32 s49, s49, 1
	s_wait_alu 0xfffe
	s_cmp_eq_u32 s49, s18
	s_cbranch_scc1 .LBB26_7
.LBB26_11:                              ;   Parent Loop BB26_3 Depth=1
                                        ;     Parent Loop BB26_8 Depth=2
                                        ; =>    This Loop Header: Depth=3
                                        ;         Child Loop BB26_14 Depth 4
	s_and_not1_b32 vcc_lo, exec_lo, s40
	s_wait_alu 0xfffe
	s_cbranch_vccnz .LBB26_10
; %bb.12:                               ;   in Loop: Header=BB26_11 Depth=3
	v_add_co_u32 v13, s0, s36, v20
	s_wait_alu 0xf1ff
	v_add_co_ci_u32_e64 v14, null, s37, 0, s0
	v_mad_co_u64_u32 v[15:16], null, s49, s14, v[10:11]
	s_delay_alu instid0(VALU_DEP_3) | instskip(NEXT) | instid1(VALU_DEP_3)
	v_mul_lo_u32 v21, s1, v13
	v_mul_lo_u32 v16, s33, v14
	v_mad_co_u64_u32 v[13:14], null, s33, v13, v[8:9]
	s_mov_b32 s51, s8
	v_cmp_gt_i32_e32 vcc_lo, 0, v15
	v_cmp_le_i32_e64 s0, s30, v15
	v_add3_u32 v14, v21, v14, v16
	v_dual_mov_b32 v16, v12 :: v_dual_mov_b32 v15, v11
	s_or_b32 s0, vcc_lo, s0
	s_wait_alu 0xfffe
	s_nor_b32 s0, s50, s0
	s_branch .LBB26_14
.LBB26_13:                              ;   in Loop: Header=BB26_14 Depth=4
	s_or_b32 exec_lo, exec_lo, s52
	v_add_co_u32 v13, vcc_lo, v13, 1
	s_wait_alu 0xfffd
	v_add_co_ci_u32_e64 v14, null, 0, v14, vcc_lo
	v_add_co_u32 v15, vcc_lo, v15, 1
	s_wait_alu 0xfffd
	v_add_co_ci_u32_e64 v16, null, 0, v16, vcc_lo
	s_add_co_i32 s51, s51, -1
	s_delay_alu instid0(SALU_CYCLE_1)
	s_cmp_eq_u32 s51, 0
	s_cbranch_scc1 .LBB26_10
.LBB26_14:                              ;   Parent Loop BB26_3 Depth=1
                                        ;     Parent Loop BB26_8 Depth=2
                                        ;       Parent Loop BB26_11 Depth=3
                                        ; =>      This Inner Loop Header: Depth=4
	s_wait_alu 0xfffe
	s_and_saveexec_b32 s52, s0
	s_cbranch_execz .LBB26_13
; %bb.15:                               ;   in Loop: Header=BB26_14 Depth=4
	global_load_i8 v21, v[13:14], off
	global_load_i8 v22, v[15:16], off
	s_wait_loadcnt 0x0
	v_mad_i32_i24 v5, v22, v21, v5
	s_branch .LBB26_13
.LBB26_16:                              ;   in Loop: Header=BB26_3 Depth=1
	v_mad_co_i64_i32 v[6:7], null, v19, s2, 0
	v_lshlrev_b64_e32 v[3:4], 2, v[3:4]
	v_lshlrev_b64_e32 v[1:2], 2, v[1:2]
	s_delay_alu instid0(VALU_DEP_2) | instskip(NEXT) | instid1(VALU_DEP_4)
	v_add_co_u32 v3, vcc_lo, s24, v3
	v_lshlrev_b64_e32 v[6:7], 2, v[6:7]
	s_wait_alu 0xfffd
	s_delay_alu instid0(VALU_DEP_4) | instskip(NEXT) | instid1(VALU_DEP_2)
	v_add_co_ci_u32_e64 v4, null, s25, v4, vcc_lo
	v_add_co_u32 v3, vcc_lo, v3, v6
	s_wait_alu 0xfffd
	s_delay_alu instid0(VALU_DEP_2) | instskip(NEXT) | instid1(VALU_DEP_2)
	v_add_co_ci_u32_e64 v4, null, v4, v7, vcc_lo
	v_add_co_u32 v1, vcc_lo, v3, v1
	s_wait_alu 0xfffd
	s_delay_alu instid0(VALU_DEP_2)
	v_add_co_ci_u32_e64 v2, null, v4, v2, vcc_lo
	s_and_not1_b32 vcc_lo, exec_lo, s45
	s_wait_alu 0xfffe
	s_cbranch_vccnz .LBB26_2
; %bb.17:                               ;   in Loop: Header=BB26_3 Depth=1
	global_load_b32 v4, v[1:2], off
	v_mul_lo_u32 v3, v5, v17
	s_wait_loadcnt 0x0
	v_cvt_i32_f32_e32 v4, v4
	s_delay_alu instid0(VALU_DEP_1)
	v_mad_co_u64_u32 v[5:6], null, v4, v18, v[3:4]
	s_branch .LBB26_2
.LBB26_18:
	s_endpgm
	.section	.rodata,"a",@progbits
	.p2align	6, 0x0
	.amdhsa_kernel naive_conv_ab_packed_fwd_nhwc_int8_t_int32_t_float_0
		.amdhsa_group_segment_fixed_size 0
		.amdhsa_private_segment_fixed_size 0
		.amdhsa_kernarg_size 480
		.amdhsa_user_sgpr_count 2
		.amdhsa_user_sgpr_dispatch_ptr 0
		.amdhsa_user_sgpr_queue_ptr 0
		.amdhsa_user_sgpr_kernarg_segment_ptr 1
		.amdhsa_user_sgpr_dispatch_id 0
		.amdhsa_user_sgpr_private_segment_size 0
		.amdhsa_wavefront_size32 1
		.amdhsa_uses_dynamic_stack 0
		.amdhsa_enable_private_segment 0
		.amdhsa_system_sgpr_workgroup_id_x 1
		.amdhsa_system_sgpr_workgroup_id_y 0
		.amdhsa_system_sgpr_workgroup_id_z 0
		.amdhsa_system_sgpr_workgroup_info 0
		.amdhsa_system_vgpr_workitem_id 0
		.amdhsa_next_free_vgpr 23
		.amdhsa_next_free_sgpr 53
		.amdhsa_reserve_vcc 1
		.amdhsa_float_round_mode_32 0
		.amdhsa_float_round_mode_16_64 0
		.amdhsa_float_denorm_mode_32 3
		.amdhsa_float_denorm_mode_16_64 3
		.amdhsa_fp16_overflow 0
		.amdhsa_workgroup_processor_mode 1
		.amdhsa_memory_ordered 1
		.amdhsa_forward_progress 1
		.amdhsa_inst_pref_size 14
		.amdhsa_round_robin_scheduling 0
		.amdhsa_exception_fp_ieee_invalid_op 0
		.amdhsa_exception_fp_denorm_src 0
		.amdhsa_exception_fp_ieee_div_zero 0
		.amdhsa_exception_fp_ieee_overflow 0
		.amdhsa_exception_fp_ieee_underflow 0
		.amdhsa_exception_fp_ieee_inexact 0
		.amdhsa_exception_int_div_zero 0
	.end_amdhsa_kernel
	.text
.Lfunc_end26:
	.size	naive_conv_ab_packed_fwd_nhwc_int8_t_int32_t_float_0, .Lfunc_end26-naive_conv_ab_packed_fwd_nhwc_int8_t_int32_t_float_0
                                        ; -- End function
	.set naive_conv_ab_packed_fwd_nhwc_int8_t_int32_t_float_0.num_vgpr, 23
	.set naive_conv_ab_packed_fwd_nhwc_int8_t_int32_t_float_0.num_agpr, 0
	.set naive_conv_ab_packed_fwd_nhwc_int8_t_int32_t_float_0.numbered_sgpr, 53
	.set naive_conv_ab_packed_fwd_nhwc_int8_t_int32_t_float_0.num_named_barrier, 0
	.set naive_conv_ab_packed_fwd_nhwc_int8_t_int32_t_float_0.private_seg_size, 0
	.set naive_conv_ab_packed_fwd_nhwc_int8_t_int32_t_float_0.uses_vcc, 1
	.set naive_conv_ab_packed_fwd_nhwc_int8_t_int32_t_float_0.uses_flat_scratch, 0
	.set naive_conv_ab_packed_fwd_nhwc_int8_t_int32_t_float_0.has_dyn_sized_stack, 0
	.set naive_conv_ab_packed_fwd_nhwc_int8_t_int32_t_float_0.has_recursion, 0
	.set naive_conv_ab_packed_fwd_nhwc_int8_t_int32_t_float_0.has_indirect_call, 0
	.section	.AMDGPU.csdata,"",@progbits
; Kernel info:
; codeLenInByte = 1676
; TotalNumSgprs: 55
; NumVgprs: 23
; ScratchSize: 0
; MemoryBound: 0
; FloatMode: 240
; IeeeMode: 1
; LDSByteSize: 0 bytes/workgroup (compile time only)
; SGPRBlocks: 0
; VGPRBlocks: 2
; NumSGPRsForWavesPerEU: 55
; NumVGPRsForWavesPerEU: 23
; Occupancy: 16
; WaveLimiterHint : 0
; COMPUTE_PGM_RSRC2:SCRATCH_EN: 0
; COMPUTE_PGM_RSRC2:USER_SGPR: 2
; COMPUTE_PGM_RSRC2:TRAP_HANDLER: 0
; COMPUTE_PGM_RSRC2:TGID_X_EN: 1
; COMPUTE_PGM_RSRC2:TGID_Y_EN: 0
; COMPUTE_PGM_RSRC2:TGID_Z_EN: 0
; COMPUTE_PGM_RSRC2:TIDIG_COMP_CNT: 0
	.text
	.protected	naive_conv_ab_nonpacked_fwd_nhwc_int8_t_int32_t_float_0 ; -- Begin function naive_conv_ab_nonpacked_fwd_nhwc_int8_t_int32_t_float_0
	.globl	naive_conv_ab_nonpacked_fwd_nhwc_int8_t_int32_t_float_0
	.p2align	8
	.type	naive_conv_ab_nonpacked_fwd_nhwc_int8_t_int32_t_float_0,@function
naive_conv_ab_nonpacked_fwd_nhwc_int8_t_int32_t_float_0: ; @naive_conv_ab_nonpacked_fwd_nhwc_int8_t_int32_t_float_0
; %bb.0:
	s_load_b512 s[4:19], s[0:1], 0xa0
	s_abs_i32 s21, ttmp9
	s_wait_kmcnt 0x0
	s_abs_i32 s2, s9
	s_delay_alu instid0(SALU_CYCLE_1) | instskip(SKIP_1) | instid1(SALU_CYCLE_2)
	s_cvt_f32_u32 s3, s2
	s_sub_co_i32 s20, 0, s2
	v_rcp_iflag_f32_e32 v1, s3
	s_delay_alu instid0(TRANS32_DEP_1) | instskip(SKIP_2) | instid1(SALU_CYCLE_2)
	v_readfirstlane_b32 s3, v1
	s_mul_f32 s3, s3, 0x4f7ffffe
	s_wait_alu 0xfffe
	s_cvt_u32_f32 s3, s3
	s_wait_alu 0xfffe
	s_delay_alu instid0(SALU_CYCLE_2) | instskip(NEXT) | instid1(SALU_CYCLE_1)
	s_mul_i32 s20, s20, s3
	s_mul_hi_u32 s20, s3, s20
	s_delay_alu instid0(SALU_CYCLE_1) | instskip(SKIP_4) | instid1(SALU_CYCLE_1)
	s_add_co_i32 s3, s3, s20
	s_wait_alu 0xfffe
	s_mul_hi_u32 s3, s21, s3
	s_wait_alu 0xfffe
	s_mul_i32 s20, s3, s2
	s_sub_co_i32 s20, s21, s20
	s_add_co_i32 s21, s3, 1
	s_sub_co_i32 s22, s20, s2
	s_cmp_ge_u32 s20, s2
	s_cselect_b32 s3, s21, s3
	s_cselect_b32 s20, s22, s20
	s_wait_alu 0xfffe
	s_add_co_i32 s21, s3, 1
	s_cmp_ge_u32 s20, s2
	s_mov_b32 s20, exec_lo
	s_cselect_b32 s2, s21, s3
	s_abs_i32 s28, s6
	s_mul_i32 s6, s19, s7
	s_cvt_f32_u32 s3, s28
	s_mul_i32 s19, s6, s10
	s_wait_alu 0xfffe
	s_delay_alu instid0(SALU_CYCLE_1) | instskip(SKIP_1) | instid1(TRANS32_DEP_1)
	v_rcp_iflag_f32_e32 v1, s3
	s_mov_b32 s3, 0
	v_readfirstlane_b32 s10, v1
	v_cmpx_gt_i32_e64 s19, v0
	s_cbranch_execz .LBB27_18
; %bb.1:
	s_mul_f32 s10, s10, 0x4f7ffffe
	s_xor_b32 s29, ttmp9, s9
	s_sub_co_i32 s30, 0, s28
	s_ashr_i32 s29, s29, 31
	s_cvt_u32_f32 s10, s10
	s_xor_b32 s2, s2, s29
	s_wait_alu 0xfffe
	s_mov_b32 s31, s3
	s_sub_co_i32 s29, s2, s29
	s_mul_i32 s30, s30, s10
	s_abs_i32 s2, s29
	s_mul_hi_u32 s30, s10, s30
	s_clause 0x1
	s_load_b64 s[34:35], s[0:1], 0x98
	s_load_b128 s[52:55], s[0:1], 0x88
	s_add_co_i32 s30, s10, s30
	s_ashr_i32 s10, s29, 31
	s_mul_u64 s[30:31], s[2:3], s[30:31]
	s_mul_i32 s29, s29, s9
	s_mul_i32 s30, s31, s28
	s_load_b256 s[20:27], s[0:1], 0x0
	s_sub_co_i32 s2, s2, s30
	s_sub_co_i32 s30, ttmp9, s29
	s_wait_alu 0xfffe
	s_sub_co_i32 s9, s2, s28
	s_cmp_ge_u32 s2, s28
	s_load_b64 s[56:57], s[0:1], 0x20
	s_cselect_b32 s2, s9, s2
	s_load_b512 s[36:51], s[0:1], 0x28
	s_sub_co_i32 s9, s2, s28
	s_cmp_ge_u32 s2, s28
	s_load_b32 s62, s[0:1], 0xec
	s_cselect_b32 s2, s9, s2
	s_ashr_i32 s31, s30, 31
	s_wait_alu 0xfffe
	s_xor_b32 s2, s2, s10
	s_wait_kmcnt 0x0
	s_mul_u64 s[28:29], s[54:55], s[30:31]
	s_wait_alu 0xfffe
	s_sub_co_i32 s58, s2, s10
	s_lshl_b64 s[54:55], s[28:29], 2
	s_ashr_i32 s59, s58, 31
	s_mul_i32 s9, s30, s11
	s_mul_u64 s[34:35], s[34:35], s[58:59]
	v_cmp_neq_f64_e64 s63, s[24:25], 1.0
	s_lshl_b64 s[60:61], s[34:35], 2
	s_cmp_lt_i32 s17, 1
	v_cmp_neq_f64_e64 s64, s[26:27], 0
	s_cselect_b32 s2, -1, 0
	s_sub_co_i32 s9, s9, s15
	s_cmp_gt_i32 s18, 0
	v_cvt_i32_f64_e32 v15, s[24:25]
	v_cvt_i32_f64_e32 v16, s[26:27]
	s_cselect_b32 s15, -1, 0
	s_cmp_gt_i32 s8, 0
	s_load_b256 s[24:31], s[0:1], 0x68
	s_cselect_b32 s33, -1, 0
	s_abs_i32 s34, s6
	s_abs_i32 s35, s7
	s_cvt_f32_u32 s10, s34
	s_cvt_f32_u32 s11, s35
	s_add_nc_u64 s[0:1], s[56:57], s[60:61]
	s_sub_co_i32 s57, 0, s35
	v_rcp_iflag_f32_e32 v1, s10
	v_rcp_iflag_f32_e32 v2, s11
	s_add_nc_u64 s[10:11], s[0:1], s[54:55]
	s_sub_co_i32 s55, 0, s34
	s_mul_u64 s[58:59], s[44:45], s[58:59]
	s_and_b32 s1, s62, 0xffff
	s_ashr_i32 s44, s6, 31
	s_ashr_i32 s45, s7, 31
	s_add_nc_u64 s[20:21], s[20:21], s[58:59]
	s_delay_alu instid0(TRANS32_DEP_2) | instskip(NEXT) | instid1(TRANS32_DEP_1)
	v_readfirstlane_b32 s0, v1
	v_readfirstlane_b32 s54, v2
	s_mul_f32 s0, s0, 0x4f7ffffe
	s_mul_f32 s54, s54, 0x4f7ffffe
	s_delay_alu instid0(SALU_CYCLE_2) | instskip(NEXT) | instid1(SALU_CYCLE_2)
	s_cvt_u32_f32 s0, s0
	s_cvt_u32_f32 s56, s54
	s_or_b32 s54, s63, s64
	s_delay_alu instid0(SALU_CYCLE_1) | instskip(NEXT) | instid1(SALU_CYCLE_1)
	s_mul_i32 s55, s55, s0
	s_mul_i32 s57, s57, s56
	s_mul_hi_u32 s55, s0, s55
	s_mul_hi_u32 s57, s56, s57
	s_add_co_i32 s55, s0, s55
	s_add_co_i32 s56, s56, s57
	s_branch .LBB27_3
.LBB27_2:                               ;   in Loop: Header=BB27_3 Depth=1
	v_add_nc_u32_e32 v0, s1, v0
	s_delay_alu instid0(VALU_DEP_2) | instskip(NEXT) | instid1(VALU_DEP_2)
	v_cvt_f32_i32_e32 v1, v1
	v_cmp_le_i32_e32 vcc_lo, s19, v0
	global_store_b32 v[3:4], v1, off
	s_or_b32 s3, vcc_lo, s3
	s_wait_alu 0xfffe
	s_and_not1_b32 exec_lo, exec_lo, s3
	s_cbranch_execz .LBB27_18
.LBB27_3:                               ; =>This Loop Header: Depth=1
                                        ;     Child Loop BB27_8 Depth 2
                                        ;       Child Loop BB27_11 Depth 3
                                        ;         Child Loop BB27_14 Depth 4
	v_sub_nc_u32_e32 v1, 0, v0
	s_mov_b32 s0, -1
	s_delay_alu instid0(VALU_DEP_1) | instskip(NEXT) | instid1(VALU_DEP_1)
	v_max_i32_e32 v1, v0, v1
	v_mul_hi_u32 v2, v1, s55
	s_delay_alu instid0(VALU_DEP_1) | instskip(NEXT) | instid1(VALU_DEP_1)
	v_mul_lo_u32 v3, v2, s34
	v_sub_nc_u32_e32 v1, v1, v3
	v_add_nc_u32_e32 v3, 1, v2
	s_delay_alu instid0(VALU_DEP_2) | instskip(SKIP_2) | instid1(VALU_DEP_2)
	v_subrev_nc_u32_e32 v4, s34, v1
	v_cmp_le_u32_e32 vcc_lo, s34, v1
	s_wait_alu 0xfffd
	v_dual_cndmask_b32 v2, v2, v3 :: v_dual_cndmask_b32 v1, v1, v4
	v_ashrrev_i32_e32 v3, 31, v0
	s_delay_alu instid0(VALU_DEP_2) | instskip(NEXT) | instid1(VALU_DEP_3)
	v_add_nc_u32_e32 v4, 1, v2
	v_cmp_le_u32_e32 vcc_lo, s34, v1
	s_delay_alu instid0(VALU_DEP_3) | instskip(SKIP_1) | instid1(VALU_DEP_3)
	v_xor_b32_e32 v3, s44, v3
	s_wait_alu 0xfffd
	v_cndmask_b32_e32 v1, v2, v4, vcc_lo
	s_delay_alu instid0(VALU_DEP_1) | instskip(NEXT) | instid1(VALU_DEP_1)
	v_xor_b32_e32 v1, v1, v3
	v_sub_nc_u32_e32 v17, v1, v3
	s_delay_alu instid0(VALU_DEP_1) | instskip(NEXT) | instid1(VALU_DEP_1)
	v_mul_lo_u32 v1, v17, s6
	v_sub_nc_u32_e32 v2, v0, v1
	s_delay_alu instid0(VALU_DEP_1) | instskip(NEXT) | instid1(VALU_DEP_1)
	v_sub_nc_u32_e32 v1, 0, v2
	v_max_i32_e32 v1, v2, v1
	s_delay_alu instid0(VALU_DEP_1) | instskip(NEXT) | instid1(VALU_DEP_1)
	v_mul_hi_u32 v3, v1, s56
	v_mul_lo_u32 v4, v3, s35
	s_delay_alu instid0(VALU_DEP_1) | instskip(SKIP_1) | instid1(VALU_DEP_2)
	v_sub_nc_u32_e32 v1, v1, v4
	v_add_nc_u32_e32 v4, 1, v3
	v_subrev_nc_u32_e32 v5, s35, v1
	v_cmp_le_u32_e32 vcc_lo, s35, v1
	s_wait_alu 0xfffd
	s_delay_alu instid0(VALU_DEP_2) | instskip(SKIP_1) | instid1(VALU_DEP_2)
	v_dual_cndmask_b32 v4, v3, v4 :: v_dual_cndmask_b32 v1, v1, v5
	v_ashrrev_i32_e32 v3, 31, v2
	v_add_nc_u32_e32 v5, 1, v4
	s_delay_alu instid0(VALU_DEP_3) | instskip(NEXT) | instid1(VALU_DEP_3)
	v_cmp_le_u32_e32 vcc_lo, s35, v1
	v_xor_b32_e32 v6, s45, v3
	s_wait_alu 0xfffd
	s_delay_alu instid0(VALU_DEP_3) | instskip(SKIP_1) | instid1(VALU_DEP_1)
	v_cndmask_b32_e32 v1, v4, v5, vcc_lo
	s_and_not1_b32 vcc_lo, exec_lo, s2
	v_xor_b32_e32 v1, v1, v6
	s_delay_alu instid0(VALU_DEP_1) | instskip(NEXT) | instid1(VALU_DEP_1)
	v_sub_nc_u32_e32 v20, v1, v6
	v_mul_lo_u32 v4, v20, s7
	v_ashrrev_i32_e32 v21, 31, v20
	s_delay_alu instid0(VALU_DEP_2) | instskip(NEXT) | instid1(VALU_DEP_1)
	v_sub_nc_u32_e32 v18, v2, v4
	v_ashrrev_i32_e32 v19, 31, v18
	s_wait_alu 0xfffe
	s_cbranch_vccnz .LBB27_5
; %bb.4:                                ;   in Loop: Header=BB27_3 Depth=1
	s_mov_b32 s0, 0
.LBB27_5:                               ;   in Loop: Header=BB27_3 Depth=1
	v_mov_b32_e32 v1, 0
	s_wait_alu 0xfffe
	s_and_not1_b32 vcc_lo, exec_lo, s0
	s_wait_alu 0xfffe
	s_cbranch_vccnz .LBB27_16
; %bb.6:                                ;   in Loop: Header=BB27_3 Depth=1
	s_wait_kmcnt 0x0
	v_mul_lo_u32 v1, s27, v20
	v_mul_lo_u32 v7, s26, v21
	v_mad_co_u64_u32 v[5:6], null, s26, v20, 0
	v_ashrrev_i32_e32 v8, 31, v4
	v_sub_co_u32 v2, vcc_lo, v2, v4
	v_mul_lo_u32 v9, s39, v20
	v_mul_lo_u32 v10, s38, v21
	s_wait_alu 0xfffd
	v_sub_co_ci_u32_e64 v3, null, v3, v8, vcc_lo
	v_add3_u32 v6, v6, v7, v1
	v_mul_lo_u32 v1, v17, s12
	v_mul_lo_u32 v8, s25, v2
	s_delay_alu instid0(VALU_DEP_4)
	v_mul_lo_u32 v7, s24, v3
	s_mov_b32 s57, 0
	v_mad_co_u64_u32 v[5:6], null, s24, v2, v[5:6]
	v_mad_co_u64_u32 v[2:3], null, s38, v20, s[20:21]
	v_subrev_nc_u32_e32 v4, s16, v1
	s_mov_b32 s58, s9
	s_delay_alu instid0(VALU_DEP_3) | instskip(NEXT) | instid1(VALU_DEP_4)
	v_add3_u32 v1, v8, v6, v7
	v_add_co_u32 v5, vcc_lo, s22, v5
	s_delay_alu instid0(VALU_DEP_4) | instskip(SKIP_1) | instid1(VALU_DEP_3)
	v_add3_u32 v3, v9, v3, v10
	s_wait_alu 0xfffd
	v_add_co_ci_u32_e64 v6, null, s23, v1, vcc_lo
	v_mov_b32_e32 v1, 0
	s_branch .LBB27_8
.LBB27_7:                               ;   in Loop: Header=BB27_8 Depth=2
	v_add_co_u32 v5, vcc_lo, v5, s50
	s_wait_alu 0xfffd
	v_add_co_ci_u32_e64 v6, null, s51, v6, vcc_lo
	s_add_co_i32 s57, s57, 1
	s_add_co_i32 s58, s58, s13
	s_wait_alu 0xfffe
	s_cmp_eq_u32 s57, s17
	s_cbranch_scc1 .LBB27_16
.LBB27_8:                               ;   Parent Loop BB27_3 Depth=1
                                        ; =>  This Loop Header: Depth=2
                                        ;       Child Loop BB27_11 Depth 3
                                        ;         Child Loop BB27_14 Depth 4
	s_and_not1_b32 vcc_lo, exec_lo, s15
	s_wait_alu 0xfffe
	s_cbranch_vccnz .LBB27_7
; %bb.9:                                ;   in Loop: Header=BB27_8 Depth=2
	v_mad_co_u64_u32 v[7:8], null, s42, s58, v[2:3]
	s_mul_i32 s0, s57, s13
	v_mov_b32_e32 v22, v4
	s_wait_alu 0xfffe
	s_add_co_i32 s0, s0, s9
	s_mov_b32 s59, 0
	s_wait_alu 0xfffe
	s_cmp_lt_i32 s0, 0
	s_cselect_b32 s60, -1, 0
	v_mad_co_u64_u32 v[8:9], null, s43, s58, v[8:9]
	s_cmp_ge_i32 s0, s4
	v_dual_mov_b32 v10, v6 :: v_dual_mov_b32 v9, v5
	s_cselect_b32 s0, -1, 0
	s_wait_alu 0xfffe
	s_or_b32 s60, s60, s0
	s_branch .LBB27_11
.LBB27_10:                              ;   in Loop: Header=BB27_11 Depth=3
	v_add_co_u32 v9, vcc_lo, v9, s48
	s_wait_alu 0xfffd
	v_add_co_ci_u32_e64 v10, null, s49, v10, vcc_lo
	v_add_nc_u32_e32 v22, s14, v22
	s_add_co_i32 s59, s59, 1
	s_wait_alu 0xfffe
	s_cmp_eq_u32 s59, s18
	s_cbranch_scc1 .LBB27_7
.LBB27_11:                              ;   Parent Loop BB27_3 Depth=1
                                        ;     Parent Loop BB27_8 Depth=2
                                        ; =>    This Loop Header: Depth=3
                                        ;         Child Loop BB27_14 Depth 4
	s_and_not1_b32 vcc_lo, exec_lo, s33
	s_wait_alu 0xfffe
	s_cbranch_vccnz .LBB27_10
; %bb.12:                               ;   in Loop: Header=BB27_11 Depth=3
	v_mad_co_u64_u32 v[11:12], null, s40, v22, v[7:8]
	v_mad_co_u64_u32 v[13:14], null, s59, s14, v[4:5]
	s_mov_b32 s61, s8
	v_mad_co_u64_u32 v[23:24], null, s41, v22, v[12:13]
	v_cmp_gt_i32_e32 vcc_lo, 0, v13
	v_cmp_le_i32_e64 s0, s5, v13
	v_dual_mov_b32 v14, v10 :: v_dual_mov_b32 v13, v9
	s_delay_alu instid0(VALU_DEP_4)
	v_mov_b32_e32 v12, v23
	s_or_b32 s0, vcc_lo, s0
	s_wait_alu 0xfffe
	s_nor_b32 s0, s60, s0
	s_branch .LBB27_14
.LBB27_13:                              ;   in Loop: Header=BB27_14 Depth=4
	s_or_b32 exec_lo, exec_lo, s62
	v_add_co_u32 v13, vcc_lo, v13, s46
	s_wait_alu 0xfffd
	v_add_co_ci_u32_e64 v14, null, s47, v14, vcc_lo
	v_add_co_u32 v11, vcc_lo, v11, s36
	s_wait_alu 0xfffd
	v_add_co_ci_u32_e64 v12, null, s37, v12, vcc_lo
	s_add_co_i32 s61, s61, -1
	s_delay_alu instid0(SALU_CYCLE_1)
	s_cmp_eq_u32 s61, 0
	s_cbranch_scc1 .LBB27_10
.LBB27_14:                              ;   Parent Loop BB27_3 Depth=1
                                        ;     Parent Loop BB27_8 Depth=2
                                        ;       Parent Loop BB27_11 Depth=3
                                        ; =>      This Inner Loop Header: Depth=4
	s_wait_alu 0xfffe
	s_and_saveexec_b32 s62, s0
	s_cbranch_execz .LBB27_13
; %bb.15:                               ;   in Loop: Header=BB27_14 Depth=4
	global_load_i8 v23, v[11:12], off
	global_load_i8 v24, v[13:14], off
	s_wait_loadcnt 0x0
	v_mad_i32_i24 v1, v24, v23, v1
	s_branch .LBB27_13
.LBB27_16:                              ;   in Loop: Header=BB27_3 Depth=1
	v_ashrrev_i32_e32 v4, 31, v17
	s_wait_kmcnt 0x0
	v_mul_lo_u32 v6, v21, s30
	v_mul_lo_u32 v7, v20, s31
	v_mad_co_u64_u32 v[2:3], null, v20, s30, 0
	v_mul_lo_u32 v8, s53, v17
	v_mul_lo_u32 v9, s52, v4
	v_mad_co_u64_u32 v[4:5], null, s52, v17, 0
	v_mul_lo_u32 v10, v19, s28
	v_mul_lo_u32 v11, v18, s29
	v_add3_u32 v3, v3, v7, v6
	v_mad_co_u64_u32 v[6:7], null, v18, s28, 0
	v_add3_u32 v5, v5, v9, v8
	s_delay_alu instid0(VALU_DEP_3) | instskip(NEXT) | instid1(VALU_DEP_3)
	v_lshlrev_b64_e32 v[2:3], 2, v[2:3]
	v_add3_u32 v7, v7, v11, v10
	s_delay_alu instid0(VALU_DEP_3) | instskip(NEXT) | instid1(VALU_DEP_3)
	v_lshlrev_b64_e32 v[4:5], 2, v[4:5]
	v_add_co_u32 v2, vcc_lo, s10, v2
	s_wait_alu 0xfffd
	s_delay_alu instid0(VALU_DEP_4) | instskip(SKIP_1) | instid1(VALU_DEP_3)
	v_add_co_ci_u32_e64 v3, null, s11, v3, vcc_lo
	v_lshlrev_b64_e32 v[6:7], 2, v[6:7]
	v_add_co_u32 v2, vcc_lo, v2, v4
	s_wait_alu 0xfffd
	s_delay_alu instid0(VALU_DEP_3) | instskip(NEXT) | instid1(VALU_DEP_2)
	v_add_co_ci_u32_e64 v4, null, v3, v5, vcc_lo
	v_add_co_u32 v3, vcc_lo, v2, v6
	s_wait_alu 0xfffd
	s_delay_alu instid0(VALU_DEP_2)
	v_add_co_ci_u32_e64 v4, null, v4, v7, vcc_lo
	s_and_not1_b32 vcc_lo, exec_lo, s54
	s_wait_alu 0xfffe
	s_cbranch_vccnz .LBB27_2
; %bb.17:                               ;   in Loop: Header=BB27_3 Depth=1
	global_load_b32 v2, v[3:4], off
	v_mul_lo_u32 v1, v1, v15
	s_wait_loadcnt 0x0
	v_cvt_i32_f32_e32 v2, v2
	s_delay_alu instid0(VALU_DEP_1)
	v_mad_co_u64_u32 v[1:2], null, v2, v16, v[1:2]
	s_branch .LBB27_2
.LBB27_18:
	s_endpgm
	.section	.rodata,"a",@progbits
	.p2align	6, 0x0
	.amdhsa_kernel naive_conv_ab_nonpacked_fwd_nhwc_int8_t_int32_t_float_0
		.amdhsa_group_segment_fixed_size 0
		.amdhsa_private_segment_fixed_size 0
		.amdhsa_kernarg_size 480
		.amdhsa_user_sgpr_count 2
		.amdhsa_user_sgpr_dispatch_ptr 0
		.amdhsa_user_sgpr_queue_ptr 0
		.amdhsa_user_sgpr_kernarg_segment_ptr 1
		.amdhsa_user_sgpr_dispatch_id 0
		.amdhsa_user_sgpr_private_segment_size 0
		.amdhsa_wavefront_size32 1
		.amdhsa_uses_dynamic_stack 0
		.amdhsa_enable_private_segment 0
		.amdhsa_system_sgpr_workgroup_id_x 1
		.amdhsa_system_sgpr_workgroup_id_y 0
		.amdhsa_system_sgpr_workgroup_id_z 0
		.amdhsa_system_sgpr_workgroup_info 0
		.amdhsa_system_vgpr_workitem_id 0
		.amdhsa_next_free_vgpr 25
		.amdhsa_next_free_sgpr 65
		.amdhsa_reserve_vcc 1
		.amdhsa_float_round_mode_32 0
		.amdhsa_float_round_mode_16_64 0
		.amdhsa_float_denorm_mode_32 3
		.amdhsa_float_denorm_mode_16_64 3
		.amdhsa_fp16_overflow 0
		.amdhsa_workgroup_processor_mode 1
		.amdhsa_memory_ordered 1
		.amdhsa_forward_progress 1
		.amdhsa_inst_pref_size 14
		.amdhsa_round_robin_scheduling 0
		.amdhsa_exception_fp_ieee_invalid_op 0
		.amdhsa_exception_fp_denorm_src 0
		.amdhsa_exception_fp_ieee_div_zero 0
		.amdhsa_exception_fp_ieee_overflow 0
		.amdhsa_exception_fp_ieee_underflow 0
		.amdhsa_exception_fp_ieee_inexact 0
		.amdhsa_exception_int_div_zero 0
	.end_amdhsa_kernel
	.text
.Lfunc_end27:
	.size	naive_conv_ab_nonpacked_fwd_nhwc_int8_t_int32_t_float_0, .Lfunc_end27-naive_conv_ab_nonpacked_fwd_nhwc_int8_t_int32_t_float_0
                                        ; -- End function
	.set naive_conv_ab_nonpacked_fwd_nhwc_int8_t_int32_t_float_0.num_vgpr, 25
	.set naive_conv_ab_nonpacked_fwd_nhwc_int8_t_int32_t_float_0.num_agpr, 0
	.set naive_conv_ab_nonpacked_fwd_nhwc_int8_t_int32_t_float_0.numbered_sgpr, 65
	.set naive_conv_ab_nonpacked_fwd_nhwc_int8_t_int32_t_float_0.num_named_barrier, 0
	.set naive_conv_ab_nonpacked_fwd_nhwc_int8_t_int32_t_float_0.private_seg_size, 0
	.set naive_conv_ab_nonpacked_fwd_nhwc_int8_t_int32_t_float_0.uses_vcc, 1
	.set naive_conv_ab_nonpacked_fwd_nhwc_int8_t_int32_t_float_0.uses_flat_scratch, 0
	.set naive_conv_ab_nonpacked_fwd_nhwc_int8_t_int32_t_float_0.has_dyn_sized_stack, 0
	.set naive_conv_ab_nonpacked_fwd_nhwc_int8_t_int32_t_float_0.has_recursion, 0
	.set naive_conv_ab_nonpacked_fwd_nhwc_int8_t_int32_t_float_0.has_indirect_call, 0
	.section	.AMDGPU.csdata,"",@progbits
; Kernel info:
; codeLenInByte = 1748
; TotalNumSgprs: 67
; NumVgprs: 25
; ScratchSize: 0
; MemoryBound: 0
; FloatMode: 240
; IeeeMode: 1
; LDSByteSize: 0 bytes/workgroup (compile time only)
; SGPRBlocks: 0
; VGPRBlocks: 3
; NumSGPRsForWavesPerEU: 67
; NumVGPRsForWavesPerEU: 25
; Occupancy: 16
; WaveLimiterHint : 0
; COMPUTE_PGM_RSRC2:SCRATCH_EN: 0
; COMPUTE_PGM_RSRC2:USER_SGPR: 2
; COMPUTE_PGM_RSRC2:TRAP_HANDLER: 0
; COMPUTE_PGM_RSRC2:TGID_X_EN: 1
; COMPUTE_PGM_RSRC2:TGID_Y_EN: 0
; COMPUTE_PGM_RSRC2:TGID_Z_EN: 0
; COMPUTE_PGM_RSRC2:TIDIG_COMP_CNT: 0
	.text
	.protected	naive_conv_ab_packed_bwd_nchw_float_double_float_0 ; -- Begin function naive_conv_ab_packed_bwd_nchw_float_double_float_0
	.globl	naive_conv_ab_packed_bwd_nchw_float_double_float_0
	.p2align	8
	.type	naive_conv_ab_packed_bwd_nchw_float_double_float_0,@function
naive_conv_ab_packed_bwd_nchw_float_double_float_0: ; @naive_conv_ab_packed_bwd_nchw_float_double_float_0
; %bb.0:
	s_load_b512 s[4:19], s[0:1], 0xa0
	s_mov_b32 s26, exec_lo
	s_wait_kmcnt 0x0
	s_abs_i32 s3, s8
	s_delay_alu instid0(SALU_CYCLE_1) | instskip(NEXT) | instid1(SALU_CYCLE_3)
	s_cvt_f32_u32 s2, s3
	v_rcp_iflag_f32_e32 v1, s2
	s_delay_alu instid0(TRANS32_DEP_1) | instskip(SKIP_2) | instid1(SALU_CYCLE_2)
	v_readfirstlane_b32 s2, v1
	s_mul_f32 s2, s2, 0x4f7ffffe
	s_wait_alu 0xfffe
	s_cvt_u32_f32 s20, s2
	s_sub_co_i32 s2, 0, s3
	s_wait_alu 0xfffe
	s_delay_alu instid0(SALU_CYCLE_1)
	s_mul_i32 s2, s2, s20
	s_wait_alu 0xfffe
	s_mul_hi_u32 s21, s20, s2
	s_abs_i32 s2, ttmp9
	s_add_co_i32 s20, s20, s21
	s_wait_alu 0xfffe
	s_mul_hi_u32 s20, s2, s20
	s_delay_alu instid0(SALU_CYCLE_1) | instskip(SKIP_2) | instid1(SALU_CYCLE_1)
	s_mul_i32 s21, s20, s3
	s_add_co_i32 s22, s20, 1
	s_sub_co_i32 s21, s2, s21
	s_sub_co_i32 s23, s21, s3
	s_cmp_ge_u32 s21, s3
	s_cselect_b32 s20, s22, s20
	s_cselect_b32 s21, s23, s21
	s_add_co_i32 s23, s20, 1
	s_cmp_ge_u32 s21, s3
	s_mul_i32 s22, s8, s6
	s_cselect_b32 s23, s23, s20
	s_abs_i32 s21, s6
	s_abs_i32 s20, s22
	s_cvt_f32_u32 s3, s21
	s_cvt_f32_u32 s6, s20
	s_wait_alu 0xfffe
	s_delay_alu instid0(SALU_CYCLE_1) | instskip(NEXT) | instid1(SALU_CYCLE_1)
	v_rcp_iflag_f32_e32 v1, s3
	v_rcp_iflag_f32_e32 v2, s6
	s_mul_i32 s6, s5, s4
	s_mov_b32 s3, 0
	s_delay_alu instid0(TRANS32_DEP_2) | instskip(NEXT) | instid1(TRANS32_DEP_1)
	v_readfirstlane_b32 s25, v1
	v_readfirstlane_b32 s24, v2
	s_wait_alu 0xfffe
	v_cmpx_gt_i32_e64 s6, v0
	s_cbranch_execz .LBB28_29
; %bb.1:
	s_mul_f32 s25, s25, 0x4f7ffffe
	s_ashr_i32 s28, ttmp9, 31
	s_ashr_i32 s37, s8, 31
	s_mul_f32 s29, s24, 0x4f7ffffe
	s_cvt_u32_f32 s25, s25
	s_sub_co_i32 s26, 0, s21
	s_xor_b32 s27, s28, s37
	s_cvt_u32_f32 s29, s29
	s_xor_b32 s23, s23, s27
	s_mul_i32 s26, s26, s25
	s_sub_co_i32 s23, s23, s27
	s_mul_hi_u32 s26, s25, s26
	s_sub_co_i32 s30, 0, s20
	s_abs_i32 s24, s23
	s_add_co_i32 s26, s25, s26
	s_mov_b32 s25, s3
	s_mov_b32 s27, s3
	s_mul_i32 s30, s30, s29
	s_mul_u64 s[26:27], s[24:25], s[26:27]
	s_mul_hi_u32 s26, s29, s30
	s_ashr_i32 s30, s22, 31
	s_add_co_i32 s22, s29, s26
	s_mul_i32 s26, s27, s21
	s_ashr_i32 s25, s23, 31
	s_mul_i32 s23, s23, s8
	s_sub_co_i32 s24, s24, s26
	s_sub_co_i32 s38, ttmp9, s23
	s_sub_co_i32 s23, s24, s21
	s_cmp_ge_u32 s24, s21
	s_mov_b32 s36, s8
	s_cselect_b32 s24, s23, s24
	s_mov_b32 s23, s3
	s_sub_co_i32 s26, s24, s21
	s_cmp_ge_u32 s24, s21
	s_mul_u64 s[22:23], s[2:3], s[22:23]
	s_cselect_b32 s21, s26, s24
	s_xor_b32 s26, s28, s30
	s_xor_b32 s21, s21, s25
	s_mov_b32 s30, s4
	s_sub_co_i32 s22, s21, s25
	s_mul_i32 s21, s23, s20
	s_mov_b32 s28, s5
	s_sub_co_i32 s2, s2, s21
	s_add_co_i32 s21, s23, 1
	s_wait_alu 0xfffe
	s_sub_co_i32 s24, s2, s20
	s_cmp_ge_u32 s2, s20
	s_cselect_b32 s21, s21, s23
	s_cselect_b32 s2, s24, s2
	s_add_co_i32 s23, s21, 1
	s_wait_alu 0xfffe
	s_cmp_ge_u32 s2, s20
	s_mul_i32 s24, s19, s8
	s_cselect_b32 s2, s23, s21
	s_ashr_i32 s23, s22, 31
	s_wait_alu 0xfffe
	s_xor_b32 s2, s2, s26
	s_ashr_i32 s25, s24, 31
	s_wait_alu 0xfffe
	s_sub_co_i32 s26, s2, s26
	s_mul_u64 s[24:25], s[22:23], s[24:25]
	s_ashr_i32 s27, s26, 31
	s_ashr_i32 s39, s38, 31
	s_mul_i32 s20, s19, s7
	s_ashr_i32 s31, s4, 31
	s_mul_u64 s[34:35], s[26:27], s[36:37]
	s_ashr_i32 s29, s5, 31
	s_add_nc_u64 s[24:25], s[24:25], s[38:39]
	s_ashr_i32 s21, s20, 31
	s_add_nc_u64 s[24:25], s[24:25], s[34:35]
	s_mul_u64 s[34:35], s[28:29], s[30:31]
	s_ashr_i32 s31, s7, 31
	s_mov_b32 s30, s7
	s_mul_u64 s[20:21], s[22:23], s[20:21]
	s_mul_u64 s[40:41], s[26:27], s[30:31]
	s_ashr_i32 s31, s9, 31
	s_mov_b32 s30, s9
	s_ashr_i32 s9, s10, 31
	s_mov_b32 s8, s10
	s_mul_u64 s[22:23], s[34:35], s[24:25]
	s_mul_u64 s[24:25], s[8:9], s[30:31]
	s_add_nc_u64 s[20:21], s[40:41], s[20:21]
	s_lshl_b64 s[42:43], s[22:23], 2
	s_mul_u64 s[20:21], s[24:25], s[20:21]
	s_ashr_i32 s35, s17, 31
	s_lshl_b64 s[50:51], s[20:21], 2
	s_load_b256 s[20:27], s[0:1], 0x0
	s_ashr_i32 s19, s18, 31
	s_cmp_gt_i32 s7, 0
	s_load_b32 s10, s[0:1], 0xec
	s_cselect_b32 s33, -1, 0
	s_cmp_gt_i32 s17, 0
	s_cselect_b32 s44, -1, 0
	s_cmp_gt_i32 s18, 0
	s_cselect_b32 s45, -1, 0
	s_abs_i32 s46, s5
	s_abs_i32 s47, s11
	s_cvt_f32_u32 s2, s46
	s_load_b64 s[4:5], s[0:1], 0x20
	s_abs_i32 s48, s12
	s_ashr_i32 s12, s12, 31
	v_rcp_iflag_f32_e32 v1, s2
	s_cvt_f32_u32 s2, s47
	s_cvt_f32_u32 s49, s48
	s_wait_kmcnt 0x0
	v_cmp_neq_f64_e64 s52, s[26:27], 0
	s_add_nc_u64 s[0:1], s[20:21], s[42:43]
	s_wait_alu 0xfffe
	v_rcp_iflag_f32_e32 v2, s2
	v_cmp_neq_f64_e64 s2, s[24:25], 1.0
	s_mul_u64 s[20:21], s[40:41], s[36:37]
	v_readfirstlane_b32 s34, v1
	v_rcp_iflag_f32_e32 v1, s49
	s_delay_alu instid0(TRANS32_DEP_2)
	v_readfirstlane_b32 s43, v2
	s_mul_f32 s42, s34, 0x4f7ffffe
	s_mov_b32 s34, s17
	s_and_b32 s17, s10, 0xffff
	s_add_nc_u64 s[4:5], s[4:5], s[50:51]
	s_mul_f32 s41, s43, 0x4f7ffffe
	s_cvt_u32_f32 s40, s42
	s_sub_co_i32 s42, 0, s46
	s_sub_co_i32 s43, 0, s47
	s_cvt_u32_f32 s10, s41
	v_readfirstlane_b32 s41, v1
	s_mul_i32 s42, s42, s40
	s_ashr_i32 s50, s11, 31
	s_mul_hi_u32 s42, s40, s42
	s_mul_i32 s43, s43, s10
	s_add_co_i32 s49, s40, s42
	s_mul_f32 s40, s41, 0x4f7ffffe
	s_mul_hi_u32 s41, s10, s43
	s_delay_alu instid0(SALU_CYCLE_1) | instskip(NEXT) | instid1(SALU_CYCLE_1)
	s_add_co_i32 s51, s10, s41
	s_cvt_u32_f32 s42, s40
	s_mul_u64 s[40:41], s[18:19], s[34:35]
	s_sub_co_i32 s35, 0, s48
	s_add_nc_u64 s[10:11], s[20:21], s[38:39]
	s_mul_i32 s35, s35, s42
	s_mul_u64 s[10:11], s[40:41], s[10:11]
	s_mul_hi_u32 s20, s42, s35
	s_lshl_b64 s[10:11], s[10:11], 2
	s_add_co_i32 s35, s42, s20
	s_mul_u64 s[20:21], s[40:41], s[36:37]
	s_add_nc_u64 s[10:11], s[22:23], s[10:11]
	s_or_b32 s52, s2, s52
	s_lshl_b64 s[20:21], s[20:21], 2
	s_lshl_b64 s[22:23], s[18:19], 2
	s_mov_b32 s19, 0
	s_branch .LBB28_3
.LBB28_2:                               ;   in Loop: Header=BB28_3 Depth=1
	s_delay_alu instid0(VALU_DEP_1) | instskip(SKIP_1) | instid1(VALU_DEP_1)
	v_cvt_f32_f64_e32 v1, v[1:2]
	v_add_nc_u32_e32 v0, s17, v0
	v_cmp_le_i32_e32 vcc_lo, s6, v0
	s_or_b32 s19, vcc_lo, s19
	global_store_b32 v[3:4], v1, off
	s_and_not1_b32 exec_lo, exec_lo, s19
	s_cbranch_execz .LBB28_29
.LBB28_3:                               ; =>This Loop Header: Depth=1
                                        ;     Child Loop BB28_6 Depth 2
                                        ;       Child Loop BB28_9 Depth 3
                                        ;         Child Loop BB28_18 Depth 4
	v_sub_nc_u32_e32 v1, 0, v0
	s_delay_alu instid0(VALU_DEP_1) | instskip(SKIP_1) | instid1(VALU_DEP_1)
	v_max_i32_e32 v1, v0, v1
	s_wait_alu 0xfffe
	v_mul_hi_u32 v2, v1, s49
	s_delay_alu instid0(VALU_DEP_1) | instskip(NEXT) | instid1(VALU_DEP_1)
	v_mul_lo_u32 v3, v2, s46
	v_sub_nc_u32_e32 v1, v1, v3
	v_add_nc_u32_e32 v3, 1, v2
	s_delay_alu instid0(VALU_DEP_2) | instskip(SKIP_2) | instid1(VALU_DEP_2)
	v_subrev_nc_u32_e32 v4, s46, v1
	v_cmp_le_u32_e32 vcc_lo, s46, v1
	s_wait_alu 0xfffd
	v_dual_cndmask_b32 v2, v2, v3 :: v_dual_cndmask_b32 v1, v1, v4
	v_ashrrev_i32_e32 v3, 31, v0
	s_delay_alu instid0(VALU_DEP_2) | instskip(NEXT) | instid1(VALU_DEP_3)
	v_add_nc_u32_e32 v4, 1, v2
	v_cmp_le_u32_e32 vcc_lo, s46, v1
	s_delay_alu instid0(VALU_DEP_3) | instskip(SKIP_1) | instid1(VALU_DEP_3)
	v_xor_b32_e32 v3, s29, v3
	s_wait_alu 0xfffd
	v_cndmask_b32_e32 v1, v2, v4, vcc_lo
	s_and_not1_b32 vcc_lo, exec_lo, s33
	s_delay_alu instid0(VALU_DEP_1) | instskip(NEXT) | instid1(VALU_DEP_1)
	v_xor_b32_e32 v1, v1, v3
	v_sub_nc_u32_e32 v6, v1, v3
	s_delay_alu instid0(VALU_DEP_1) | instskip(NEXT) | instid1(VALU_DEP_1)
	v_mul_lo_u32 v1, v6, s28
	v_sub_nc_u32_e32 v3, v0, v1
	s_wait_alu 0xfffe
	s_cbranch_vccnz .LBB28_26
; %bb.4:                                ;   in Loop: Header=BB28_3 Depth=1
	s_delay_alu instid0(VALU_DEP_1)
	v_dual_mov_b32 v1, 0 :: v_dual_add_nc_u32 v8, s16, v3
	v_dual_mov_b32 v2, 0 :: v_dual_add_nc_u32 v7, s15, v6
	s_mov_b32 s2, 0
	s_mov_b64 s[36:37], s[10:11]
	s_branch .LBB28_6
.LBB28_5:                               ;   in Loop: Header=BB28_6 Depth=2
	s_add_co_i32 s2, s2, 1
	s_add_nc_u64 s[36:37], s[36:37], s[20:21]
	s_wait_alu 0xfffe
	s_cmp_eq_u32 s2, s7
	s_cbranch_scc1 .LBB28_27
.LBB28_6:                               ;   Parent Loop BB28_3 Depth=1
                                        ; =>  This Loop Header: Depth=2
                                        ;       Child Loop BB28_9 Depth 3
                                        ;         Child Loop BB28_18 Depth 4
	s_and_not1_b32 vcc_lo, exec_lo, s44
	s_wait_alu 0xfffe
	s_cbranch_vccnz .LBB28_5
; %bb.7:                                ;   in Loop: Header=BB28_6 Depth=2
	s_mul_u64 s[38:39], s[2:3], s[30:31]
	s_mov_b32 s53, 0
	s_mov_b64 s[40:41], s[36:37]
	s_branch .LBB28_9
.LBB28_8:                               ;   in Loop: Header=BB28_9 Depth=3
	s_add_co_i32 s53, s53, 1
	s_add_nc_u64 s[40:41], s[40:41], s[22:23]
	s_cmp_eq_u32 s53, s34
	s_cbranch_scc1 .LBB28_5
.LBB28_9:                               ;   Parent Loop BB28_3 Depth=1
                                        ;     Parent Loop BB28_6 Depth=2
                                        ; =>    This Loop Header: Depth=3
                                        ;         Child Loop BB28_18 Depth 4
	s_mul_i32 s42, s13, s53
	s_mov_b32 s43, exec_lo
	s_wait_alu 0xfffe
	v_subrev_nc_u32_e32 v11, s42, v7
	s_mov_b32 s42, 0
                                        ; implicit-def: $vgpr9
                                        ; implicit-def: $vgpr4
                                        ; implicit-def: $vgpr5
                                        ; implicit-def: $vgpr10
	s_delay_alu instid0(VALU_DEP_1)
	v_cmpx_lt_i32_e32 -1, v11
	s_xor_b32 s43, exec_lo, s43
	s_cbranch_execnz .LBB28_13
; %bb.10:                               ;   in Loop: Header=BB28_9 Depth=3
	s_wait_alu 0xfffe
	s_and_not1_saveexec_b32 s43, s43
	s_cbranch_execnz .LBB28_14
.LBB28_11:                              ;   in Loop: Header=BB28_9 Depth=3
	s_wait_alu 0xfffe
	s_or_b32 exec_lo, exec_lo, s43
	v_mov_b32_e32 v11, 1
	s_and_saveexec_b32 s43, s42
	s_cbranch_execnz .LBB28_15
.LBB28_12:                              ;   in Loop: Header=BB28_9 Depth=3
	s_wait_alu 0xfffe
	s_or_b32 exec_lo, exec_lo, s43
	s_delay_alu instid0(SALU_CYCLE_1)
	s_and_not1_b32 vcc_lo, exec_lo, s45
	s_wait_alu 0xfffe
	s_cbranch_vccz .LBB28_16
	s_branch .LBB28_8
.LBB28_13:                              ;   in Loop: Header=BB28_9 Depth=3
	v_sub_nc_u32_e32 v4, 0, v11
	s_delay_alu instid0(VALU_DEP_1) | instskip(NEXT) | instid1(VALU_DEP_1)
	v_max_i32_e32 v5, v11, v4
	v_mul_hi_u32 v4, v5, s51
	s_delay_alu instid0(VALU_DEP_1) | instskip(NEXT) | instid1(VALU_DEP_1)
	v_mul_lo_u32 v9, v4, s47
	v_sub_nc_u32_e32 v5, v5, v9
	v_ashrrev_i32_e32 v9, 31, v11
	s_delay_alu instid0(VALU_DEP_2) | instskip(SKIP_2) | instid1(VALU_DEP_2)
	v_subrev_nc_u32_e32 v10, s47, v5
	v_cmp_le_u32_e32 vcc_lo, s47, v5
	s_wait_alu 0xfffd
	v_cndmask_b32_e32 v12, v5, v10, vcc_lo
	s_delay_alu instid0(VALU_DEP_1) | instskip(SKIP_2) | instid1(VALU_DEP_2)
	v_subrev_nc_u32_e32 v13, s47, v12
	v_cmp_le_u32_e32 vcc_lo, s47, v12
	s_wait_alu 0xfffd
	v_cndmask_b32_e32 v11, v12, v13, vcc_lo
	s_delay_alu instid0(VALU_DEP_1) | instskip(NEXT) | instid1(VALU_DEP_1)
	v_xor_b32_e32 v11, v11, v9
	v_sub_nc_u32_e32 v11, v11, v9
	s_delay_alu instid0(VALU_DEP_1)
	v_cmp_ne_u32_e32 vcc_lo, 0, v11
                                        ; implicit-def: $vgpr11
	s_and_b32 s42, vcc_lo, exec_lo
	s_wait_alu 0xfffe
	s_and_not1_saveexec_b32 s43, s43
	s_cbranch_execz .LBB28_11
.LBB28_14:                              ;   in Loop: Header=BB28_9 Depth=3
	v_sub_nc_u32_e32 v4, 0, v11
	s_or_b32 s42, s42, exec_lo
	s_delay_alu instid0(VALU_DEP_1) | instskip(NEXT) | instid1(VALU_DEP_1)
	v_max_i32_e32 v5, v11, v4
	v_mul_hi_u32 v4, v5, s51
	s_delay_alu instid0(VALU_DEP_1) | instskip(NEXT) | instid1(VALU_DEP_1)
	v_mul_lo_u32 v9, v4, s47
	v_sub_nc_u32_e32 v5, v5, v9
	v_ashrrev_i32_e32 v9, 31, v11
	s_delay_alu instid0(VALU_DEP_2)
	v_subrev_nc_u32_e32 v10, s47, v5
	s_wait_alu 0xfffe
	s_or_b32 exec_lo, exec_lo, s43
	v_mov_b32_e32 v11, 1
	s_and_saveexec_b32 s43, s42
	s_cbranch_execz .LBB28_12
.LBB28_15:                              ;   in Loop: Header=BB28_9 Depth=3
	v_mov_b32_e32 v11, 0
	s_wait_alu 0xfffe
	s_or_b32 exec_lo, exec_lo, s43
	s_delay_alu instid0(SALU_CYCLE_1)
	s_and_not1_b32 vcc_lo, exec_lo, s45
	s_wait_alu 0xfffe
	s_cbranch_vccnz .LBB28_8
.LBB28_16:                              ;   in Loop: Header=BB28_9 Depth=3
	v_cmp_le_u32_e32 vcc_lo, s47, v5
	v_add_nc_u32_e32 v12, 1, v4
	v_xor_b32_e32 v9, s50, v9
	s_mov_b64 s[42:43], s[40:41]
	s_mov_b32 s54, s18
	s_wait_alu 0xfffd
	v_dual_cndmask_b32 v5, v5, v10 :: v_dual_cndmask_b32 v4, v4, v12
	s_delay_alu instid0(VALU_DEP_1) | instskip(NEXT) | instid1(VALU_DEP_2)
	v_cmp_le_u32_e32 vcc_lo, s47, v5
	v_add_nc_u32_e32 v10, 1, v4
	s_wait_alu 0xfffd
	s_delay_alu instid0(VALU_DEP_1) | instskip(NEXT) | instid1(VALU_DEP_1)
	v_cndmask_b32_e32 v4, v4, v10, vcc_lo
	v_xor_b32_e32 v4, v4, v9
	s_delay_alu instid0(VALU_DEP_1) | instskip(NEXT) | instid1(VALU_DEP_1)
	v_sub_nc_u32_e32 v9, v4, v9
	v_ashrrev_i32_e32 v4, 31, v9
	v_add_co_u32 v5, vcc_lo, s38, v9
	s_wait_alu 0xfffd
	s_delay_alu instid0(VALU_DEP_2) | instskip(NEXT) | instid1(VALU_DEP_2)
	v_add_co_ci_u32_e64 v10, null, s39, v4, vcc_lo
	v_mul_lo_u32 v12, v5, s9
	v_mad_co_u64_u32 v[4:5], null, v5, s8, 0
	s_delay_alu instid0(VALU_DEP_3) | instskip(SKIP_3) | instid1(VALU_DEP_3)
	v_mul_lo_u32 v10, v10, s8
	v_cmp_gt_i32_e32 vcc_lo, s30, v9
	s_wait_alu 0xfffd
	v_cndmask_b32_e32 v9, 0, v11, vcc_lo
	v_add3_u32 v5, v5, v12, v10
	v_mov_b32_e32 v12, v8
	s_delay_alu instid0(VALU_DEP_2) | instskip(NEXT) | instid1(VALU_DEP_1)
	v_lshlrev_b64_e32 v[4:5], 2, v[4:5]
	v_add_co_u32 v10, vcc_lo, s4, v4
	s_wait_alu 0xfffd
	s_delay_alu instid0(VALU_DEP_2)
	v_add_co_ci_u32_e64 v11, null, s5, v5, vcc_lo
	s_branch .LBB28_18
.LBB28_17:                              ;   in Loop: Header=BB28_18 Depth=4
	s_or_b32 exec_lo, exec_lo, s55
	v_subrev_nc_u32_e32 v12, s14, v12
	s_add_co_i32 s54, s54, -1
	s_wait_alu 0xfffe
	s_add_nc_u64 s[42:43], s[42:43], 4
	s_cmp_eq_u32 s54, 0
	s_cbranch_scc1 .LBB28_8
.LBB28_18:                              ;   Parent Loop BB28_3 Depth=1
                                        ;     Parent Loop BB28_6 Depth=2
                                        ;       Parent Loop BB28_9 Depth=3
                                        ; =>      This Inner Loop Header: Depth=4
	v_sub_nc_u32_e32 v15, 0, v12
	s_mov_b32 s55, 0
	s_mov_b32 s56, exec_lo
                                        ; implicit-def: $vgpr13
                                        ; implicit-def: $vgpr4
                                        ; implicit-def: $vgpr5
                                        ; implicit-def: $vgpr14
	v_cmpx_lt_i32_e32 -1, v12
	s_wait_alu 0xfffe
	s_xor_b32 s56, exec_lo, s56
	s_cbranch_execnz .LBB28_24
; %bb.19:                               ;   in Loop: Header=BB28_18 Depth=4
	s_wait_alu 0xfffe
	s_and_not1_saveexec_b32 s56, s56
	s_cbranch_execnz .LBB28_25
.LBB28_20:                              ;   in Loop: Header=BB28_18 Depth=4
	s_wait_alu 0xfffe
	s_or_b32 exec_lo, exec_lo, s56
	v_mov_b32_e32 v15, 1
	s_and_saveexec_b32 s56, s55
.LBB28_21:                              ;   in Loop: Header=BB28_18 Depth=4
	v_mov_b32_e32 v15, 0
.LBB28_22:                              ;   in Loop: Header=BB28_18 Depth=4
	s_wait_alu 0xfffe
	s_or_b32 exec_lo, exec_lo, s56
	v_cmp_le_u32_e32 vcc_lo, s48, v5
	v_add_nc_u32_e32 v16, 1, v4
	v_xor_b32_e32 v13, s12, v13
	s_mov_b32 s55, exec_lo
	s_wait_alu 0xfffd
	s_delay_alu instid0(VALU_DEP_2) | instskip(NEXT) | instid1(VALU_DEP_1)
	v_dual_cndmask_b32 v5, v5, v14 :: v_dual_cndmask_b32 v4, v4, v16
	v_cmp_le_u32_e32 vcc_lo, s48, v5
	s_delay_alu instid0(VALU_DEP_2) | instskip(SKIP_1) | instid1(VALU_DEP_1)
	v_add_nc_u32_e32 v14, 1, v4
	s_wait_alu 0xfffd
	v_cndmask_b32_e32 v4, v4, v14, vcc_lo
	s_delay_alu instid0(VALU_DEP_1) | instskip(NEXT) | instid1(VALU_DEP_1)
	v_xor_b32_e32 v4, v4, v13
	v_sub_nc_u32_e32 v4, v4, v13
	s_delay_alu instid0(VALU_DEP_1) | instskip(SKIP_2) | instid1(VALU_DEP_1)
	v_cmp_gt_i32_e32 vcc_lo, s8, v4
	s_wait_alu 0xfffd
	v_cndmask_b32_e32 v5, 0, v15, vcc_lo
	v_and_b32_e32 v5, v5, v9
	s_delay_alu instid0(VALU_DEP_1) | instskip(NEXT) | instid1(VALU_DEP_1)
	v_and_b32_e32 v5, 1, v5
	v_cmpx_eq_u32_e32 1, v5
	s_cbranch_execz .LBB28_17
; %bb.23:                               ;   in Loop: Header=BB28_18 Depth=4
	v_ashrrev_i32_e32 v5, 31, v4
	s_load_b32 s56, s[42:43], 0x0
	s_delay_alu instid0(VALU_DEP_1) | instskip(NEXT) | instid1(VALU_DEP_1)
	v_lshlrev_b64_e32 v[4:5], 2, v[4:5]
	v_add_co_u32 v4, vcc_lo, v10, v4
	s_wait_alu 0xfffd
	s_delay_alu instid0(VALU_DEP_2)
	v_add_co_ci_u32_e64 v5, null, v11, v5, vcc_lo
	global_load_b32 v4, v[4:5], off
	s_wait_kmcnt 0x0
	v_cvt_f64_f32_e32 v[13:14], s56
	s_wait_loadcnt 0x0
	v_cvt_f64_f32_e32 v[4:5], v4
	s_delay_alu instid0(VALU_DEP_1)
	v_fma_f64 v[1:2], v[4:5], v[13:14], v[1:2]
	s_branch .LBB28_17
.LBB28_24:                              ;   in Loop: Header=BB28_18 Depth=4
	v_max_i32_e32 v5, v12, v15
	s_delay_alu instid0(VALU_DEP_1) | instskip(NEXT) | instid1(VALU_DEP_1)
	v_mul_hi_u32 v4, v5, s35
	v_mul_lo_u32 v13, v4, s48
	s_delay_alu instid0(VALU_DEP_1) | instskip(SKIP_1) | instid1(VALU_DEP_2)
	v_sub_nc_u32_e32 v5, v5, v13
	v_ashrrev_i32_e32 v13, 31, v12
	v_subrev_nc_u32_e32 v14, s48, v5
	v_cmp_le_u32_e32 vcc_lo, s48, v5
	s_wait_alu 0xfffd
	s_delay_alu instid0(VALU_DEP_2) | instskip(NEXT) | instid1(VALU_DEP_1)
	v_cndmask_b32_e32 v15, v5, v14, vcc_lo
	v_subrev_nc_u32_e32 v16, s48, v15
	v_cmp_le_u32_e32 vcc_lo, s48, v15
	s_wait_alu 0xfffd
	s_delay_alu instid0(VALU_DEP_2) | instskip(NEXT) | instid1(VALU_DEP_1)
	v_cndmask_b32_e32 v15, v15, v16, vcc_lo
	v_xor_b32_e32 v15, v15, v13
	s_delay_alu instid0(VALU_DEP_1) | instskip(NEXT) | instid1(VALU_DEP_1)
	v_sub_nc_u32_e32 v15, v15, v13
	v_cmp_ne_u32_e32 vcc_lo, 0, v15
                                        ; implicit-def: $vgpr15
	s_and_b32 s55, vcc_lo, exec_lo
	s_wait_alu 0xfffe
	s_and_not1_saveexec_b32 s56, s56
	s_cbranch_execz .LBB28_20
.LBB28_25:                              ;   in Loop: Header=BB28_18 Depth=4
	v_max_i32_e32 v5, v12, v15
	s_or_b32 s55, s55, exec_lo
	s_delay_alu instid0(VALU_DEP_1) | instskip(NEXT) | instid1(VALU_DEP_1)
	v_mul_hi_u32 v4, v5, s35
	v_mul_lo_u32 v13, v4, s48
	s_delay_alu instid0(VALU_DEP_1) | instskip(SKIP_1) | instid1(VALU_DEP_2)
	v_sub_nc_u32_e32 v5, v5, v13
	v_ashrrev_i32_e32 v13, 31, v12
	v_subrev_nc_u32_e32 v14, s48, v5
	s_wait_alu 0xfffe
	s_or_b32 exec_lo, exec_lo, s56
	v_mov_b32_e32 v15, 1
	s_and_saveexec_b32 s56, s55
	s_cbranch_execnz .LBB28_21
	s_branch .LBB28_22
.LBB28_26:                              ;   in Loop: Header=BB28_3 Depth=1
	v_mov_b32_e32 v1, 0
	v_mov_b32_e32 v2, 0
.LBB28_27:                              ;   in Loop: Header=BB28_3 Depth=1
	v_mad_co_i64_i32 v[5:6], null, v6, s28, 0
	v_ashrrev_i32_e32 v4, 31, v3
	s_delay_alu instid0(VALU_DEP_1) | instskip(NEXT) | instid1(VALU_DEP_3)
	v_lshlrev_b64_e32 v[3:4], 2, v[3:4]
	v_lshlrev_b64_e32 v[5:6], 2, v[5:6]
	s_delay_alu instid0(VALU_DEP_1) | instskip(SKIP_1) | instid1(VALU_DEP_2)
	v_add_co_u32 v5, vcc_lo, s0, v5
	s_wait_alu 0xfffd
	v_add_co_ci_u32_e64 v6, null, s1, v6, vcc_lo
	s_delay_alu instid0(VALU_DEP_2) | instskip(SKIP_1) | instid1(VALU_DEP_2)
	v_add_co_u32 v3, vcc_lo, v5, v3
	s_wait_alu 0xfffd
	v_add_co_ci_u32_e64 v4, null, v6, v4, vcc_lo
	s_and_not1_b32 vcc_lo, exec_lo, s52
	s_wait_alu 0xfffe
	s_cbranch_vccnz .LBB28_2
; %bb.28:                               ;   in Loop: Header=BB28_3 Depth=1
	global_load_b32 v5, v[3:4], off
	s_wait_loadcnt 0x0
	v_cvt_f64_f32_e32 v[5:6], v5
	s_delay_alu instid0(VALU_DEP_1) | instskip(NEXT) | instid1(VALU_DEP_1)
	v_mul_f64_e32 v[5:6], s[26:27], v[5:6]
	v_fma_f64 v[1:2], s[24:25], v[1:2], v[5:6]
	s_branch .LBB28_2
.LBB28_29:
	s_endpgm
	.section	.rodata,"a",@progbits
	.p2align	6, 0x0
	.amdhsa_kernel naive_conv_ab_packed_bwd_nchw_float_double_float_0
		.amdhsa_group_segment_fixed_size 0
		.amdhsa_private_segment_fixed_size 0
		.amdhsa_kernarg_size 480
		.amdhsa_user_sgpr_count 2
		.amdhsa_user_sgpr_dispatch_ptr 0
		.amdhsa_user_sgpr_queue_ptr 0
		.amdhsa_user_sgpr_kernarg_segment_ptr 1
		.amdhsa_user_sgpr_dispatch_id 0
		.amdhsa_user_sgpr_private_segment_size 0
		.amdhsa_wavefront_size32 1
		.amdhsa_uses_dynamic_stack 0
		.amdhsa_enable_private_segment 0
		.amdhsa_system_sgpr_workgroup_id_x 1
		.amdhsa_system_sgpr_workgroup_id_y 0
		.amdhsa_system_sgpr_workgroup_id_z 0
		.amdhsa_system_sgpr_workgroup_info 0
		.amdhsa_system_vgpr_workitem_id 0
		.amdhsa_next_free_vgpr 17
		.amdhsa_next_free_sgpr 57
		.amdhsa_reserve_vcc 1
		.amdhsa_float_round_mode_32 0
		.amdhsa_float_round_mode_16_64 0
		.amdhsa_float_denorm_mode_32 3
		.amdhsa_float_denorm_mode_16_64 3
		.amdhsa_fp16_overflow 0
		.amdhsa_workgroup_processor_mode 1
		.amdhsa_memory_ordered 1
		.amdhsa_forward_progress 1
		.amdhsa_inst_pref_size 18
		.amdhsa_round_robin_scheduling 0
		.amdhsa_exception_fp_ieee_invalid_op 0
		.amdhsa_exception_fp_denorm_src 0
		.amdhsa_exception_fp_ieee_div_zero 0
		.amdhsa_exception_fp_ieee_overflow 0
		.amdhsa_exception_fp_ieee_underflow 0
		.amdhsa_exception_fp_ieee_inexact 0
		.amdhsa_exception_int_div_zero 0
	.end_amdhsa_kernel
	.text
.Lfunc_end28:
	.size	naive_conv_ab_packed_bwd_nchw_float_double_float_0, .Lfunc_end28-naive_conv_ab_packed_bwd_nchw_float_double_float_0
                                        ; -- End function
	.set naive_conv_ab_packed_bwd_nchw_float_double_float_0.num_vgpr, 17
	.set naive_conv_ab_packed_bwd_nchw_float_double_float_0.num_agpr, 0
	.set naive_conv_ab_packed_bwd_nchw_float_double_float_0.numbered_sgpr, 57
	.set naive_conv_ab_packed_bwd_nchw_float_double_float_0.num_named_barrier, 0
	.set naive_conv_ab_packed_bwd_nchw_float_double_float_0.private_seg_size, 0
	.set naive_conv_ab_packed_bwd_nchw_float_double_float_0.uses_vcc, 1
	.set naive_conv_ab_packed_bwd_nchw_float_double_float_0.uses_flat_scratch, 0
	.set naive_conv_ab_packed_bwd_nchw_float_double_float_0.has_dyn_sized_stack, 0
	.set naive_conv_ab_packed_bwd_nchw_float_double_float_0.has_recursion, 0
	.set naive_conv_ab_packed_bwd_nchw_float_double_float_0.has_indirect_call, 0
	.section	.AMDGPU.csdata,"",@progbits
; Kernel info:
; codeLenInByte = 2224
; TotalNumSgprs: 59
; NumVgprs: 17
; ScratchSize: 0
; MemoryBound: 0
; FloatMode: 240
; IeeeMode: 1
; LDSByteSize: 0 bytes/workgroup (compile time only)
; SGPRBlocks: 0
; VGPRBlocks: 2
; NumSGPRsForWavesPerEU: 59
; NumVGPRsForWavesPerEU: 17
; Occupancy: 16
; WaveLimiterHint : 0
; COMPUTE_PGM_RSRC2:SCRATCH_EN: 0
; COMPUTE_PGM_RSRC2:USER_SGPR: 2
; COMPUTE_PGM_RSRC2:TRAP_HANDLER: 0
; COMPUTE_PGM_RSRC2:TGID_X_EN: 1
; COMPUTE_PGM_RSRC2:TGID_Y_EN: 0
; COMPUTE_PGM_RSRC2:TGID_Z_EN: 0
; COMPUTE_PGM_RSRC2:TIDIG_COMP_CNT: 0
	.text
	.protected	naive_conv_ab_nonpacked_bwd_nchw_float_double_float_0 ; -- Begin function naive_conv_ab_nonpacked_bwd_nchw_float_double_float_0
	.globl	naive_conv_ab_nonpacked_bwd_nchw_float_double_float_0
	.p2align	8
	.type	naive_conv_ab_nonpacked_bwd_nchw_float_double_float_0,@function
naive_conv_ab_nonpacked_bwd_nchw_float_double_float_0: ; @naive_conv_ab_nonpacked_bwd_nchw_float_double_float_0
; %bb.0:
	s_load_b256 s[20:27], s[0:1], 0xa0
	s_mov_b32 s9, exec_lo
	s_wait_kmcnt 0x0
	s_abs_i32 s3, s24
	s_mul_i32 s20, s21, s20
	s_cvt_f32_u32 s2, s3
	s_delay_alu instid0(SALU_CYCLE_3) | instskip(NEXT) | instid1(TRANS32_DEP_1)
	v_rcp_iflag_f32_e32 v1, s2
	v_readfirstlane_b32 s2, v1
	s_mul_f32 s2, s2, 0x4f7ffffe
	s_wait_alu 0xfffe
	s_delay_alu instid0(SALU_CYCLE_2) | instskip(SKIP_2) | instid1(SALU_CYCLE_1)
	s_cvt_u32_f32 s4, s2
	s_sub_co_i32 s2, 0, s3
	s_wait_alu 0xfffe
	s_mul_i32 s2, s2, s4
	s_wait_alu 0xfffe
	s_mul_hi_u32 s5, s4, s2
	s_abs_i32 s2, ttmp9
	s_add_co_i32 s4, s4, s5
	s_wait_alu 0xfffe
	s_mul_hi_u32 s4, s2, s4
	s_delay_alu instid0(SALU_CYCLE_1) | instskip(SKIP_2) | instid1(SALU_CYCLE_1)
	s_mul_i32 s5, s4, s3
	s_add_co_i32 s6, s4, 1
	s_sub_co_i32 s5, s2, s5
	s_sub_co_i32 s7, s5, s3
	s_cmp_ge_u32 s5, s3
	s_cselect_b32 s4, s6, s4
	s_cselect_b32 s5, s7, s5
	s_add_co_i32 s6, s4, 1
	s_cmp_ge_u32 s5, s3
	s_mul_i32 s5, s24, s22
	s_cselect_b32 s6, s6, s4
	s_abs_i32 s4, s22
	s_abs_i32 s22, s5
	s_cvt_f32_u32 s3, s4
	s_cvt_f32_u32 s7, s22
	s_wait_alu 0xfffe
	s_delay_alu instid0(SALU_CYCLE_1) | instskip(NEXT) | instid1(SALU_CYCLE_1)
	v_rcp_iflag_f32_e32 v1, s3
	v_rcp_iflag_f32_e32 v2, s7
	s_mov_b32 s3, 0
	s_delay_alu instid0(TRANS32_DEP_2) | instskip(NEXT) | instid1(TRANS32_DEP_1)
	v_readfirstlane_b32 s8, v1
	v_readfirstlane_b32 s7, v2
	v_cmpx_gt_i32_e64 s20, v0
	s_cbranch_execz .LBB29_29
; %bb.1:
	s_mul_f32 s8, s8, 0x4f7ffffe
	s_ashr_i32 s28, ttmp9, 31
	s_ashr_i32 s9, s24, 31
	s_sub_co_i32 s10, 0, s4
	s_cvt_u32_f32 s8, s8
	s_xor_b32 s9, s28, s9
	s_mul_f32 s11, s7, 0x4f7ffffe
	s_xor_b32 s6, s6, s9
	s_mul_i32 s10, s10, s8
	s_wait_alu 0xfffe
	s_sub_co_i32 s12, s6, s9
	s_mul_hi_u32 s7, s8, s10
	s_abs_i32 s6, s12
	s_wait_alu 0xfffe
	s_add_co_i32 s8, s8, s7
	s_mov_b32 s7, s3
	s_cvt_u32_f32 s10, s11
	s_mov_b32 s9, s3
	s_sub_co_i32 s11, 0, s22
	s_wait_alu 0xfffe
	s_mul_u64 s[8:9], s[6:7], s[8:9]
	s_mul_i32 s11, s11, s10
	s_ashr_i32 s30, s5, 31
	s_mul_i32 s5, s9, s4
	s_ashr_i32 s29, s12, 31
	s_mul_hi_u32 s7, s10, s11
	s_mul_i32 s12, s12, s24
	s_sub_co_i32 s5, s6, s5
	s_wait_alu 0xfffe
	s_add_co_i32 s8, s10, s7
	s_sub_co_i32 s34, ttmp9, s12
	s_sub_co_i32 s6, s5, s4
	s_cmp_ge_u32 s5, s4
	s_mov_b32 s9, s3
	s_wait_alu 0xfffe
	s_cselect_b32 s5, s6, s5
	s_mul_u64 s[36:37], s[2:3], s[8:9]
	s_sub_co_i32 s6, s5, s4
	s_cmp_ge_u32 s5, s4
	s_load_b256 s[44:51], s[0:1], 0x0
	s_cselect_b32 s4, s6, s5
	s_xor_b32 s33, s28, s30
	s_xor_b32 s24, s4, s29
	s_load_b512 s[4:19], s[0:1], 0x28
	s_sub_co_i32 s52, s24, s29
	s_mul_i32 s24, s37, s22
	s_clause 0x1
	s_load_b64 s[54:55], s[0:1], 0x98
	s_load_b128 s[28:31], s[0:1], 0x88
	s_sub_co_i32 s2, s2, s24
	s_add_co_i32 s24, s37, 1
	s_wait_alu 0xfffe
	s_sub_co_i32 s35, s2, s22
	s_cmp_ge_u32 s2, s22
	s_load_b64 s[64:65], s[0:1], 0x20
	s_cselect_b32 s24, s24, s37
	s_load_b256 s[36:43], s[0:1], 0xc0
	s_cselect_b32 s2, s35, s2
	s_add_co_i32 s35, s24, 1
	s_wait_alu 0xfffe
	s_cmp_ge_u32 s2, s22
	s_load_b32 s68, s[0:1], 0xec
	s_cselect_b32 s2, s35, s24
	s_ashr_i32 s53, s52, 31
	s_wait_alu 0xfffe
	s_xor_b32 s2, s2, s33
	s_ashr_i32 s35, s34, 31
	s_wait_alu 0xfffe
	s_sub_co_i32 s66, s2, s33
	s_wait_kmcnt 0x0
	s_mul_u64 s[12:13], s[12:13], s[52:53]
	s_ashr_i32 s67, s66, 31
	s_mul_u64 s[8:9], s[8:9], s[34:35]
	s_mul_u64 s[10:11], s[10:11], s[66:67]
	;; [unrolled: 1-line block ×4, first 2 shown]
	s_lshl_b64 s[12:13], s[12:13], 2
	s_lshl_b64 s[10:11], s[10:11], 2
	;; [unrolled: 1-line block ×5, first 2 shown]
	s_cmp_gt_i32 s23, 0
	s_add_nc_u64 s[12:13], s[44:45], s[12:13]
	s_cselect_b32 s22, -1, 0
	s_cmp_gt_i32 s41, 0
	v_cmp_neq_f64_e64 s44, s[48:49], 1.0
	s_cselect_b32 s24, -1, 0
	s_cmp_gt_i32 s42, 0
	v_cmp_neq_f64_e64 s45, s[50:51], 0
	s_cselect_b32 s33, -1, 0
	s_abs_i32 s43, s21
	s_abs_i32 s60, s27
	s_cvt_f32_u32 s2, s43
	s_add_nc_u64 s[10:11], s[12:13], s[10:11]
	s_abs_i32 s61, s36
	s_load_b256 s[52:59], s[0:1], 0x68
	v_rcp_iflag_f32_e32 v1, s2
	s_cvt_f32_u32 s2, s60
	s_add_nc_u64 s[0:1], s[10:11], s[8:9]
	s_cvt_f32_u32 s10, s61
	s_sub_co_i32 s11, 0, s43
	s_wait_alu 0xfffe
	v_rcp_iflag_f32_e32 v2, s2
	s_add_nc_u64 s[8:9], s[64:65], s[62:63]
	s_and_b32 s62, s68, 0xffff
	s_add_nc_u64 s[8:9], s[8:9], s[30:31]
	s_ashr_i32 s63, s21, 31
	v_readfirstlane_b32 s2, v1
	v_rcp_iflag_f32_e32 v1, s10
	s_ashr_i32 s27, s27, 31
	s_ashr_i32 s36, s36, 31
	s_lshl_b64 s[16:17], s[16:17], 2
	s_mul_f32 s2, s2, 0x4f7ffffe
	v_readfirstlane_b32 s10, v2
	s_lshl_b64 s[14:15], s[14:15], 2
	s_wait_alu 0xfffe
	s_cvt_u32_f32 s2, s2
	s_mul_f32 s10, s10, 0x4f7ffffe
	v_readfirstlane_b32 s12, v1
	s_wait_alu 0xfffe
	s_mul_i32 s11, s11, s2
	s_wait_alu 0xfffe
	s_mul_hi_u32 s11, s2, s11
	s_cvt_u32_f32 s10, s10
	s_wait_alu 0xfffe
	s_add_co_i32 s64, s2, s11
	s_sub_co_i32 s2, 0, s60
	s_mul_f32 s11, s12, 0x4f7ffffe
	s_wait_alu 0xfffe
	s_mul_i32 s2, s2, s10
	s_wait_kmcnt 0x0
	s_mul_u64 s[12:13], s[54:55], s[66:67]
	s_wait_alu 0xfffe
	s_mul_hi_u32 s2, s10, s2
	s_cvt_u32_f32 s30, s11
	s_wait_alu 0xfffe
	s_add_co_i32 s65, s10, s2
	s_sub_co_i32 s2, 0, s61
	s_mul_u64 s[10:11], s[18:19], s[34:35]
	s_wait_alu 0xfffe
	s_mul_i32 s2, s2, s30
	s_lshl_b64 s[10:11], s[10:11], 2
	s_lshl_b64 s[12:13], s[12:13], 2
	s_wait_alu 0xfffe
	s_mul_hi_u32 s2, s30, s2
	s_add_nc_u64 s[10:11], s[10:11], s[12:13]
	s_wait_alu 0xfffe
	s_add_co_i32 s54, s30, s2
	s_add_nc_u64 s[10:11], s[46:47], s[10:11]
	s_lshl_b64 s[12:13], s[52:53], 2
	s_or_b32 s46, s44, s45
	s_mov_b32 s47, 0
	s_branch .LBB29_3
.LBB29_2:                               ;   in Loop: Header=BB29_3 Depth=1
	s_delay_alu instid0(VALU_DEP_1) | instskip(SKIP_1) | instid1(VALU_DEP_1)
	v_cvt_f32_f64_e32 v1, v[1:2]
	v_add_nc_u32_e32 v0, s62, v0
	v_cmp_le_i32_e32 vcc_lo, s20, v0
	s_or_b32 s47, vcc_lo, s47
	global_store_b32 v[3:4], v1, off
	s_and_not1_b32 exec_lo, exec_lo, s47
	s_cbranch_execz .LBB29_29
.LBB29_3:                               ; =>This Loop Header: Depth=1
                                        ;     Child Loop BB29_6 Depth 2
                                        ;       Child Loop BB29_9 Depth 3
                                        ;         Child Loop BB29_18 Depth 4
	v_sub_nc_u32_e32 v1, 0, v0
	s_delay_alu instid0(VALU_DEP_1) | instskip(NEXT) | instid1(VALU_DEP_1)
	v_max_i32_e32 v1, v0, v1
	v_mul_hi_u32 v2, v1, s64
	s_delay_alu instid0(VALU_DEP_1) | instskip(NEXT) | instid1(VALU_DEP_1)
	v_mul_lo_u32 v3, v2, s43
	v_sub_nc_u32_e32 v1, v1, v3
	v_add_nc_u32_e32 v3, 1, v2
	s_delay_alu instid0(VALU_DEP_2) | instskip(SKIP_2) | instid1(VALU_DEP_2)
	v_subrev_nc_u32_e32 v4, s43, v1
	v_cmp_le_u32_e32 vcc_lo, s43, v1
	s_wait_alu 0xfffd
	v_dual_cndmask_b32 v2, v2, v3 :: v_dual_cndmask_b32 v1, v1, v4
	v_ashrrev_i32_e32 v3, 31, v0
	s_delay_alu instid0(VALU_DEP_2) | instskip(NEXT) | instid1(VALU_DEP_3)
	v_add_nc_u32_e32 v4, 1, v2
	v_cmp_le_u32_e32 vcc_lo, s43, v1
	s_delay_alu instid0(VALU_DEP_3) | instskip(SKIP_1) | instid1(VALU_DEP_3)
	v_xor_b32_e32 v3, s63, v3
	s_wait_alu 0xfffd
	v_cndmask_b32_e32 v1, v2, v4, vcc_lo
	s_and_not1_b32 vcc_lo, exec_lo, s22
	s_delay_alu instid0(VALU_DEP_1) | instskip(NEXT) | instid1(VALU_DEP_1)
	v_xor_b32_e32 v1, v1, v3
	v_sub_nc_u32_e32 v4, v1, v3
	s_delay_alu instid0(VALU_DEP_1) | instskip(NEXT) | instid1(VALU_DEP_1)
	v_mul_lo_u32 v1, v4, s21
	v_sub_nc_u32_e32 v3, v0, v1
	s_wait_alu 0xfffe
	s_cbranch_vccnz .LBB29_26
; %bb.4:                                ;   in Loop: Header=BB29_3 Depth=1
	s_delay_alu instid0(VALU_DEP_1)
	v_dual_mov_b32 v1, 0 :: v_dual_add_nc_u32 v6, s40, v3
	v_dual_mov_b32 v2, 0 :: v_dual_add_nc_u32 v5, s39, v4
	s_mov_b32 s2, 0
	s_mov_b64 s[18:19], s[10:11]
	s_branch .LBB29_6
.LBB29_5:                               ;   in Loop: Header=BB29_6 Depth=2
	s_add_co_i32 s2, s2, 1
	s_add_nc_u64 s[18:19], s[18:19], s[12:13]
	s_wait_alu 0xfffe
	s_cmp_eq_u32 s2, s23
	s_cbranch_scc1 .LBB29_27
.LBB29_6:                               ;   Parent Loop BB29_3 Depth=1
                                        ; =>  This Loop Header: Depth=2
                                        ;       Child Loop BB29_9 Depth 3
                                        ;         Child Loop BB29_18 Depth 4
	s_and_not1_b32 vcc_lo, exec_lo, s24
	s_wait_alu 0xfffe
	s_cbranch_vccnz .LBB29_5
; %bb.7:                                ;   in Loop: Header=BB29_6 Depth=2
	s_mul_u64 s[30:31], s[28:29], s[2:3]
	s_mov_b32 s52, 0
	s_wait_alu 0xfffe
	s_lshl_b64 s[30:31], s[30:31], 2
	s_mov_b64 s[34:35], s[18:19]
	s_wait_alu 0xfffe
	s_add_nc_u64 s[30:31], s[8:9], s[30:31]
	s_branch .LBB29_9
.LBB29_8:                               ;   in Loop: Header=BB29_9 Depth=3
	s_add_co_i32 s52, s52, 1
	s_add_nc_u64 s[34:35], s[34:35], s[16:17]
	s_cmp_eq_u32 s52, s41
	s_cbranch_scc1 .LBB29_5
.LBB29_9:                               ;   Parent Loop BB29_3 Depth=1
                                        ;     Parent Loop BB29_6 Depth=2
                                        ; =>    This Loop Header: Depth=3
                                        ;         Child Loop BB29_18 Depth 4
	s_mul_i32 s44, s37, s52
	s_mov_b32 s45, exec_lo
	s_wait_alu 0xfffe
	v_subrev_nc_u32_e32 v11, s44, v5
	s_mov_b32 s44, 0
                                        ; implicit-def: $vgpr9
                                        ; implicit-def: $vgpr7
                                        ; implicit-def: $vgpr8
                                        ; implicit-def: $vgpr10
	s_delay_alu instid0(VALU_DEP_1)
	v_cmpx_lt_i32_e32 -1, v11
	s_xor_b32 s45, exec_lo, s45
	s_cbranch_execnz .LBB29_13
; %bb.10:                               ;   in Loop: Header=BB29_9 Depth=3
	s_wait_alu 0xfffe
	s_and_not1_saveexec_b32 s45, s45
	s_cbranch_execnz .LBB29_14
.LBB29_11:                              ;   in Loop: Header=BB29_9 Depth=3
	s_wait_alu 0xfffe
	s_or_b32 exec_lo, exec_lo, s45
	v_mov_b32_e32 v11, 1
	s_and_saveexec_b32 s45, s44
	s_cbranch_execnz .LBB29_15
.LBB29_12:                              ;   in Loop: Header=BB29_9 Depth=3
	s_wait_alu 0xfffe
	s_or_b32 exec_lo, exec_lo, s45
	s_delay_alu instid0(SALU_CYCLE_1)
	s_and_not1_b32 vcc_lo, exec_lo, s33
	s_wait_alu 0xfffe
	s_cbranch_vccz .LBB29_16
	s_branch .LBB29_8
.LBB29_13:                              ;   in Loop: Header=BB29_9 Depth=3
	v_sub_nc_u32_e32 v7, 0, v11
	s_delay_alu instid0(VALU_DEP_1) | instskip(NEXT) | instid1(VALU_DEP_1)
	v_max_i32_e32 v8, v11, v7
	v_mul_hi_u32 v7, v8, s65
	s_delay_alu instid0(VALU_DEP_1) | instskip(NEXT) | instid1(VALU_DEP_1)
	v_mul_lo_u32 v9, v7, s60
	v_sub_nc_u32_e32 v8, v8, v9
	v_ashrrev_i32_e32 v9, 31, v11
	s_delay_alu instid0(VALU_DEP_2) | instskip(SKIP_2) | instid1(VALU_DEP_2)
	v_subrev_nc_u32_e32 v10, s60, v8
	v_cmp_le_u32_e32 vcc_lo, s60, v8
	s_wait_alu 0xfffd
	v_cndmask_b32_e32 v12, v8, v10, vcc_lo
	s_delay_alu instid0(VALU_DEP_1) | instskip(SKIP_2) | instid1(VALU_DEP_2)
	v_subrev_nc_u32_e32 v13, s60, v12
	v_cmp_le_u32_e32 vcc_lo, s60, v12
	s_wait_alu 0xfffd
	v_cndmask_b32_e32 v11, v12, v13, vcc_lo
	s_delay_alu instid0(VALU_DEP_1) | instskip(NEXT) | instid1(VALU_DEP_1)
	v_xor_b32_e32 v11, v11, v9
	v_sub_nc_u32_e32 v11, v11, v9
	s_delay_alu instid0(VALU_DEP_1)
	v_cmp_ne_u32_e32 vcc_lo, 0, v11
                                        ; implicit-def: $vgpr11
	s_and_b32 s44, vcc_lo, exec_lo
	s_wait_alu 0xfffe
	s_and_not1_saveexec_b32 s45, s45
	s_cbranch_execz .LBB29_11
.LBB29_14:                              ;   in Loop: Header=BB29_9 Depth=3
	v_sub_nc_u32_e32 v7, 0, v11
	s_or_b32 s44, s44, exec_lo
	s_delay_alu instid0(VALU_DEP_1) | instskip(NEXT) | instid1(VALU_DEP_1)
	v_max_i32_e32 v8, v11, v7
	v_mul_hi_u32 v7, v8, s65
	s_delay_alu instid0(VALU_DEP_1) | instskip(NEXT) | instid1(VALU_DEP_1)
	v_mul_lo_u32 v9, v7, s60
	v_sub_nc_u32_e32 v8, v8, v9
	v_ashrrev_i32_e32 v9, 31, v11
	s_delay_alu instid0(VALU_DEP_2)
	v_subrev_nc_u32_e32 v10, s60, v8
	s_wait_alu 0xfffe
	s_or_b32 exec_lo, exec_lo, s45
	v_mov_b32_e32 v11, 1
	s_and_saveexec_b32 s45, s44
	s_cbranch_execz .LBB29_12
.LBB29_15:                              ;   in Loop: Header=BB29_9 Depth=3
	v_mov_b32_e32 v11, 0
	s_wait_alu 0xfffe
	s_or_b32 exec_lo, exec_lo, s45
	s_delay_alu instid0(SALU_CYCLE_1)
	s_and_not1_b32 vcc_lo, exec_lo, s33
	s_wait_alu 0xfffe
	s_cbranch_vccnz .LBB29_8
.LBB29_16:                              ;   in Loop: Header=BB29_9 Depth=3
	v_add_nc_u32_e32 v12, 1, v7
	v_cmp_le_u32_e32 vcc_lo, s60, v8
	v_xor_b32_e32 v9, s27, v9
	s_mov_b64 s[44:45], s[34:35]
	s_mov_b32 s53, s42
	s_wait_alu 0xfffd
	v_dual_cndmask_b32 v7, v7, v12 :: v_dual_cndmask_b32 v8, v8, v10
	s_delay_alu instid0(VALU_DEP_1) | instskip(NEXT) | instid1(VALU_DEP_2)
	v_add_nc_u32_e32 v10, 1, v7
	v_cmp_le_u32_e32 vcc_lo, s60, v8
	s_wait_alu 0xfffd
	s_delay_alu instid0(VALU_DEP_2) | instskip(NEXT) | instid1(VALU_DEP_1)
	v_cndmask_b32_e32 v7, v7, v10, vcc_lo
	v_xor_b32_e32 v7, v7, v9
	s_delay_alu instid0(VALU_DEP_1) | instskip(NEXT) | instid1(VALU_DEP_1)
	v_sub_nc_u32_e32 v10, v7, v9
	v_ashrrev_i32_e32 v9, 31, v10
	v_mul_lo_u32 v12, s59, v10
	v_mad_co_u64_u32 v[7:8], null, s58, v10, 0
	v_cmp_gt_i32_e32 vcc_lo, s25, v10
	s_delay_alu instid0(VALU_DEP_4) | instskip(SKIP_1) | instid1(VALU_DEP_2)
	v_mul_lo_u32 v9, s58, v9
	v_mov_b32_e32 v10, v6
	v_add3_u32 v8, v8, v9, v12
	s_delay_alu instid0(VALU_DEP_1) | instskip(SKIP_2) | instid1(VALU_DEP_2)
	v_lshlrev_b64_e32 v[8:9], 2, v[7:8]
	s_wait_alu 0xfffd
	v_cndmask_b32_e32 v7, 0, v11, vcc_lo
	v_add_co_u32 v8, vcc_lo, s30, v8
	s_wait_alu 0xfffd
	s_delay_alu instid0(VALU_DEP_3)
	v_add_co_ci_u32_e64 v9, null, s31, v9, vcc_lo
	s_branch .LBB29_18
.LBB29_17:                              ;   in Loop: Header=BB29_18 Depth=4
	s_wait_alu 0xfffe
	s_or_b32 exec_lo, exec_lo, s55
	v_subrev_nc_u32_e32 v10, s38, v10
	s_add_co_i32 s53, s53, -1
	s_add_nc_u64 s[44:45], s[44:45], s[14:15]
	s_cmp_eq_u32 s53, 0
	s_cbranch_scc1 .LBB29_8
.LBB29_18:                              ;   Parent Loop BB29_3 Depth=1
                                        ;     Parent Loop BB29_6 Depth=2
                                        ;       Parent Loop BB29_9 Depth=3
                                        ; =>      This Inner Loop Header: Depth=4
	v_sub_nc_u32_e32 v15, 0, v10
	s_mov_b32 s55, 0
	s_mov_b32 s66, exec_lo
                                        ; implicit-def: $vgpr13
                                        ; implicit-def: $vgpr11
                                        ; implicit-def: $vgpr12
                                        ; implicit-def: $vgpr14
	v_cmpx_lt_i32_e32 -1, v10
	s_wait_alu 0xfffe
	s_xor_b32 s66, exec_lo, s66
	s_cbranch_execnz .LBB29_24
; %bb.19:                               ;   in Loop: Header=BB29_18 Depth=4
	s_wait_alu 0xfffe
	s_and_not1_saveexec_b32 s66, s66
	s_cbranch_execnz .LBB29_25
.LBB29_20:                              ;   in Loop: Header=BB29_18 Depth=4
	s_wait_alu 0xfffe
	s_or_b32 exec_lo, exec_lo, s66
	v_mov_b32_e32 v15, 1
	s_and_saveexec_b32 s66, s55
.LBB29_21:                              ;   in Loop: Header=BB29_18 Depth=4
	v_mov_b32_e32 v15, 0
.LBB29_22:                              ;   in Loop: Header=BB29_18 Depth=4
	s_wait_alu 0xfffe
	s_or_b32 exec_lo, exec_lo, s66
	v_add_nc_u32_e32 v16, 1, v11
	v_cmp_le_u32_e32 vcc_lo, s61, v12
	v_xor_b32_e32 v13, s36, v13
	s_mov_b32 s55, exec_lo
	s_wait_alu 0xfffd
	v_dual_cndmask_b32 v11, v11, v16 :: v_dual_cndmask_b32 v12, v12, v14
	s_delay_alu instid0(VALU_DEP_1) | instskip(NEXT) | instid1(VALU_DEP_2)
	v_add_nc_u32_e32 v14, 1, v11
	v_cmp_le_u32_e32 vcc_lo, s61, v12
	s_wait_alu 0xfffd
	s_delay_alu instid0(VALU_DEP_2) | instskip(NEXT) | instid1(VALU_DEP_1)
	v_cndmask_b32_e32 v11, v11, v14, vcc_lo
	v_xor_b32_e32 v11, v11, v13
	s_delay_alu instid0(VALU_DEP_1) | instskip(NEXT) | instid1(VALU_DEP_1)
	v_sub_nc_u32_e32 v11, v11, v13
	v_cmp_gt_i32_e32 vcc_lo, s26, v11
	s_wait_alu 0xfffd
	v_cndmask_b32_e32 v12, 0, v15, vcc_lo
	s_delay_alu instid0(VALU_DEP_1) | instskip(NEXT) | instid1(VALU_DEP_1)
	v_and_b32_e32 v12, v12, v7
	v_and_b32_e32 v12, 1, v12
	s_delay_alu instid0(VALU_DEP_1)
	v_cmpx_eq_u32_e32 1, v12
	s_cbranch_execz .LBB29_17
; %bb.23:                               ;   in Loop: Header=BB29_18 Depth=4
	v_ashrrev_i32_e32 v13, 31, v11
	v_mul_lo_u32 v14, s57, v11
	v_mad_co_u64_u32 v[11:12], null, s56, v11, 0
	s_load_b32 s66, s[44:45], 0x0
	v_mul_lo_u32 v13, s56, v13
	s_delay_alu instid0(VALU_DEP_1) | instskip(NEXT) | instid1(VALU_DEP_1)
	v_add3_u32 v12, v12, v13, v14
	v_lshlrev_b64_e32 v[11:12], 2, v[11:12]
	s_wait_kmcnt 0x0
	v_cvt_f64_f32_e32 v[13:14], s66
	s_delay_alu instid0(VALU_DEP_2) | instskip(SKIP_1) | instid1(VALU_DEP_3)
	v_add_co_u32 v11, vcc_lo, v8, v11
	s_wait_alu 0xfffd
	v_add_co_ci_u32_e64 v12, null, v9, v12, vcc_lo
	global_load_b32 v11, v[11:12], off
	s_wait_loadcnt 0x0
	v_cvt_f64_f32_e32 v[11:12], v11
	s_delay_alu instid0(VALU_DEP_1)
	v_fma_f64 v[1:2], v[11:12], v[13:14], v[1:2]
	s_branch .LBB29_17
.LBB29_24:                              ;   in Loop: Header=BB29_18 Depth=4
	v_max_i32_e32 v12, v10, v15
	s_delay_alu instid0(VALU_DEP_1) | instskip(NEXT) | instid1(VALU_DEP_1)
	v_mul_hi_u32 v11, v12, s54
	v_mul_lo_u32 v13, v11, s61
	s_delay_alu instid0(VALU_DEP_1) | instskip(SKIP_1) | instid1(VALU_DEP_2)
	v_sub_nc_u32_e32 v12, v12, v13
	v_ashrrev_i32_e32 v13, 31, v10
	v_subrev_nc_u32_e32 v14, s61, v12
	v_cmp_le_u32_e32 vcc_lo, s61, v12
	s_wait_alu 0xfffd
	s_delay_alu instid0(VALU_DEP_2) | instskip(NEXT) | instid1(VALU_DEP_1)
	v_cndmask_b32_e32 v15, v12, v14, vcc_lo
	v_subrev_nc_u32_e32 v16, s61, v15
	v_cmp_le_u32_e32 vcc_lo, s61, v15
	s_wait_alu 0xfffd
	s_delay_alu instid0(VALU_DEP_2) | instskip(NEXT) | instid1(VALU_DEP_1)
	v_cndmask_b32_e32 v15, v15, v16, vcc_lo
	v_xor_b32_e32 v15, v15, v13
	s_delay_alu instid0(VALU_DEP_1) | instskip(NEXT) | instid1(VALU_DEP_1)
	v_sub_nc_u32_e32 v15, v15, v13
	v_cmp_ne_u32_e32 vcc_lo, 0, v15
                                        ; implicit-def: $vgpr15
	s_and_b32 s55, vcc_lo, exec_lo
	s_wait_alu 0xfffe
	s_and_not1_saveexec_b32 s66, s66
	s_cbranch_execz .LBB29_20
.LBB29_25:                              ;   in Loop: Header=BB29_18 Depth=4
	v_max_i32_e32 v12, v10, v15
	s_or_b32 s55, s55, exec_lo
	s_delay_alu instid0(VALU_DEP_1) | instskip(NEXT) | instid1(VALU_DEP_1)
	v_mul_hi_u32 v11, v12, s54
	v_mul_lo_u32 v13, v11, s61
	s_delay_alu instid0(VALU_DEP_1) | instskip(SKIP_1) | instid1(VALU_DEP_2)
	v_sub_nc_u32_e32 v12, v12, v13
	v_ashrrev_i32_e32 v13, 31, v10
	v_subrev_nc_u32_e32 v14, s61, v12
	s_wait_alu 0xfffe
	s_or_b32 exec_lo, exec_lo, s66
	v_mov_b32_e32 v15, 1
	s_and_saveexec_b32 s66, s55
	s_cbranch_execnz .LBB29_21
	s_branch .LBB29_22
.LBB29_26:                              ;   in Loop: Header=BB29_3 Depth=1
	v_mov_b32_e32 v1, 0
	v_mov_b32_e32 v2, 0
.LBB29_27:                              ;   in Loop: Header=BB29_3 Depth=1
	v_ashrrev_i32_e32 v6, 31, v4
	v_mul_lo_u32 v8, s7, v4
	v_mad_co_u64_u32 v[4:5], null, s6, v4, 0
	v_ashrrev_i32_e32 v9, 31, v3
	s_delay_alu instid0(VALU_DEP_4) | instskip(SKIP_2) | instid1(VALU_DEP_4)
	v_mul_lo_u32 v10, s6, v6
	v_mul_lo_u32 v11, s5, v3
	v_mad_co_u64_u32 v[6:7], null, s4, v3, 0
	v_mul_lo_u32 v3, s4, v9
	s_delay_alu instid0(VALU_DEP_4) | instskip(NEXT) | instid1(VALU_DEP_2)
	v_add3_u32 v5, v5, v10, v8
	v_add3_u32 v7, v7, v3, v11
	s_delay_alu instid0(VALU_DEP_2) | instskip(NEXT) | instid1(VALU_DEP_2)
	v_lshlrev_b64_e32 v[3:4], 2, v[4:5]
	v_lshlrev_b64_e32 v[5:6], 2, v[6:7]
	s_delay_alu instid0(VALU_DEP_2) | instskip(SKIP_1) | instid1(VALU_DEP_3)
	v_add_co_u32 v3, vcc_lo, s0, v3
	s_wait_alu 0xfffd
	v_add_co_ci_u32_e64 v4, null, s1, v4, vcc_lo
	s_delay_alu instid0(VALU_DEP_2) | instskip(SKIP_1) | instid1(VALU_DEP_2)
	v_add_co_u32 v3, vcc_lo, v3, v5
	s_wait_alu 0xfffd
	v_add_co_ci_u32_e64 v4, null, v4, v6, vcc_lo
	s_and_not1_b32 vcc_lo, exec_lo, s46
	s_wait_alu 0xfffe
	s_cbranch_vccnz .LBB29_2
; %bb.28:                               ;   in Loop: Header=BB29_3 Depth=1
	global_load_b32 v5, v[3:4], off
	s_wait_loadcnt 0x0
	v_cvt_f64_f32_e32 v[5:6], v5
	s_delay_alu instid0(VALU_DEP_1) | instskip(NEXT) | instid1(VALU_DEP_1)
	v_mul_f64_e32 v[5:6], s[50:51], v[5:6]
	v_fma_f64 v[1:2], s[48:49], v[1:2], v[5:6]
	s_branch .LBB29_2
.LBB29_29:
	s_endpgm
	.section	.rodata,"a",@progbits
	.p2align	6, 0x0
	.amdhsa_kernel naive_conv_ab_nonpacked_bwd_nchw_float_double_float_0
		.amdhsa_group_segment_fixed_size 0
		.amdhsa_private_segment_fixed_size 0
		.amdhsa_kernarg_size 480
		.amdhsa_user_sgpr_count 2
		.amdhsa_user_sgpr_dispatch_ptr 0
		.amdhsa_user_sgpr_queue_ptr 0
		.amdhsa_user_sgpr_kernarg_segment_ptr 1
		.amdhsa_user_sgpr_dispatch_id 0
		.amdhsa_user_sgpr_private_segment_size 0
		.amdhsa_wavefront_size32 1
		.amdhsa_uses_dynamic_stack 0
		.amdhsa_enable_private_segment 0
		.amdhsa_system_sgpr_workgroup_id_x 1
		.amdhsa_system_sgpr_workgroup_id_y 0
		.amdhsa_system_sgpr_workgroup_id_z 0
		.amdhsa_system_sgpr_workgroup_info 0
		.amdhsa_system_vgpr_workitem_id 0
		.amdhsa_next_free_vgpr 17
		.amdhsa_next_free_sgpr 69
		.amdhsa_reserve_vcc 1
		.amdhsa_float_round_mode_32 0
		.amdhsa_float_round_mode_16_64 0
		.amdhsa_float_denorm_mode_32 3
		.amdhsa_float_denorm_mode_16_64 3
		.amdhsa_fp16_overflow 0
		.amdhsa_workgroup_processor_mode 1
		.amdhsa_memory_ordered 1
		.amdhsa_forward_progress 1
		.amdhsa_inst_pref_size 19
		.amdhsa_round_robin_scheduling 0
		.amdhsa_exception_fp_ieee_invalid_op 0
		.amdhsa_exception_fp_denorm_src 0
		.amdhsa_exception_fp_ieee_div_zero 0
		.amdhsa_exception_fp_ieee_overflow 0
		.amdhsa_exception_fp_ieee_underflow 0
		.amdhsa_exception_fp_ieee_inexact 0
		.amdhsa_exception_int_div_zero 0
	.end_amdhsa_kernel
	.text
.Lfunc_end29:
	.size	naive_conv_ab_nonpacked_bwd_nchw_float_double_float_0, .Lfunc_end29-naive_conv_ab_nonpacked_bwd_nchw_float_double_float_0
                                        ; -- End function
	.set naive_conv_ab_nonpacked_bwd_nchw_float_double_float_0.num_vgpr, 17
	.set naive_conv_ab_nonpacked_bwd_nchw_float_double_float_0.num_agpr, 0
	.set naive_conv_ab_nonpacked_bwd_nchw_float_double_float_0.numbered_sgpr, 69
	.set naive_conv_ab_nonpacked_bwd_nchw_float_double_float_0.num_named_barrier, 0
	.set naive_conv_ab_nonpacked_bwd_nchw_float_double_float_0.private_seg_size, 0
	.set naive_conv_ab_nonpacked_bwd_nchw_float_double_float_0.uses_vcc, 1
	.set naive_conv_ab_nonpacked_bwd_nchw_float_double_float_0.uses_flat_scratch, 0
	.set naive_conv_ab_nonpacked_bwd_nchw_float_double_float_0.has_dyn_sized_stack, 0
	.set naive_conv_ab_nonpacked_bwd_nchw_float_double_float_0.has_recursion, 0
	.set naive_conv_ab_nonpacked_bwd_nchw_float_double_float_0.has_indirect_call, 0
	.section	.AMDGPU.csdata,"",@progbits
; Kernel info:
; codeLenInByte = 2336
; TotalNumSgprs: 71
; NumVgprs: 17
; ScratchSize: 0
; MemoryBound: 0
; FloatMode: 240
; IeeeMode: 1
; LDSByteSize: 0 bytes/workgroup (compile time only)
; SGPRBlocks: 0
; VGPRBlocks: 2
; NumSGPRsForWavesPerEU: 71
; NumVGPRsForWavesPerEU: 17
; Occupancy: 16
; WaveLimiterHint : 0
; COMPUTE_PGM_RSRC2:SCRATCH_EN: 0
; COMPUTE_PGM_RSRC2:USER_SGPR: 2
; COMPUTE_PGM_RSRC2:TRAP_HANDLER: 0
; COMPUTE_PGM_RSRC2:TGID_X_EN: 1
; COMPUTE_PGM_RSRC2:TGID_Y_EN: 0
; COMPUTE_PGM_RSRC2:TGID_Z_EN: 0
; COMPUTE_PGM_RSRC2:TIDIG_COMP_CNT: 0
	.text
	.protected	naive_conv_ab_packed_bwd_nchw_float_double_float_1 ; -- Begin function naive_conv_ab_packed_bwd_nchw_float_double_float_1
	.globl	naive_conv_ab_packed_bwd_nchw_float_double_float_1
	.p2align	8
	.type	naive_conv_ab_packed_bwd_nchw_float_double_float_1,@function
naive_conv_ab_packed_bwd_nchw_float_double_float_1: ; @naive_conv_ab_packed_bwd_nchw_float_double_float_1
; %bb.0:
	s_load_b512 s[4:19], s[0:1], 0xa0
	s_mov_b32 s26, exec_lo
	s_wait_kmcnt 0x0
	s_abs_i32 s3, s8
	s_delay_alu instid0(SALU_CYCLE_1) | instskip(NEXT) | instid1(SALU_CYCLE_3)
	s_cvt_f32_u32 s2, s3
	v_rcp_iflag_f32_e32 v1, s2
	s_delay_alu instid0(TRANS32_DEP_1) | instskip(SKIP_2) | instid1(SALU_CYCLE_2)
	v_readfirstlane_b32 s2, v1
	s_mul_f32 s2, s2, 0x4f7ffffe
	s_wait_alu 0xfffe
	s_cvt_u32_f32 s20, s2
	s_sub_co_i32 s2, 0, s3
	s_wait_alu 0xfffe
	s_delay_alu instid0(SALU_CYCLE_1)
	s_mul_i32 s2, s2, s20
	s_wait_alu 0xfffe
	s_mul_hi_u32 s21, s20, s2
	s_abs_i32 s2, ttmp9
	s_add_co_i32 s20, s20, s21
	s_wait_alu 0xfffe
	s_mul_hi_u32 s20, s2, s20
	s_delay_alu instid0(SALU_CYCLE_1) | instskip(SKIP_2) | instid1(SALU_CYCLE_1)
	s_mul_i32 s21, s20, s3
	s_add_co_i32 s22, s20, 1
	s_sub_co_i32 s21, s2, s21
	s_sub_co_i32 s23, s21, s3
	s_cmp_ge_u32 s21, s3
	s_cselect_b32 s20, s22, s20
	s_cselect_b32 s21, s23, s21
	s_add_co_i32 s23, s20, 1
	s_cmp_ge_u32 s21, s3
	s_mul_i32 s22, s8, s6
	s_cselect_b32 s23, s23, s20
	s_abs_i32 s21, s6
	s_abs_i32 s20, s22
	s_cvt_f32_u32 s3, s21
	s_cvt_f32_u32 s6, s20
	s_wait_alu 0xfffe
	s_delay_alu instid0(SALU_CYCLE_1) | instskip(NEXT) | instid1(SALU_CYCLE_1)
	v_rcp_iflag_f32_e32 v1, s3
	v_rcp_iflag_f32_e32 v2, s6
	s_mul_i32 s6, s5, s4
	s_mov_b32 s3, 0
	s_delay_alu instid0(TRANS32_DEP_2) | instskip(NEXT) | instid1(TRANS32_DEP_1)
	v_readfirstlane_b32 s25, v1
	v_readfirstlane_b32 s24, v2
	s_wait_alu 0xfffe
	v_cmpx_gt_i32_e64 s6, v0
	s_cbranch_execz .LBB30_29
; %bb.1:
	s_mul_f32 s25, s25, 0x4f7ffffe
	s_ashr_i32 s28, ttmp9, 31
	s_ashr_i32 s37, s8, 31
	s_mul_f32 s29, s24, 0x4f7ffffe
	s_cvt_u32_f32 s25, s25
	s_sub_co_i32 s26, 0, s21
	s_xor_b32 s27, s28, s37
	s_cvt_u32_f32 s29, s29
	s_xor_b32 s23, s23, s27
	s_mul_i32 s26, s26, s25
	s_sub_co_i32 s23, s23, s27
	s_mul_hi_u32 s26, s25, s26
	s_sub_co_i32 s30, 0, s20
	s_abs_i32 s24, s23
	s_add_co_i32 s26, s25, s26
	s_mov_b32 s25, s3
	s_mov_b32 s27, s3
	s_mul_i32 s30, s30, s29
	s_mul_u64 s[26:27], s[24:25], s[26:27]
	s_mul_hi_u32 s26, s29, s30
	s_ashr_i32 s30, s22, 31
	s_add_co_i32 s22, s29, s26
	s_mul_i32 s26, s27, s21
	s_ashr_i32 s25, s23, 31
	s_mul_i32 s23, s23, s8
	s_sub_co_i32 s24, s24, s26
	s_sub_co_i32 s38, ttmp9, s23
	s_sub_co_i32 s23, s24, s21
	s_cmp_ge_u32 s24, s21
	s_mov_b32 s36, s8
	s_cselect_b32 s24, s23, s24
	s_mov_b32 s23, s3
	s_sub_co_i32 s26, s24, s21
	s_cmp_ge_u32 s24, s21
	s_mul_u64 s[22:23], s[2:3], s[22:23]
	s_cselect_b32 s21, s26, s24
	s_xor_b32 s26, s28, s30
	s_xor_b32 s21, s21, s25
	s_mov_b32 s30, s4
	s_sub_co_i32 s22, s21, s25
	s_mul_i32 s21, s23, s20
	s_mov_b32 s28, s5
	s_sub_co_i32 s2, s2, s21
	s_add_co_i32 s21, s23, 1
	s_wait_alu 0xfffe
	s_sub_co_i32 s24, s2, s20
	s_cmp_ge_u32 s2, s20
	s_cselect_b32 s21, s21, s23
	s_cselect_b32 s2, s24, s2
	s_add_co_i32 s23, s21, 1
	s_wait_alu 0xfffe
	s_cmp_ge_u32 s2, s20
	s_mul_i32 s24, s19, s8
	s_cselect_b32 s2, s23, s21
	s_ashr_i32 s23, s22, 31
	s_wait_alu 0xfffe
	s_xor_b32 s2, s2, s26
	s_ashr_i32 s25, s24, 31
	s_wait_alu 0xfffe
	s_sub_co_i32 s26, s2, s26
	s_mul_u64 s[24:25], s[22:23], s[24:25]
	s_ashr_i32 s27, s26, 31
	s_ashr_i32 s39, s38, 31
	s_mul_i32 s20, s19, s7
	s_ashr_i32 s31, s4, 31
	s_mul_u64 s[34:35], s[26:27], s[36:37]
	s_ashr_i32 s29, s5, 31
	s_add_nc_u64 s[24:25], s[24:25], s[38:39]
	s_ashr_i32 s21, s20, 31
	s_add_nc_u64 s[24:25], s[24:25], s[34:35]
	s_mul_u64 s[34:35], s[28:29], s[30:31]
	s_ashr_i32 s31, s7, 31
	s_mov_b32 s30, s7
	s_mul_u64 s[20:21], s[22:23], s[20:21]
	s_mul_u64 s[40:41], s[26:27], s[30:31]
	s_ashr_i32 s31, s9, 31
	s_mov_b32 s30, s9
	s_ashr_i32 s9, s10, 31
	s_mov_b32 s8, s10
	s_mul_u64 s[22:23], s[34:35], s[24:25]
	s_mul_u64 s[24:25], s[8:9], s[30:31]
	s_add_nc_u64 s[20:21], s[40:41], s[20:21]
	s_lshl_b64 s[42:43], s[22:23], 2
	s_mul_u64 s[20:21], s[24:25], s[20:21]
	s_ashr_i32 s35, s17, 31
	s_lshl_b64 s[50:51], s[20:21], 2
	s_load_b256 s[20:27], s[0:1], 0x0
	s_ashr_i32 s19, s18, 31
	s_cmp_gt_i32 s7, 0
	s_load_b32 s10, s[0:1], 0xec
	s_cselect_b32 s33, -1, 0
	s_cmp_gt_i32 s17, 0
	s_cselect_b32 s44, -1, 0
	s_cmp_gt_i32 s18, 0
	s_cselect_b32 s45, -1, 0
	s_abs_i32 s46, s5
	s_abs_i32 s47, s11
	s_cvt_f32_u32 s2, s46
	s_load_b64 s[4:5], s[0:1], 0x20
	s_abs_i32 s48, s12
	s_ashr_i32 s12, s12, 31
	v_rcp_iflag_f32_e32 v1, s2
	s_cvt_f32_u32 s2, s47
	s_cvt_f32_u32 s49, s48
	s_wait_kmcnt 0x0
	v_cmp_neq_f64_e64 s52, s[26:27], 0
	s_add_nc_u64 s[0:1], s[20:21], s[42:43]
	s_wait_alu 0xfffe
	v_rcp_iflag_f32_e32 v2, s2
	v_cmp_neq_f64_e64 s2, s[24:25], 1.0
	s_mul_u64 s[20:21], s[40:41], s[36:37]
	v_readfirstlane_b32 s34, v1
	v_rcp_iflag_f32_e32 v1, s49
	s_delay_alu instid0(TRANS32_DEP_2)
	v_readfirstlane_b32 s43, v2
	s_mul_f32 s42, s34, 0x4f7ffffe
	s_mov_b32 s34, s17
	s_and_b32 s17, s10, 0xffff
	s_add_nc_u64 s[4:5], s[4:5], s[50:51]
	s_mul_f32 s41, s43, 0x4f7ffffe
	s_cvt_u32_f32 s40, s42
	s_sub_co_i32 s42, 0, s46
	s_sub_co_i32 s43, 0, s47
	s_cvt_u32_f32 s10, s41
	v_readfirstlane_b32 s41, v1
	s_mul_i32 s42, s42, s40
	s_ashr_i32 s50, s11, 31
	s_mul_hi_u32 s42, s40, s42
	s_mul_i32 s43, s43, s10
	s_add_co_i32 s49, s40, s42
	s_mul_f32 s40, s41, 0x4f7ffffe
	s_mul_hi_u32 s41, s10, s43
	s_delay_alu instid0(SALU_CYCLE_1) | instskip(NEXT) | instid1(SALU_CYCLE_1)
	s_add_co_i32 s51, s10, s41
	s_cvt_u32_f32 s42, s40
	s_mul_u64 s[40:41], s[18:19], s[34:35]
	s_sub_co_i32 s35, 0, s48
	s_add_nc_u64 s[10:11], s[20:21], s[38:39]
	s_mul_i32 s35, s35, s42
	s_mul_u64 s[10:11], s[40:41], s[10:11]
	s_mul_hi_u32 s20, s42, s35
	s_lshl_b64 s[10:11], s[10:11], 2
	s_add_co_i32 s35, s42, s20
	s_mul_u64 s[20:21], s[40:41], s[36:37]
	s_add_nc_u64 s[10:11], s[22:23], s[10:11]
	s_or_b32 s52, s2, s52
	s_lshl_b64 s[20:21], s[20:21], 2
	s_lshl_b64 s[22:23], s[18:19], 2
	s_mov_b32 s19, 0
	s_branch .LBB30_3
.LBB30_2:                               ;   in Loop: Header=BB30_3 Depth=1
	s_delay_alu instid0(VALU_DEP_1) | instskip(SKIP_1) | instid1(VALU_DEP_1)
	v_cvt_f32_f64_e32 v1, v[1:2]
	v_add_nc_u32_e32 v0, s17, v0
	v_cmp_le_i32_e32 vcc_lo, s6, v0
	s_or_b32 s19, vcc_lo, s19
	global_store_b32 v[3:4], v1, off
	s_and_not1_b32 exec_lo, exec_lo, s19
	s_cbranch_execz .LBB30_29
.LBB30_3:                               ; =>This Loop Header: Depth=1
                                        ;     Child Loop BB30_6 Depth 2
                                        ;       Child Loop BB30_9 Depth 3
                                        ;         Child Loop BB30_18 Depth 4
	v_sub_nc_u32_e32 v1, 0, v0
	s_delay_alu instid0(VALU_DEP_1) | instskip(SKIP_1) | instid1(VALU_DEP_1)
	v_max_i32_e32 v1, v0, v1
	s_wait_alu 0xfffe
	v_mul_hi_u32 v2, v1, s49
	s_delay_alu instid0(VALU_DEP_1) | instskip(NEXT) | instid1(VALU_DEP_1)
	v_mul_lo_u32 v3, v2, s46
	v_sub_nc_u32_e32 v1, v1, v3
	v_add_nc_u32_e32 v3, 1, v2
	s_delay_alu instid0(VALU_DEP_2) | instskip(SKIP_2) | instid1(VALU_DEP_2)
	v_subrev_nc_u32_e32 v4, s46, v1
	v_cmp_le_u32_e32 vcc_lo, s46, v1
	s_wait_alu 0xfffd
	v_dual_cndmask_b32 v2, v2, v3 :: v_dual_cndmask_b32 v1, v1, v4
	v_ashrrev_i32_e32 v3, 31, v0
	s_delay_alu instid0(VALU_DEP_2) | instskip(NEXT) | instid1(VALU_DEP_3)
	v_add_nc_u32_e32 v4, 1, v2
	v_cmp_le_u32_e32 vcc_lo, s46, v1
	s_delay_alu instid0(VALU_DEP_3) | instskip(SKIP_1) | instid1(VALU_DEP_3)
	v_xor_b32_e32 v3, s29, v3
	s_wait_alu 0xfffd
	v_cndmask_b32_e32 v1, v2, v4, vcc_lo
	s_and_not1_b32 vcc_lo, exec_lo, s33
	s_delay_alu instid0(VALU_DEP_1) | instskip(NEXT) | instid1(VALU_DEP_1)
	v_xor_b32_e32 v1, v1, v3
	v_sub_nc_u32_e32 v6, v1, v3
	s_delay_alu instid0(VALU_DEP_1) | instskip(NEXT) | instid1(VALU_DEP_1)
	v_mul_lo_u32 v1, v6, s28
	v_sub_nc_u32_e32 v3, v0, v1
	s_wait_alu 0xfffe
	s_cbranch_vccnz .LBB30_26
; %bb.4:                                ;   in Loop: Header=BB30_3 Depth=1
	s_delay_alu instid0(VALU_DEP_1)
	v_dual_mov_b32 v1, 0 :: v_dual_add_nc_u32 v8, s16, v3
	v_dual_mov_b32 v2, 0 :: v_dual_add_nc_u32 v7, s15, v6
	s_mov_b32 s2, 0
	s_mov_b64 s[36:37], s[10:11]
	s_branch .LBB30_6
.LBB30_5:                               ;   in Loop: Header=BB30_6 Depth=2
	s_add_co_i32 s2, s2, 1
	s_add_nc_u64 s[36:37], s[36:37], s[20:21]
	s_wait_alu 0xfffe
	s_cmp_eq_u32 s2, s7
	s_cbranch_scc1 .LBB30_27
.LBB30_6:                               ;   Parent Loop BB30_3 Depth=1
                                        ; =>  This Loop Header: Depth=2
                                        ;       Child Loop BB30_9 Depth 3
                                        ;         Child Loop BB30_18 Depth 4
	s_and_not1_b32 vcc_lo, exec_lo, s44
	s_wait_alu 0xfffe
	s_cbranch_vccnz .LBB30_5
; %bb.7:                                ;   in Loop: Header=BB30_6 Depth=2
	s_mul_u64 s[38:39], s[2:3], s[30:31]
	s_mov_b32 s53, 0
	s_mov_b64 s[40:41], s[36:37]
	s_branch .LBB30_9
.LBB30_8:                               ;   in Loop: Header=BB30_9 Depth=3
	s_add_co_i32 s53, s53, 1
	s_add_nc_u64 s[40:41], s[40:41], s[22:23]
	s_cmp_eq_u32 s53, s34
	s_cbranch_scc1 .LBB30_5
.LBB30_9:                               ;   Parent Loop BB30_3 Depth=1
                                        ;     Parent Loop BB30_6 Depth=2
                                        ; =>    This Loop Header: Depth=3
                                        ;         Child Loop BB30_18 Depth 4
	s_mul_i32 s42, s13, s53
	s_mov_b32 s43, exec_lo
	s_wait_alu 0xfffe
	v_subrev_nc_u32_e32 v11, s42, v7
	s_mov_b32 s42, 0
                                        ; implicit-def: $vgpr9
                                        ; implicit-def: $vgpr4
                                        ; implicit-def: $vgpr5
                                        ; implicit-def: $vgpr10
	s_delay_alu instid0(VALU_DEP_1)
	v_cmpx_lt_i32_e32 -1, v11
	s_xor_b32 s43, exec_lo, s43
	s_cbranch_execnz .LBB30_13
; %bb.10:                               ;   in Loop: Header=BB30_9 Depth=3
	s_wait_alu 0xfffe
	s_and_not1_saveexec_b32 s43, s43
	s_cbranch_execnz .LBB30_14
.LBB30_11:                              ;   in Loop: Header=BB30_9 Depth=3
	s_wait_alu 0xfffe
	s_or_b32 exec_lo, exec_lo, s43
	v_mov_b32_e32 v11, 1
	s_and_saveexec_b32 s43, s42
	s_cbranch_execnz .LBB30_15
.LBB30_12:                              ;   in Loop: Header=BB30_9 Depth=3
	s_wait_alu 0xfffe
	s_or_b32 exec_lo, exec_lo, s43
	s_delay_alu instid0(SALU_CYCLE_1)
	s_and_not1_b32 vcc_lo, exec_lo, s45
	s_wait_alu 0xfffe
	s_cbranch_vccz .LBB30_16
	s_branch .LBB30_8
.LBB30_13:                              ;   in Loop: Header=BB30_9 Depth=3
	v_sub_nc_u32_e32 v4, 0, v11
	s_delay_alu instid0(VALU_DEP_1) | instskip(NEXT) | instid1(VALU_DEP_1)
	v_max_i32_e32 v5, v11, v4
	v_mul_hi_u32 v4, v5, s51
	s_delay_alu instid0(VALU_DEP_1) | instskip(NEXT) | instid1(VALU_DEP_1)
	v_mul_lo_u32 v9, v4, s47
	v_sub_nc_u32_e32 v5, v5, v9
	v_ashrrev_i32_e32 v9, 31, v11
	s_delay_alu instid0(VALU_DEP_2) | instskip(SKIP_2) | instid1(VALU_DEP_2)
	v_subrev_nc_u32_e32 v10, s47, v5
	v_cmp_le_u32_e32 vcc_lo, s47, v5
	s_wait_alu 0xfffd
	v_cndmask_b32_e32 v12, v5, v10, vcc_lo
	s_delay_alu instid0(VALU_DEP_1) | instskip(SKIP_2) | instid1(VALU_DEP_2)
	v_subrev_nc_u32_e32 v13, s47, v12
	v_cmp_le_u32_e32 vcc_lo, s47, v12
	s_wait_alu 0xfffd
	v_cndmask_b32_e32 v11, v12, v13, vcc_lo
	s_delay_alu instid0(VALU_DEP_1) | instskip(NEXT) | instid1(VALU_DEP_1)
	v_xor_b32_e32 v11, v11, v9
	v_sub_nc_u32_e32 v11, v11, v9
	s_delay_alu instid0(VALU_DEP_1)
	v_cmp_ne_u32_e32 vcc_lo, 0, v11
                                        ; implicit-def: $vgpr11
	s_and_b32 s42, vcc_lo, exec_lo
	s_wait_alu 0xfffe
	s_and_not1_saveexec_b32 s43, s43
	s_cbranch_execz .LBB30_11
.LBB30_14:                              ;   in Loop: Header=BB30_9 Depth=3
	v_sub_nc_u32_e32 v4, 0, v11
	s_or_b32 s42, s42, exec_lo
	s_delay_alu instid0(VALU_DEP_1) | instskip(NEXT) | instid1(VALU_DEP_1)
	v_max_i32_e32 v5, v11, v4
	v_mul_hi_u32 v4, v5, s51
	s_delay_alu instid0(VALU_DEP_1) | instskip(NEXT) | instid1(VALU_DEP_1)
	v_mul_lo_u32 v9, v4, s47
	v_sub_nc_u32_e32 v5, v5, v9
	v_ashrrev_i32_e32 v9, 31, v11
	s_delay_alu instid0(VALU_DEP_2)
	v_subrev_nc_u32_e32 v10, s47, v5
	s_wait_alu 0xfffe
	s_or_b32 exec_lo, exec_lo, s43
	v_mov_b32_e32 v11, 1
	s_and_saveexec_b32 s43, s42
	s_cbranch_execz .LBB30_12
.LBB30_15:                              ;   in Loop: Header=BB30_9 Depth=3
	v_mov_b32_e32 v11, 0
	s_wait_alu 0xfffe
	s_or_b32 exec_lo, exec_lo, s43
	s_delay_alu instid0(SALU_CYCLE_1)
	s_and_not1_b32 vcc_lo, exec_lo, s45
	s_wait_alu 0xfffe
	s_cbranch_vccnz .LBB30_8
.LBB30_16:                              ;   in Loop: Header=BB30_9 Depth=3
	v_cmp_le_u32_e32 vcc_lo, s47, v5
	v_add_nc_u32_e32 v12, 1, v4
	v_xor_b32_e32 v9, s50, v9
	s_mov_b64 s[42:43], s[40:41]
	s_mov_b32 s54, s18
	s_wait_alu 0xfffd
	v_dual_cndmask_b32 v5, v5, v10 :: v_dual_cndmask_b32 v4, v4, v12
	s_delay_alu instid0(VALU_DEP_1) | instskip(NEXT) | instid1(VALU_DEP_2)
	v_cmp_le_u32_e32 vcc_lo, s47, v5
	v_add_nc_u32_e32 v10, 1, v4
	s_wait_alu 0xfffd
	s_delay_alu instid0(VALU_DEP_1) | instskip(NEXT) | instid1(VALU_DEP_1)
	v_cndmask_b32_e32 v4, v4, v10, vcc_lo
	v_xor_b32_e32 v4, v4, v9
	s_delay_alu instid0(VALU_DEP_1) | instskip(NEXT) | instid1(VALU_DEP_1)
	v_sub_nc_u32_e32 v9, v4, v9
	v_ashrrev_i32_e32 v4, 31, v9
	v_add_co_u32 v5, vcc_lo, s38, v9
	s_wait_alu 0xfffd
	s_delay_alu instid0(VALU_DEP_2) | instskip(NEXT) | instid1(VALU_DEP_2)
	v_add_co_ci_u32_e64 v10, null, s39, v4, vcc_lo
	v_mul_lo_u32 v12, v5, s9
	v_mad_co_u64_u32 v[4:5], null, v5, s8, 0
	s_delay_alu instid0(VALU_DEP_3) | instskip(SKIP_3) | instid1(VALU_DEP_3)
	v_mul_lo_u32 v10, v10, s8
	v_cmp_gt_i32_e32 vcc_lo, s30, v9
	s_wait_alu 0xfffd
	v_cndmask_b32_e32 v9, 0, v11, vcc_lo
	v_add3_u32 v5, v5, v12, v10
	v_mov_b32_e32 v12, v8
	s_delay_alu instid0(VALU_DEP_2) | instskip(NEXT) | instid1(VALU_DEP_1)
	v_lshlrev_b64_e32 v[4:5], 2, v[4:5]
	v_add_co_u32 v10, vcc_lo, s4, v4
	s_wait_alu 0xfffd
	s_delay_alu instid0(VALU_DEP_2)
	v_add_co_ci_u32_e64 v11, null, s5, v5, vcc_lo
	s_branch .LBB30_18
.LBB30_17:                              ;   in Loop: Header=BB30_18 Depth=4
	s_or_b32 exec_lo, exec_lo, s55
	v_subrev_nc_u32_e32 v12, s14, v12
	s_add_co_i32 s54, s54, -1
	s_wait_alu 0xfffe
	s_add_nc_u64 s[42:43], s[42:43], 4
	s_cmp_eq_u32 s54, 0
	s_cbranch_scc1 .LBB30_8
.LBB30_18:                              ;   Parent Loop BB30_3 Depth=1
                                        ;     Parent Loop BB30_6 Depth=2
                                        ;       Parent Loop BB30_9 Depth=3
                                        ; =>      This Inner Loop Header: Depth=4
	v_sub_nc_u32_e32 v15, 0, v12
	s_mov_b32 s55, 0
	s_mov_b32 s56, exec_lo
                                        ; implicit-def: $vgpr13
                                        ; implicit-def: $vgpr4
                                        ; implicit-def: $vgpr5
                                        ; implicit-def: $vgpr14
	v_cmpx_lt_i32_e32 -1, v12
	s_wait_alu 0xfffe
	s_xor_b32 s56, exec_lo, s56
	s_cbranch_execnz .LBB30_24
; %bb.19:                               ;   in Loop: Header=BB30_18 Depth=4
	s_wait_alu 0xfffe
	s_and_not1_saveexec_b32 s56, s56
	s_cbranch_execnz .LBB30_25
.LBB30_20:                              ;   in Loop: Header=BB30_18 Depth=4
	s_wait_alu 0xfffe
	s_or_b32 exec_lo, exec_lo, s56
	v_mov_b32_e32 v15, 1
	s_and_saveexec_b32 s56, s55
.LBB30_21:                              ;   in Loop: Header=BB30_18 Depth=4
	v_mov_b32_e32 v15, 0
.LBB30_22:                              ;   in Loop: Header=BB30_18 Depth=4
	s_wait_alu 0xfffe
	s_or_b32 exec_lo, exec_lo, s56
	v_cmp_le_u32_e32 vcc_lo, s48, v5
	v_add_nc_u32_e32 v16, 1, v4
	v_xor_b32_e32 v13, s12, v13
	s_mov_b32 s55, exec_lo
	s_wait_alu 0xfffd
	s_delay_alu instid0(VALU_DEP_2) | instskip(NEXT) | instid1(VALU_DEP_1)
	v_dual_cndmask_b32 v5, v5, v14 :: v_dual_cndmask_b32 v4, v4, v16
	v_cmp_le_u32_e32 vcc_lo, s48, v5
	s_delay_alu instid0(VALU_DEP_2) | instskip(SKIP_1) | instid1(VALU_DEP_1)
	v_add_nc_u32_e32 v14, 1, v4
	s_wait_alu 0xfffd
	v_cndmask_b32_e32 v4, v4, v14, vcc_lo
	s_delay_alu instid0(VALU_DEP_1) | instskip(NEXT) | instid1(VALU_DEP_1)
	v_xor_b32_e32 v4, v4, v13
	v_sub_nc_u32_e32 v4, v4, v13
	s_delay_alu instid0(VALU_DEP_1) | instskip(SKIP_2) | instid1(VALU_DEP_1)
	v_cmp_gt_i32_e32 vcc_lo, s8, v4
	s_wait_alu 0xfffd
	v_cndmask_b32_e32 v5, 0, v15, vcc_lo
	v_and_b32_e32 v5, v5, v9
	s_delay_alu instid0(VALU_DEP_1) | instskip(NEXT) | instid1(VALU_DEP_1)
	v_and_b32_e32 v5, 1, v5
	v_cmpx_eq_u32_e32 1, v5
	s_cbranch_execz .LBB30_17
; %bb.23:                               ;   in Loop: Header=BB30_18 Depth=4
	v_ashrrev_i32_e32 v5, 31, v4
	s_load_b32 s56, s[42:43], 0x0
	s_delay_alu instid0(VALU_DEP_1) | instskip(NEXT) | instid1(VALU_DEP_1)
	v_lshlrev_b64_e32 v[4:5], 2, v[4:5]
	v_add_co_u32 v4, vcc_lo, v10, v4
	s_wait_alu 0xfffd
	s_delay_alu instid0(VALU_DEP_2)
	v_add_co_ci_u32_e64 v5, null, v11, v5, vcc_lo
	global_load_b32 v4, v[4:5], off
	s_wait_kmcnt 0x0
	s_and_b32 s56, s56, 0xffffe000
	s_wait_alu 0xfffe
	v_cvt_f64_f32_e32 v[13:14], s56
	s_wait_loadcnt 0x0
	v_and_b32_e32 v4, 0xffffe000, v4
	s_delay_alu instid0(VALU_DEP_1) | instskip(NEXT) | instid1(VALU_DEP_1)
	v_cvt_f64_f32_e32 v[4:5], v4
	v_fma_f64 v[1:2], v[4:5], v[13:14], v[1:2]
	s_branch .LBB30_17
.LBB30_24:                              ;   in Loop: Header=BB30_18 Depth=4
	v_max_i32_e32 v5, v12, v15
	s_delay_alu instid0(VALU_DEP_1) | instskip(NEXT) | instid1(VALU_DEP_1)
	v_mul_hi_u32 v4, v5, s35
	v_mul_lo_u32 v13, v4, s48
	s_delay_alu instid0(VALU_DEP_1) | instskip(SKIP_1) | instid1(VALU_DEP_2)
	v_sub_nc_u32_e32 v5, v5, v13
	v_ashrrev_i32_e32 v13, 31, v12
	v_subrev_nc_u32_e32 v14, s48, v5
	v_cmp_le_u32_e32 vcc_lo, s48, v5
	s_wait_alu 0xfffd
	s_delay_alu instid0(VALU_DEP_2) | instskip(NEXT) | instid1(VALU_DEP_1)
	v_cndmask_b32_e32 v15, v5, v14, vcc_lo
	v_subrev_nc_u32_e32 v16, s48, v15
	v_cmp_le_u32_e32 vcc_lo, s48, v15
	s_wait_alu 0xfffd
	s_delay_alu instid0(VALU_DEP_2) | instskip(NEXT) | instid1(VALU_DEP_1)
	v_cndmask_b32_e32 v15, v15, v16, vcc_lo
	v_xor_b32_e32 v15, v15, v13
	s_delay_alu instid0(VALU_DEP_1) | instskip(NEXT) | instid1(VALU_DEP_1)
	v_sub_nc_u32_e32 v15, v15, v13
	v_cmp_ne_u32_e32 vcc_lo, 0, v15
                                        ; implicit-def: $vgpr15
	s_and_b32 s55, vcc_lo, exec_lo
	s_wait_alu 0xfffe
	s_and_not1_saveexec_b32 s56, s56
	s_cbranch_execz .LBB30_20
.LBB30_25:                              ;   in Loop: Header=BB30_18 Depth=4
	v_max_i32_e32 v5, v12, v15
	s_or_b32 s55, s55, exec_lo
	s_delay_alu instid0(VALU_DEP_1) | instskip(NEXT) | instid1(VALU_DEP_1)
	v_mul_hi_u32 v4, v5, s35
	v_mul_lo_u32 v13, v4, s48
	s_delay_alu instid0(VALU_DEP_1) | instskip(SKIP_1) | instid1(VALU_DEP_2)
	v_sub_nc_u32_e32 v5, v5, v13
	v_ashrrev_i32_e32 v13, 31, v12
	v_subrev_nc_u32_e32 v14, s48, v5
	s_wait_alu 0xfffe
	s_or_b32 exec_lo, exec_lo, s56
	v_mov_b32_e32 v15, 1
	s_and_saveexec_b32 s56, s55
	s_cbranch_execnz .LBB30_21
	s_branch .LBB30_22
.LBB30_26:                              ;   in Loop: Header=BB30_3 Depth=1
	v_mov_b32_e32 v1, 0
	v_mov_b32_e32 v2, 0
.LBB30_27:                              ;   in Loop: Header=BB30_3 Depth=1
	v_mad_co_i64_i32 v[5:6], null, v6, s28, 0
	v_ashrrev_i32_e32 v4, 31, v3
	s_delay_alu instid0(VALU_DEP_1) | instskip(NEXT) | instid1(VALU_DEP_3)
	v_lshlrev_b64_e32 v[3:4], 2, v[3:4]
	v_lshlrev_b64_e32 v[5:6], 2, v[5:6]
	s_delay_alu instid0(VALU_DEP_1) | instskip(SKIP_1) | instid1(VALU_DEP_2)
	v_add_co_u32 v5, vcc_lo, s0, v5
	s_wait_alu 0xfffd
	v_add_co_ci_u32_e64 v6, null, s1, v6, vcc_lo
	s_delay_alu instid0(VALU_DEP_2) | instskip(SKIP_1) | instid1(VALU_DEP_2)
	v_add_co_u32 v3, vcc_lo, v5, v3
	s_wait_alu 0xfffd
	v_add_co_ci_u32_e64 v4, null, v6, v4, vcc_lo
	s_and_not1_b32 vcc_lo, exec_lo, s52
	s_wait_alu 0xfffe
	s_cbranch_vccnz .LBB30_2
; %bb.28:                               ;   in Loop: Header=BB30_3 Depth=1
	global_load_b32 v5, v[3:4], off
	s_wait_loadcnt 0x0
	v_cvt_f64_f32_e32 v[5:6], v5
	s_delay_alu instid0(VALU_DEP_1) | instskip(NEXT) | instid1(VALU_DEP_1)
	v_mul_f64_e32 v[5:6], s[26:27], v[5:6]
	v_fma_f64 v[1:2], s[24:25], v[1:2], v[5:6]
	s_branch .LBB30_2
.LBB30_29:
	s_endpgm
	.section	.rodata,"a",@progbits
	.p2align	6, 0x0
	.amdhsa_kernel naive_conv_ab_packed_bwd_nchw_float_double_float_1
		.amdhsa_group_segment_fixed_size 0
		.amdhsa_private_segment_fixed_size 0
		.amdhsa_kernarg_size 480
		.amdhsa_user_sgpr_count 2
		.amdhsa_user_sgpr_dispatch_ptr 0
		.amdhsa_user_sgpr_queue_ptr 0
		.amdhsa_user_sgpr_kernarg_segment_ptr 1
		.amdhsa_user_sgpr_dispatch_id 0
		.amdhsa_user_sgpr_private_segment_size 0
		.amdhsa_wavefront_size32 1
		.amdhsa_uses_dynamic_stack 0
		.amdhsa_enable_private_segment 0
		.amdhsa_system_sgpr_workgroup_id_x 1
		.amdhsa_system_sgpr_workgroup_id_y 0
		.amdhsa_system_sgpr_workgroup_id_z 0
		.amdhsa_system_sgpr_workgroup_info 0
		.amdhsa_system_vgpr_workitem_id 0
		.amdhsa_next_free_vgpr 17
		.amdhsa_next_free_sgpr 57
		.amdhsa_reserve_vcc 1
		.amdhsa_float_round_mode_32 0
		.amdhsa_float_round_mode_16_64 0
		.amdhsa_float_denorm_mode_32 3
		.amdhsa_float_denorm_mode_16_64 3
		.amdhsa_fp16_overflow 0
		.amdhsa_workgroup_processor_mode 1
		.amdhsa_memory_ordered 1
		.amdhsa_forward_progress 1
		.amdhsa_inst_pref_size 18
		.amdhsa_round_robin_scheduling 0
		.amdhsa_exception_fp_ieee_invalid_op 0
		.amdhsa_exception_fp_denorm_src 0
		.amdhsa_exception_fp_ieee_div_zero 0
		.amdhsa_exception_fp_ieee_overflow 0
		.amdhsa_exception_fp_ieee_underflow 0
		.amdhsa_exception_fp_ieee_inexact 0
		.amdhsa_exception_int_div_zero 0
	.end_amdhsa_kernel
	.text
.Lfunc_end30:
	.size	naive_conv_ab_packed_bwd_nchw_float_double_float_1, .Lfunc_end30-naive_conv_ab_packed_bwd_nchw_float_double_float_1
                                        ; -- End function
	.set naive_conv_ab_packed_bwd_nchw_float_double_float_1.num_vgpr, 17
	.set naive_conv_ab_packed_bwd_nchw_float_double_float_1.num_agpr, 0
	.set naive_conv_ab_packed_bwd_nchw_float_double_float_1.numbered_sgpr, 57
	.set naive_conv_ab_packed_bwd_nchw_float_double_float_1.num_named_barrier, 0
	.set naive_conv_ab_packed_bwd_nchw_float_double_float_1.private_seg_size, 0
	.set naive_conv_ab_packed_bwd_nchw_float_double_float_1.uses_vcc, 1
	.set naive_conv_ab_packed_bwd_nchw_float_double_float_1.uses_flat_scratch, 0
	.set naive_conv_ab_packed_bwd_nchw_float_double_float_1.has_dyn_sized_stack, 0
	.set naive_conv_ab_packed_bwd_nchw_float_double_float_1.has_recursion, 0
	.set naive_conv_ab_packed_bwd_nchw_float_double_float_1.has_indirect_call, 0
	.section	.AMDGPU.csdata,"",@progbits
; Kernel info:
; codeLenInByte = 2244
; TotalNumSgprs: 59
; NumVgprs: 17
; ScratchSize: 0
; MemoryBound: 0
; FloatMode: 240
; IeeeMode: 1
; LDSByteSize: 0 bytes/workgroup (compile time only)
; SGPRBlocks: 0
; VGPRBlocks: 2
; NumSGPRsForWavesPerEU: 59
; NumVGPRsForWavesPerEU: 17
; Occupancy: 16
; WaveLimiterHint : 0
; COMPUTE_PGM_RSRC2:SCRATCH_EN: 0
; COMPUTE_PGM_RSRC2:USER_SGPR: 2
; COMPUTE_PGM_RSRC2:TRAP_HANDLER: 0
; COMPUTE_PGM_RSRC2:TGID_X_EN: 1
; COMPUTE_PGM_RSRC2:TGID_Y_EN: 0
; COMPUTE_PGM_RSRC2:TGID_Z_EN: 0
; COMPUTE_PGM_RSRC2:TIDIG_COMP_CNT: 0
	.text
	.protected	naive_conv_ab_nonpacked_bwd_nchw_float_double_float_1 ; -- Begin function naive_conv_ab_nonpacked_bwd_nchw_float_double_float_1
	.globl	naive_conv_ab_nonpacked_bwd_nchw_float_double_float_1
	.p2align	8
	.type	naive_conv_ab_nonpacked_bwd_nchw_float_double_float_1,@function
naive_conv_ab_nonpacked_bwd_nchw_float_double_float_1: ; @naive_conv_ab_nonpacked_bwd_nchw_float_double_float_1
; %bb.0:
	s_load_b256 s[20:27], s[0:1], 0xa0
	s_mov_b32 s9, exec_lo
	s_wait_kmcnt 0x0
	s_abs_i32 s3, s24
	s_mul_i32 s20, s21, s20
	s_cvt_f32_u32 s2, s3
	s_delay_alu instid0(SALU_CYCLE_3) | instskip(NEXT) | instid1(TRANS32_DEP_1)
	v_rcp_iflag_f32_e32 v1, s2
	v_readfirstlane_b32 s2, v1
	s_mul_f32 s2, s2, 0x4f7ffffe
	s_wait_alu 0xfffe
	s_delay_alu instid0(SALU_CYCLE_2) | instskip(SKIP_2) | instid1(SALU_CYCLE_1)
	s_cvt_u32_f32 s4, s2
	s_sub_co_i32 s2, 0, s3
	s_wait_alu 0xfffe
	s_mul_i32 s2, s2, s4
	s_wait_alu 0xfffe
	s_mul_hi_u32 s5, s4, s2
	s_abs_i32 s2, ttmp9
	s_add_co_i32 s4, s4, s5
	s_wait_alu 0xfffe
	s_mul_hi_u32 s4, s2, s4
	s_delay_alu instid0(SALU_CYCLE_1) | instskip(SKIP_2) | instid1(SALU_CYCLE_1)
	s_mul_i32 s5, s4, s3
	s_add_co_i32 s6, s4, 1
	s_sub_co_i32 s5, s2, s5
	s_sub_co_i32 s7, s5, s3
	s_cmp_ge_u32 s5, s3
	s_cselect_b32 s4, s6, s4
	s_cselect_b32 s5, s7, s5
	s_add_co_i32 s6, s4, 1
	s_cmp_ge_u32 s5, s3
	s_mul_i32 s5, s24, s22
	s_cselect_b32 s6, s6, s4
	s_abs_i32 s4, s22
	s_abs_i32 s22, s5
	s_cvt_f32_u32 s3, s4
	s_cvt_f32_u32 s7, s22
	s_wait_alu 0xfffe
	s_delay_alu instid0(SALU_CYCLE_1) | instskip(NEXT) | instid1(SALU_CYCLE_1)
	v_rcp_iflag_f32_e32 v1, s3
	v_rcp_iflag_f32_e32 v2, s7
	s_mov_b32 s3, 0
	s_delay_alu instid0(TRANS32_DEP_2) | instskip(NEXT) | instid1(TRANS32_DEP_1)
	v_readfirstlane_b32 s8, v1
	v_readfirstlane_b32 s7, v2
	v_cmpx_gt_i32_e64 s20, v0
	s_cbranch_execz .LBB31_29
; %bb.1:
	s_mul_f32 s8, s8, 0x4f7ffffe
	s_ashr_i32 s28, ttmp9, 31
	s_ashr_i32 s9, s24, 31
	s_sub_co_i32 s10, 0, s4
	s_cvt_u32_f32 s8, s8
	s_xor_b32 s9, s28, s9
	s_mul_f32 s11, s7, 0x4f7ffffe
	s_xor_b32 s6, s6, s9
	s_mul_i32 s10, s10, s8
	s_wait_alu 0xfffe
	s_sub_co_i32 s12, s6, s9
	s_mul_hi_u32 s7, s8, s10
	s_abs_i32 s6, s12
	s_wait_alu 0xfffe
	s_add_co_i32 s8, s8, s7
	s_mov_b32 s7, s3
	s_cvt_u32_f32 s10, s11
	s_mov_b32 s9, s3
	s_sub_co_i32 s11, 0, s22
	s_wait_alu 0xfffe
	s_mul_u64 s[8:9], s[6:7], s[8:9]
	s_mul_i32 s11, s11, s10
	s_ashr_i32 s30, s5, 31
	s_mul_i32 s5, s9, s4
	s_ashr_i32 s29, s12, 31
	s_mul_hi_u32 s7, s10, s11
	s_mul_i32 s12, s12, s24
	s_sub_co_i32 s5, s6, s5
	s_wait_alu 0xfffe
	s_add_co_i32 s8, s10, s7
	s_sub_co_i32 s34, ttmp9, s12
	s_sub_co_i32 s6, s5, s4
	s_cmp_ge_u32 s5, s4
	s_mov_b32 s9, s3
	s_wait_alu 0xfffe
	s_cselect_b32 s5, s6, s5
	s_mul_u64 s[36:37], s[2:3], s[8:9]
	s_sub_co_i32 s6, s5, s4
	s_cmp_ge_u32 s5, s4
	s_load_b256 s[44:51], s[0:1], 0x0
	s_cselect_b32 s4, s6, s5
	s_xor_b32 s33, s28, s30
	s_xor_b32 s24, s4, s29
	s_load_b512 s[4:19], s[0:1], 0x28
	s_sub_co_i32 s52, s24, s29
	s_mul_i32 s24, s37, s22
	s_clause 0x1
	s_load_b64 s[54:55], s[0:1], 0x98
	s_load_b128 s[28:31], s[0:1], 0x88
	s_sub_co_i32 s2, s2, s24
	s_add_co_i32 s24, s37, 1
	s_wait_alu 0xfffe
	s_sub_co_i32 s35, s2, s22
	s_cmp_ge_u32 s2, s22
	s_load_b64 s[64:65], s[0:1], 0x20
	s_cselect_b32 s24, s24, s37
	s_load_b256 s[36:43], s[0:1], 0xc0
	s_cselect_b32 s2, s35, s2
	s_add_co_i32 s35, s24, 1
	s_wait_alu 0xfffe
	s_cmp_ge_u32 s2, s22
	s_load_b32 s68, s[0:1], 0xec
	s_cselect_b32 s2, s35, s24
	s_ashr_i32 s53, s52, 31
	s_wait_alu 0xfffe
	s_xor_b32 s2, s2, s33
	s_ashr_i32 s35, s34, 31
	s_wait_alu 0xfffe
	s_sub_co_i32 s66, s2, s33
	s_wait_kmcnt 0x0
	s_mul_u64 s[12:13], s[12:13], s[52:53]
	s_ashr_i32 s67, s66, 31
	s_mul_u64 s[8:9], s[8:9], s[34:35]
	s_mul_u64 s[10:11], s[10:11], s[66:67]
	;; [unrolled: 1-line block ×4, first 2 shown]
	s_lshl_b64 s[12:13], s[12:13], 2
	s_lshl_b64 s[10:11], s[10:11], 2
	;; [unrolled: 1-line block ×5, first 2 shown]
	s_cmp_gt_i32 s23, 0
	s_add_nc_u64 s[12:13], s[44:45], s[12:13]
	s_cselect_b32 s22, -1, 0
	s_cmp_gt_i32 s41, 0
	v_cmp_neq_f64_e64 s44, s[48:49], 1.0
	s_cselect_b32 s24, -1, 0
	s_cmp_gt_i32 s42, 0
	v_cmp_neq_f64_e64 s45, s[50:51], 0
	s_cselect_b32 s33, -1, 0
	s_abs_i32 s43, s21
	s_abs_i32 s60, s27
	s_cvt_f32_u32 s2, s43
	s_add_nc_u64 s[10:11], s[12:13], s[10:11]
	s_abs_i32 s61, s36
	s_load_b256 s[52:59], s[0:1], 0x68
	v_rcp_iflag_f32_e32 v1, s2
	s_cvt_f32_u32 s2, s60
	s_add_nc_u64 s[0:1], s[10:11], s[8:9]
	s_cvt_f32_u32 s10, s61
	s_sub_co_i32 s11, 0, s43
	s_wait_alu 0xfffe
	v_rcp_iflag_f32_e32 v2, s2
	s_add_nc_u64 s[8:9], s[64:65], s[62:63]
	s_and_b32 s62, s68, 0xffff
	s_add_nc_u64 s[8:9], s[8:9], s[30:31]
	s_ashr_i32 s63, s21, 31
	v_readfirstlane_b32 s2, v1
	v_rcp_iflag_f32_e32 v1, s10
	s_ashr_i32 s27, s27, 31
	s_ashr_i32 s36, s36, 31
	s_lshl_b64 s[16:17], s[16:17], 2
	s_mul_f32 s2, s2, 0x4f7ffffe
	v_readfirstlane_b32 s10, v2
	s_lshl_b64 s[14:15], s[14:15], 2
	s_wait_alu 0xfffe
	s_cvt_u32_f32 s2, s2
	s_mul_f32 s10, s10, 0x4f7ffffe
	v_readfirstlane_b32 s12, v1
	s_wait_alu 0xfffe
	s_mul_i32 s11, s11, s2
	s_wait_alu 0xfffe
	s_mul_hi_u32 s11, s2, s11
	s_cvt_u32_f32 s10, s10
	s_wait_alu 0xfffe
	s_add_co_i32 s64, s2, s11
	s_sub_co_i32 s2, 0, s60
	s_mul_f32 s11, s12, 0x4f7ffffe
	s_wait_alu 0xfffe
	s_mul_i32 s2, s2, s10
	s_wait_kmcnt 0x0
	s_mul_u64 s[12:13], s[54:55], s[66:67]
	s_wait_alu 0xfffe
	s_mul_hi_u32 s2, s10, s2
	s_cvt_u32_f32 s30, s11
	s_wait_alu 0xfffe
	s_add_co_i32 s65, s10, s2
	s_sub_co_i32 s2, 0, s61
	s_mul_u64 s[10:11], s[18:19], s[34:35]
	s_wait_alu 0xfffe
	s_mul_i32 s2, s2, s30
	s_lshl_b64 s[10:11], s[10:11], 2
	s_lshl_b64 s[12:13], s[12:13], 2
	s_wait_alu 0xfffe
	s_mul_hi_u32 s2, s30, s2
	s_add_nc_u64 s[10:11], s[10:11], s[12:13]
	s_wait_alu 0xfffe
	s_add_co_i32 s54, s30, s2
	s_add_nc_u64 s[10:11], s[46:47], s[10:11]
	s_lshl_b64 s[12:13], s[52:53], 2
	s_or_b32 s46, s44, s45
	s_mov_b32 s47, 0
	s_branch .LBB31_3
.LBB31_2:                               ;   in Loop: Header=BB31_3 Depth=1
	s_delay_alu instid0(VALU_DEP_1) | instskip(SKIP_1) | instid1(VALU_DEP_1)
	v_cvt_f32_f64_e32 v1, v[1:2]
	v_add_nc_u32_e32 v0, s62, v0
	v_cmp_le_i32_e32 vcc_lo, s20, v0
	s_or_b32 s47, vcc_lo, s47
	global_store_b32 v[3:4], v1, off
	s_and_not1_b32 exec_lo, exec_lo, s47
	s_cbranch_execz .LBB31_29
.LBB31_3:                               ; =>This Loop Header: Depth=1
                                        ;     Child Loop BB31_6 Depth 2
                                        ;       Child Loop BB31_9 Depth 3
                                        ;         Child Loop BB31_18 Depth 4
	v_sub_nc_u32_e32 v1, 0, v0
	s_delay_alu instid0(VALU_DEP_1) | instskip(NEXT) | instid1(VALU_DEP_1)
	v_max_i32_e32 v1, v0, v1
	v_mul_hi_u32 v2, v1, s64
	s_delay_alu instid0(VALU_DEP_1) | instskip(NEXT) | instid1(VALU_DEP_1)
	v_mul_lo_u32 v3, v2, s43
	v_sub_nc_u32_e32 v1, v1, v3
	v_add_nc_u32_e32 v3, 1, v2
	s_delay_alu instid0(VALU_DEP_2) | instskip(SKIP_2) | instid1(VALU_DEP_2)
	v_subrev_nc_u32_e32 v4, s43, v1
	v_cmp_le_u32_e32 vcc_lo, s43, v1
	s_wait_alu 0xfffd
	v_dual_cndmask_b32 v2, v2, v3 :: v_dual_cndmask_b32 v1, v1, v4
	v_ashrrev_i32_e32 v3, 31, v0
	s_delay_alu instid0(VALU_DEP_2) | instskip(NEXT) | instid1(VALU_DEP_3)
	v_add_nc_u32_e32 v4, 1, v2
	v_cmp_le_u32_e32 vcc_lo, s43, v1
	s_delay_alu instid0(VALU_DEP_3) | instskip(SKIP_1) | instid1(VALU_DEP_3)
	v_xor_b32_e32 v3, s63, v3
	s_wait_alu 0xfffd
	v_cndmask_b32_e32 v1, v2, v4, vcc_lo
	s_and_not1_b32 vcc_lo, exec_lo, s22
	s_delay_alu instid0(VALU_DEP_1) | instskip(NEXT) | instid1(VALU_DEP_1)
	v_xor_b32_e32 v1, v1, v3
	v_sub_nc_u32_e32 v4, v1, v3
	s_delay_alu instid0(VALU_DEP_1) | instskip(NEXT) | instid1(VALU_DEP_1)
	v_mul_lo_u32 v1, v4, s21
	v_sub_nc_u32_e32 v3, v0, v1
	s_wait_alu 0xfffe
	s_cbranch_vccnz .LBB31_26
; %bb.4:                                ;   in Loop: Header=BB31_3 Depth=1
	s_delay_alu instid0(VALU_DEP_1)
	v_dual_mov_b32 v1, 0 :: v_dual_add_nc_u32 v6, s40, v3
	v_dual_mov_b32 v2, 0 :: v_dual_add_nc_u32 v5, s39, v4
	s_mov_b32 s2, 0
	s_mov_b64 s[18:19], s[10:11]
	s_branch .LBB31_6
.LBB31_5:                               ;   in Loop: Header=BB31_6 Depth=2
	s_add_co_i32 s2, s2, 1
	s_add_nc_u64 s[18:19], s[18:19], s[12:13]
	s_wait_alu 0xfffe
	s_cmp_eq_u32 s2, s23
	s_cbranch_scc1 .LBB31_27
.LBB31_6:                               ;   Parent Loop BB31_3 Depth=1
                                        ; =>  This Loop Header: Depth=2
                                        ;       Child Loop BB31_9 Depth 3
                                        ;         Child Loop BB31_18 Depth 4
	s_and_not1_b32 vcc_lo, exec_lo, s24
	s_wait_alu 0xfffe
	s_cbranch_vccnz .LBB31_5
; %bb.7:                                ;   in Loop: Header=BB31_6 Depth=2
	s_mul_u64 s[30:31], s[28:29], s[2:3]
	s_mov_b32 s52, 0
	s_wait_alu 0xfffe
	s_lshl_b64 s[30:31], s[30:31], 2
	s_mov_b64 s[34:35], s[18:19]
	s_wait_alu 0xfffe
	s_add_nc_u64 s[30:31], s[8:9], s[30:31]
	s_branch .LBB31_9
.LBB31_8:                               ;   in Loop: Header=BB31_9 Depth=3
	s_add_co_i32 s52, s52, 1
	s_add_nc_u64 s[34:35], s[34:35], s[16:17]
	s_cmp_eq_u32 s52, s41
	s_cbranch_scc1 .LBB31_5
.LBB31_9:                               ;   Parent Loop BB31_3 Depth=1
                                        ;     Parent Loop BB31_6 Depth=2
                                        ; =>    This Loop Header: Depth=3
                                        ;         Child Loop BB31_18 Depth 4
	s_mul_i32 s44, s37, s52
	s_mov_b32 s45, exec_lo
	s_wait_alu 0xfffe
	v_subrev_nc_u32_e32 v11, s44, v5
	s_mov_b32 s44, 0
                                        ; implicit-def: $vgpr9
                                        ; implicit-def: $vgpr7
                                        ; implicit-def: $vgpr8
                                        ; implicit-def: $vgpr10
	s_delay_alu instid0(VALU_DEP_1)
	v_cmpx_lt_i32_e32 -1, v11
	s_xor_b32 s45, exec_lo, s45
	s_cbranch_execnz .LBB31_13
; %bb.10:                               ;   in Loop: Header=BB31_9 Depth=3
	s_wait_alu 0xfffe
	s_and_not1_saveexec_b32 s45, s45
	s_cbranch_execnz .LBB31_14
.LBB31_11:                              ;   in Loop: Header=BB31_9 Depth=3
	s_wait_alu 0xfffe
	s_or_b32 exec_lo, exec_lo, s45
	v_mov_b32_e32 v11, 1
	s_and_saveexec_b32 s45, s44
	s_cbranch_execnz .LBB31_15
.LBB31_12:                              ;   in Loop: Header=BB31_9 Depth=3
	s_wait_alu 0xfffe
	s_or_b32 exec_lo, exec_lo, s45
	s_delay_alu instid0(SALU_CYCLE_1)
	s_and_not1_b32 vcc_lo, exec_lo, s33
	s_wait_alu 0xfffe
	s_cbranch_vccz .LBB31_16
	s_branch .LBB31_8
.LBB31_13:                              ;   in Loop: Header=BB31_9 Depth=3
	v_sub_nc_u32_e32 v7, 0, v11
	s_delay_alu instid0(VALU_DEP_1) | instskip(NEXT) | instid1(VALU_DEP_1)
	v_max_i32_e32 v8, v11, v7
	v_mul_hi_u32 v7, v8, s65
	s_delay_alu instid0(VALU_DEP_1) | instskip(NEXT) | instid1(VALU_DEP_1)
	v_mul_lo_u32 v9, v7, s60
	v_sub_nc_u32_e32 v8, v8, v9
	v_ashrrev_i32_e32 v9, 31, v11
	s_delay_alu instid0(VALU_DEP_2) | instskip(SKIP_2) | instid1(VALU_DEP_2)
	v_subrev_nc_u32_e32 v10, s60, v8
	v_cmp_le_u32_e32 vcc_lo, s60, v8
	s_wait_alu 0xfffd
	v_cndmask_b32_e32 v12, v8, v10, vcc_lo
	s_delay_alu instid0(VALU_DEP_1) | instskip(SKIP_2) | instid1(VALU_DEP_2)
	v_subrev_nc_u32_e32 v13, s60, v12
	v_cmp_le_u32_e32 vcc_lo, s60, v12
	s_wait_alu 0xfffd
	v_cndmask_b32_e32 v11, v12, v13, vcc_lo
	s_delay_alu instid0(VALU_DEP_1) | instskip(NEXT) | instid1(VALU_DEP_1)
	v_xor_b32_e32 v11, v11, v9
	v_sub_nc_u32_e32 v11, v11, v9
	s_delay_alu instid0(VALU_DEP_1)
	v_cmp_ne_u32_e32 vcc_lo, 0, v11
                                        ; implicit-def: $vgpr11
	s_and_b32 s44, vcc_lo, exec_lo
	s_wait_alu 0xfffe
	s_and_not1_saveexec_b32 s45, s45
	s_cbranch_execz .LBB31_11
.LBB31_14:                              ;   in Loop: Header=BB31_9 Depth=3
	v_sub_nc_u32_e32 v7, 0, v11
	s_or_b32 s44, s44, exec_lo
	s_delay_alu instid0(VALU_DEP_1) | instskip(NEXT) | instid1(VALU_DEP_1)
	v_max_i32_e32 v8, v11, v7
	v_mul_hi_u32 v7, v8, s65
	s_delay_alu instid0(VALU_DEP_1) | instskip(NEXT) | instid1(VALU_DEP_1)
	v_mul_lo_u32 v9, v7, s60
	v_sub_nc_u32_e32 v8, v8, v9
	v_ashrrev_i32_e32 v9, 31, v11
	s_delay_alu instid0(VALU_DEP_2)
	v_subrev_nc_u32_e32 v10, s60, v8
	s_wait_alu 0xfffe
	s_or_b32 exec_lo, exec_lo, s45
	v_mov_b32_e32 v11, 1
	s_and_saveexec_b32 s45, s44
	s_cbranch_execz .LBB31_12
.LBB31_15:                              ;   in Loop: Header=BB31_9 Depth=3
	v_mov_b32_e32 v11, 0
	s_wait_alu 0xfffe
	s_or_b32 exec_lo, exec_lo, s45
	s_delay_alu instid0(SALU_CYCLE_1)
	s_and_not1_b32 vcc_lo, exec_lo, s33
	s_wait_alu 0xfffe
	s_cbranch_vccnz .LBB31_8
.LBB31_16:                              ;   in Loop: Header=BB31_9 Depth=3
	v_add_nc_u32_e32 v12, 1, v7
	v_cmp_le_u32_e32 vcc_lo, s60, v8
	v_xor_b32_e32 v9, s27, v9
	s_mov_b64 s[44:45], s[34:35]
	s_mov_b32 s53, s42
	s_wait_alu 0xfffd
	v_dual_cndmask_b32 v7, v7, v12 :: v_dual_cndmask_b32 v8, v8, v10
	s_delay_alu instid0(VALU_DEP_1) | instskip(NEXT) | instid1(VALU_DEP_2)
	v_add_nc_u32_e32 v10, 1, v7
	v_cmp_le_u32_e32 vcc_lo, s60, v8
	s_wait_alu 0xfffd
	s_delay_alu instid0(VALU_DEP_2) | instskip(NEXT) | instid1(VALU_DEP_1)
	v_cndmask_b32_e32 v7, v7, v10, vcc_lo
	v_xor_b32_e32 v7, v7, v9
	s_delay_alu instid0(VALU_DEP_1) | instskip(NEXT) | instid1(VALU_DEP_1)
	v_sub_nc_u32_e32 v10, v7, v9
	v_ashrrev_i32_e32 v9, 31, v10
	v_mul_lo_u32 v12, s59, v10
	v_mad_co_u64_u32 v[7:8], null, s58, v10, 0
	v_cmp_gt_i32_e32 vcc_lo, s25, v10
	s_delay_alu instid0(VALU_DEP_4) | instskip(SKIP_1) | instid1(VALU_DEP_2)
	v_mul_lo_u32 v9, s58, v9
	v_mov_b32_e32 v10, v6
	v_add3_u32 v8, v8, v9, v12
	s_delay_alu instid0(VALU_DEP_1) | instskip(SKIP_2) | instid1(VALU_DEP_2)
	v_lshlrev_b64_e32 v[8:9], 2, v[7:8]
	s_wait_alu 0xfffd
	v_cndmask_b32_e32 v7, 0, v11, vcc_lo
	v_add_co_u32 v8, vcc_lo, s30, v8
	s_wait_alu 0xfffd
	s_delay_alu instid0(VALU_DEP_3)
	v_add_co_ci_u32_e64 v9, null, s31, v9, vcc_lo
	s_branch .LBB31_18
.LBB31_17:                              ;   in Loop: Header=BB31_18 Depth=4
	s_wait_alu 0xfffe
	s_or_b32 exec_lo, exec_lo, s55
	v_subrev_nc_u32_e32 v10, s38, v10
	s_add_co_i32 s53, s53, -1
	s_add_nc_u64 s[44:45], s[44:45], s[14:15]
	s_cmp_eq_u32 s53, 0
	s_cbranch_scc1 .LBB31_8
.LBB31_18:                              ;   Parent Loop BB31_3 Depth=1
                                        ;     Parent Loop BB31_6 Depth=2
                                        ;       Parent Loop BB31_9 Depth=3
                                        ; =>      This Inner Loop Header: Depth=4
	v_sub_nc_u32_e32 v15, 0, v10
	s_mov_b32 s55, 0
	s_mov_b32 s66, exec_lo
                                        ; implicit-def: $vgpr13
                                        ; implicit-def: $vgpr11
                                        ; implicit-def: $vgpr12
                                        ; implicit-def: $vgpr14
	v_cmpx_lt_i32_e32 -1, v10
	s_wait_alu 0xfffe
	s_xor_b32 s66, exec_lo, s66
	s_cbranch_execnz .LBB31_24
; %bb.19:                               ;   in Loop: Header=BB31_18 Depth=4
	s_wait_alu 0xfffe
	s_and_not1_saveexec_b32 s66, s66
	s_cbranch_execnz .LBB31_25
.LBB31_20:                              ;   in Loop: Header=BB31_18 Depth=4
	s_wait_alu 0xfffe
	s_or_b32 exec_lo, exec_lo, s66
	v_mov_b32_e32 v15, 1
	s_and_saveexec_b32 s66, s55
.LBB31_21:                              ;   in Loop: Header=BB31_18 Depth=4
	v_mov_b32_e32 v15, 0
.LBB31_22:                              ;   in Loop: Header=BB31_18 Depth=4
	s_wait_alu 0xfffe
	s_or_b32 exec_lo, exec_lo, s66
	v_add_nc_u32_e32 v16, 1, v11
	v_cmp_le_u32_e32 vcc_lo, s61, v12
	v_xor_b32_e32 v13, s36, v13
	s_mov_b32 s55, exec_lo
	s_wait_alu 0xfffd
	v_dual_cndmask_b32 v11, v11, v16 :: v_dual_cndmask_b32 v12, v12, v14
	s_delay_alu instid0(VALU_DEP_1) | instskip(NEXT) | instid1(VALU_DEP_2)
	v_add_nc_u32_e32 v14, 1, v11
	v_cmp_le_u32_e32 vcc_lo, s61, v12
	s_wait_alu 0xfffd
	s_delay_alu instid0(VALU_DEP_2) | instskip(NEXT) | instid1(VALU_DEP_1)
	v_cndmask_b32_e32 v11, v11, v14, vcc_lo
	v_xor_b32_e32 v11, v11, v13
	s_delay_alu instid0(VALU_DEP_1) | instskip(NEXT) | instid1(VALU_DEP_1)
	v_sub_nc_u32_e32 v11, v11, v13
	v_cmp_gt_i32_e32 vcc_lo, s26, v11
	s_wait_alu 0xfffd
	v_cndmask_b32_e32 v12, 0, v15, vcc_lo
	s_delay_alu instid0(VALU_DEP_1) | instskip(NEXT) | instid1(VALU_DEP_1)
	v_and_b32_e32 v12, v12, v7
	v_and_b32_e32 v12, 1, v12
	s_delay_alu instid0(VALU_DEP_1)
	v_cmpx_eq_u32_e32 1, v12
	s_cbranch_execz .LBB31_17
; %bb.23:                               ;   in Loop: Header=BB31_18 Depth=4
	v_ashrrev_i32_e32 v13, 31, v11
	v_mul_lo_u32 v14, s57, v11
	v_mad_co_u64_u32 v[11:12], null, s56, v11, 0
	s_load_b32 s66, s[44:45], 0x0
	v_mul_lo_u32 v13, s56, v13
	s_delay_alu instid0(VALU_DEP_1) | instskip(NEXT) | instid1(VALU_DEP_1)
	v_add3_u32 v12, v12, v13, v14
	v_lshlrev_b64_e32 v[11:12], 2, v[11:12]
	s_wait_kmcnt 0x0
	s_and_b32 s66, s66, 0xffffe000
	s_delay_alu instid0(VALU_DEP_1) | instskip(SKIP_1) | instid1(VALU_DEP_2)
	v_add_co_u32 v11, vcc_lo, v8, v11
	s_wait_alu 0xfffd
	v_add_co_ci_u32_e64 v12, null, v9, v12, vcc_lo
	s_wait_alu 0xfffe
	v_cvt_f64_f32_e32 v[13:14], s66
	global_load_b32 v11, v[11:12], off
	s_wait_loadcnt 0x0
	v_and_b32_e32 v11, 0xffffe000, v11
	s_delay_alu instid0(VALU_DEP_1) | instskip(NEXT) | instid1(VALU_DEP_1)
	v_cvt_f64_f32_e32 v[11:12], v11
	v_fma_f64 v[1:2], v[11:12], v[13:14], v[1:2]
	s_branch .LBB31_17
.LBB31_24:                              ;   in Loop: Header=BB31_18 Depth=4
	v_max_i32_e32 v12, v10, v15
	s_delay_alu instid0(VALU_DEP_1) | instskip(NEXT) | instid1(VALU_DEP_1)
	v_mul_hi_u32 v11, v12, s54
	v_mul_lo_u32 v13, v11, s61
	s_delay_alu instid0(VALU_DEP_1) | instskip(SKIP_1) | instid1(VALU_DEP_2)
	v_sub_nc_u32_e32 v12, v12, v13
	v_ashrrev_i32_e32 v13, 31, v10
	v_subrev_nc_u32_e32 v14, s61, v12
	v_cmp_le_u32_e32 vcc_lo, s61, v12
	s_wait_alu 0xfffd
	s_delay_alu instid0(VALU_DEP_2) | instskip(NEXT) | instid1(VALU_DEP_1)
	v_cndmask_b32_e32 v15, v12, v14, vcc_lo
	v_subrev_nc_u32_e32 v16, s61, v15
	v_cmp_le_u32_e32 vcc_lo, s61, v15
	s_wait_alu 0xfffd
	s_delay_alu instid0(VALU_DEP_2) | instskip(NEXT) | instid1(VALU_DEP_1)
	v_cndmask_b32_e32 v15, v15, v16, vcc_lo
	v_xor_b32_e32 v15, v15, v13
	s_delay_alu instid0(VALU_DEP_1) | instskip(NEXT) | instid1(VALU_DEP_1)
	v_sub_nc_u32_e32 v15, v15, v13
	v_cmp_ne_u32_e32 vcc_lo, 0, v15
                                        ; implicit-def: $vgpr15
	s_and_b32 s55, vcc_lo, exec_lo
	s_wait_alu 0xfffe
	s_and_not1_saveexec_b32 s66, s66
	s_cbranch_execz .LBB31_20
.LBB31_25:                              ;   in Loop: Header=BB31_18 Depth=4
	v_max_i32_e32 v12, v10, v15
	s_or_b32 s55, s55, exec_lo
	s_delay_alu instid0(VALU_DEP_1) | instskip(NEXT) | instid1(VALU_DEP_1)
	v_mul_hi_u32 v11, v12, s54
	v_mul_lo_u32 v13, v11, s61
	s_delay_alu instid0(VALU_DEP_1) | instskip(SKIP_1) | instid1(VALU_DEP_2)
	v_sub_nc_u32_e32 v12, v12, v13
	v_ashrrev_i32_e32 v13, 31, v10
	v_subrev_nc_u32_e32 v14, s61, v12
	s_wait_alu 0xfffe
	s_or_b32 exec_lo, exec_lo, s66
	v_mov_b32_e32 v15, 1
	s_and_saveexec_b32 s66, s55
	s_cbranch_execnz .LBB31_21
	s_branch .LBB31_22
.LBB31_26:                              ;   in Loop: Header=BB31_3 Depth=1
	v_mov_b32_e32 v1, 0
	v_mov_b32_e32 v2, 0
.LBB31_27:                              ;   in Loop: Header=BB31_3 Depth=1
	v_ashrrev_i32_e32 v6, 31, v4
	v_mul_lo_u32 v8, s7, v4
	v_mad_co_u64_u32 v[4:5], null, s6, v4, 0
	v_ashrrev_i32_e32 v9, 31, v3
	s_delay_alu instid0(VALU_DEP_4) | instskip(SKIP_2) | instid1(VALU_DEP_4)
	v_mul_lo_u32 v10, s6, v6
	v_mul_lo_u32 v11, s5, v3
	v_mad_co_u64_u32 v[6:7], null, s4, v3, 0
	v_mul_lo_u32 v3, s4, v9
	s_delay_alu instid0(VALU_DEP_4) | instskip(NEXT) | instid1(VALU_DEP_2)
	v_add3_u32 v5, v5, v10, v8
	v_add3_u32 v7, v7, v3, v11
	s_delay_alu instid0(VALU_DEP_2) | instskip(NEXT) | instid1(VALU_DEP_2)
	v_lshlrev_b64_e32 v[3:4], 2, v[4:5]
	v_lshlrev_b64_e32 v[5:6], 2, v[6:7]
	s_delay_alu instid0(VALU_DEP_2) | instskip(SKIP_1) | instid1(VALU_DEP_3)
	v_add_co_u32 v3, vcc_lo, s0, v3
	s_wait_alu 0xfffd
	v_add_co_ci_u32_e64 v4, null, s1, v4, vcc_lo
	s_delay_alu instid0(VALU_DEP_2) | instskip(SKIP_1) | instid1(VALU_DEP_2)
	v_add_co_u32 v3, vcc_lo, v3, v5
	s_wait_alu 0xfffd
	v_add_co_ci_u32_e64 v4, null, v4, v6, vcc_lo
	s_and_not1_b32 vcc_lo, exec_lo, s46
	s_wait_alu 0xfffe
	s_cbranch_vccnz .LBB31_2
; %bb.28:                               ;   in Loop: Header=BB31_3 Depth=1
	global_load_b32 v5, v[3:4], off
	s_wait_loadcnt 0x0
	v_cvt_f64_f32_e32 v[5:6], v5
	s_delay_alu instid0(VALU_DEP_1) | instskip(NEXT) | instid1(VALU_DEP_1)
	v_mul_f64_e32 v[5:6], s[50:51], v[5:6]
	v_fma_f64 v[1:2], s[48:49], v[1:2], v[5:6]
	s_branch .LBB31_2
.LBB31_29:
	s_endpgm
	.section	.rodata,"a",@progbits
	.p2align	6, 0x0
	.amdhsa_kernel naive_conv_ab_nonpacked_bwd_nchw_float_double_float_1
		.amdhsa_group_segment_fixed_size 0
		.amdhsa_private_segment_fixed_size 0
		.amdhsa_kernarg_size 480
		.amdhsa_user_sgpr_count 2
		.amdhsa_user_sgpr_dispatch_ptr 0
		.amdhsa_user_sgpr_queue_ptr 0
		.amdhsa_user_sgpr_kernarg_segment_ptr 1
		.amdhsa_user_sgpr_dispatch_id 0
		.amdhsa_user_sgpr_private_segment_size 0
		.amdhsa_wavefront_size32 1
		.amdhsa_uses_dynamic_stack 0
		.amdhsa_enable_private_segment 0
		.amdhsa_system_sgpr_workgroup_id_x 1
		.amdhsa_system_sgpr_workgroup_id_y 0
		.amdhsa_system_sgpr_workgroup_id_z 0
		.amdhsa_system_sgpr_workgroup_info 0
		.amdhsa_system_vgpr_workitem_id 0
		.amdhsa_next_free_vgpr 17
		.amdhsa_next_free_sgpr 69
		.amdhsa_reserve_vcc 1
		.amdhsa_float_round_mode_32 0
		.amdhsa_float_round_mode_16_64 0
		.amdhsa_float_denorm_mode_32 3
		.amdhsa_float_denorm_mode_16_64 3
		.amdhsa_fp16_overflow 0
		.amdhsa_workgroup_processor_mode 1
		.amdhsa_memory_ordered 1
		.amdhsa_forward_progress 1
		.amdhsa_inst_pref_size 19
		.amdhsa_round_robin_scheduling 0
		.amdhsa_exception_fp_ieee_invalid_op 0
		.amdhsa_exception_fp_denorm_src 0
		.amdhsa_exception_fp_ieee_div_zero 0
		.amdhsa_exception_fp_ieee_overflow 0
		.amdhsa_exception_fp_ieee_underflow 0
		.amdhsa_exception_fp_ieee_inexact 0
		.amdhsa_exception_int_div_zero 0
	.end_amdhsa_kernel
	.text
.Lfunc_end31:
	.size	naive_conv_ab_nonpacked_bwd_nchw_float_double_float_1, .Lfunc_end31-naive_conv_ab_nonpacked_bwd_nchw_float_double_float_1
                                        ; -- End function
	.set naive_conv_ab_nonpacked_bwd_nchw_float_double_float_1.num_vgpr, 17
	.set naive_conv_ab_nonpacked_bwd_nchw_float_double_float_1.num_agpr, 0
	.set naive_conv_ab_nonpacked_bwd_nchw_float_double_float_1.numbered_sgpr, 69
	.set naive_conv_ab_nonpacked_bwd_nchw_float_double_float_1.num_named_barrier, 0
	.set naive_conv_ab_nonpacked_bwd_nchw_float_double_float_1.private_seg_size, 0
	.set naive_conv_ab_nonpacked_bwd_nchw_float_double_float_1.uses_vcc, 1
	.set naive_conv_ab_nonpacked_bwd_nchw_float_double_float_1.uses_flat_scratch, 0
	.set naive_conv_ab_nonpacked_bwd_nchw_float_double_float_1.has_dyn_sized_stack, 0
	.set naive_conv_ab_nonpacked_bwd_nchw_float_double_float_1.has_recursion, 0
	.set naive_conv_ab_nonpacked_bwd_nchw_float_double_float_1.has_indirect_call, 0
	.section	.AMDGPU.csdata,"",@progbits
; Kernel info:
; codeLenInByte = 2356
; TotalNumSgprs: 71
; NumVgprs: 17
; ScratchSize: 0
; MemoryBound: 0
; FloatMode: 240
; IeeeMode: 1
; LDSByteSize: 0 bytes/workgroup (compile time only)
; SGPRBlocks: 0
; VGPRBlocks: 2
; NumSGPRsForWavesPerEU: 71
; NumVGPRsForWavesPerEU: 17
; Occupancy: 16
; WaveLimiterHint : 0
; COMPUTE_PGM_RSRC2:SCRATCH_EN: 0
; COMPUTE_PGM_RSRC2:USER_SGPR: 2
; COMPUTE_PGM_RSRC2:TRAP_HANDLER: 0
; COMPUTE_PGM_RSRC2:TGID_X_EN: 1
; COMPUTE_PGM_RSRC2:TGID_Y_EN: 0
; COMPUTE_PGM_RSRC2:TGID_Z_EN: 0
; COMPUTE_PGM_RSRC2:TIDIG_COMP_CNT: 0
	.text
	.protected	naive_conv_ab_packed_bwd_nchw_half_double_half_0 ; -- Begin function naive_conv_ab_packed_bwd_nchw_half_double_half_0
	.globl	naive_conv_ab_packed_bwd_nchw_half_double_half_0
	.p2align	8
	.type	naive_conv_ab_packed_bwd_nchw_half_double_half_0,@function
naive_conv_ab_packed_bwd_nchw_half_double_half_0: ; @naive_conv_ab_packed_bwd_nchw_half_double_half_0
; %bb.0:
	s_load_b512 s[4:19], s[0:1], 0xa0
	s_mov_b32 s25, exec_lo
	s_wait_kmcnt 0x0
	s_abs_i32 s3, s8
	s_delay_alu instid0(SALU_CYCLE_1) | instskip(NEXT) | instid1(SALU_CYCLE_3)
	s_cvt_f32_u32 s2, s3
	v_rcp_iflag_f32_e32 v1, s2
	s_delay_alu instid0(TRANS32_DEP_1) | instskip(SKIP_2) | instid1(SALU_CYCLE_2)
	v_readfirstlane_b32 s2, v1
	s_mul_f32 s2, s2, 0x4f7ffffe
	s_wait_alu 0xfffe
	s_cvt_u32_f32 s20, s2
	s_sub_co_i32 s2, 0, s3
	s_wait_alu 0xfffe
	s_delay_alu instid0(SALU_CYCLE_1)
	s_mul_i32 s2, s2, s20
	s_wait_alu 0xfffe
	s_mul_hi_u32 s21, s20, s2
	s_abs_i32 s2, ttmp9
	s_add_co_i32 s20, s20, s21
	s_wait_alu 0xfffe
	s_mul_hi_u32 s20, s2, s20
	s_delay_alu instid0(SALU_CYCLE_1) | instskip(SKIP_2) | instid1(SALU_CYCLE_1)
	s_mul_i32 s21, s20, s3
	s_add_co_i32 s22, s20, 1
	s_sub_co_i32 s21, s2, s21
	s_sub_co_i32 s23, s21, s3
	s_cmp_ge_u32 s21, s3
	s_cselect_b32 s20, s22, s20
	s_cselect_b32 s21, s23, s21
	s_add_co_i32 s22, s20, 1
	s_cmp_ge_u32 s21, s3
	s_mul_i32 s21, s8, s6
	s_cselect_b32 s22, s22, s20
	s_abs_i32 s20, s6
	s_abs_i32 s28, s21
	s_cvt_f32_u32 s3, s20
	s_cvt_f32_u32 s6, s28
	s_wait_alu 0xfffe
	s_delay_alu instid0(SALU_CYCLE_1) | instskip(NEXT) | instid1(SALU_CYCLE_1)
	v_rcp_iflag_f32_e32 v1, s3
	v_rcp_iflag_f32_e32 v2, s6
	s_mul_i32 s6, s5, s4
	s_mov_b32 s3, 0
	s_delay_alu instid0(TRANS32_DEP_2) | instskip(NEXT) | instid1(TRANS32_DEP_1)
	v_readfirstlane_b32 s24, v1
	v_readfirstlane_b32 s23, v2
	s_wait_alu 0xfffe
	v_cmpx_gt_i32_e64 s6, v0
	s_cbranch_execz .LBB32_31
; %bb.1:
	s_mul_f32 s24, s24, 0x4f7ffffe
	s_ashr_i32 s26, ttmp9, 31
	s_ashr_i32 s37, s8, 31
	s_sub_co_i32 s25, 0, s20
	s_cvt_u32_f32 s24, s24
	s_xor_b32 s27, s26, s37
	s_mul_f32 s29, s23, 0x4f7ffffe
	s_xor_b32 s22, s22, s27
	s_mul_i32 s25, s25, s24
	s_sub_co_i32 s27, s22, s27
	s_mul_hi_u32 s23, s24, s25
	s_abs_i32 s22, s27
	s_add_co_i32 s24, s24, s23
	s_mov_b32 s23, s3
	s_cvt_u32_f32 s29, s29
	s_mov_b32 s25, s3
	s_sub_co_i32 s30, 0, s28
	s_mul_u64 s[24:25], s[22:23], s[24:25]
	s_mul_i32 s30, s30, s29
	s_mul_i32 s25, s25, s20
	s_ashr_i32 s23, s27, 31
	s_mul_hi_u32 s24, s29, s30
	s_mul_i32 s27, s27, s8
	s_sub_co_i32 s22, s22, s25
	s_ashr_i32 s21, s21, 31
	s_add_co_i32 s24, s29, s24
	s_sub_co_i32 s38, ttmp9, s27
	s_sub_co_i32 s25, s22, s20
	s_cmp_ge_u32 s22, s20
	s_mov_b32 s36, s8
	s_cselect_b32 s22, s25, s22
	s_mov_b32 s25, s3
	s_sub_co_i32 s27, s22, s20
	s_cmp_ge_u32 s22, s20
	s_mul_u64 s[30:31], s[2:3], s[24:25]
	s_cselect_b32 s20, s27, s22
	s_xor_b32 s33, s26, s21
	s_xor_b32 s20, s20, s23
	s_add_co_i32 s29, s31, 1
	s_sub_co_i32 s30, s20, s23
	s_mul_i32 s20, s31, s28
	s_mov_b32 s44, s4
	s_sub_co_i32 s2, s2, s20
	s_load_b256 s[20:27], s[0:1], 0x0
	s_sub_co_i32 s34, s2, s28
	s_cmp_ge_u32 s2, s28
	v_dual_mov_b32 v6, 0 :: v_dual_mov_b32 v7, 0x7e00
	s_cselect_b32 s29, s29, s31
	s_cselect_b32 s2, s34, s2
	s_add_co_i32 s31, s29, 1
	s_wait_alu 0xfffe
	s_cmp_ge_u32 s2, s28
	s_mul_i32 s28, s19, s8
	s_cselect_b32 s2, s31, s29
	s_ashr_i32 s31, s30, 31
	s_wait_alu 0xfffe
	s_xor_b32 s2, s2, s33
	s_ashr_i32 s29, s28, 31
	s_wait_alu 0xfffe
	s_sub_co_i32 s40, s2, s33
	s_mul_u64 s[42:43], s[30:31], s[28:29]
	s_ashr_i32 s41, s40, 31
	s_ashr_i32 s39, s38, 31
	s_mul_i32 s34, s19, s7
	s_mul_u64 s[46:47], s[40:41], s[36:37]
	s_add_nc_u64 s[42:43], s[42:43], s[38:39]
	s_ashr_i32 s45, s4, 31
	s_ashr_i32 s29, s5, 31
	s_mov_b32 s28, s5
	s_add_nc_u64 s[42:43], s[42:43], s[46:47]
	s_ashr_i32 s47, s7, 31
	s_mov_b32 s46, s7
	s_ashr_i32 s35, s34, 31
	s_mul_u64 s[44:45], s[28:29], s[44:45]
	s_mul_u64 s[40:41], s[40:41], s[46:47]
	;; [unrolled: 1-line block ×3, first 2 shown]
	s_ashr_i32 s31, s9, 31
	s_mov_b32 s30, s9
	s_ashr_i32 s9, s10, 31
	s_mov_b32 s8, s10
	s_wait_kmcnt 0x0
	v_cmp_neq_f64_e64 s2, s[24:25], 1.0
	v_cmp_neq_f64_e64 s10, s[26:27], 0
	s_mul_u64 s[34:35], s[44:45], s[42:43]
	s_mul_u64 s[42:43], s[8:9], s[30:31]
	s_add_nc_u64 s[44:45], s[40:41], s[46:47]
	s_lshl_b64 s[50:51], s[34:35], 1
	s_mul_u64 s[42:43], s[42:43], s[44:45]
	s_ashr_i32 s35, s17, 31
	s_ashr_i32 s19, s18, 31
	s_lshl_b64 s[42:43], s[42:43], 1
	s_cmp_gt_i32 s7, 0
	s_load_b32 s49, s[0:1], 0xec
	s_cselect_b32 s33, -1, 0
	s_cmp_gt_i32 s17, 0
	s_cselect_b32 s44, -1, 0
	s_cmp_gt_i32 s18, 0
	s_cselect_b32 s45, -1, 0
	s_abs_i32 s46, s5
	s_abs_i32 s47, s11
	s_cvt_f32_u32 s34, s46
	s_abs_i32 s48, s12
	s_load_b64 s[4:5], s[0:1], 0x20
	s_add_nc_u64 s[0:1], s[20:21], s[50:51]
	v_rcp_iflag_f32_e32 v1, s34
	s_cvt_f32_u32 s34, s47
	s_cvt_f32_u32 s50, s48
	s_mul_u64 s[20:21], s[40:41], s[36:37]
	s_ashr_i32 s51, s11, 31
	s_wait_alu 0xfffe
	v_rcp_iflag_f32_e32 v2, s34
	s_wait_kmcnt 0x0
	s_and_b32 s49, s49, 0xffff
	s_ashr_i32 s12, s12, 31
	v_readfirstlane_b32 s34, v1
	v_rcp_iflag_f32_e32 v1, s50
	s_mul_f32 s40, s34, 0x4f7ffffe
	s_delay_alu instid0(TRANS32_DEP_2)
	v_readfirstlane_b32 s41, v2
	s_mov_b32 s34, s17
	s_or_b32 s17, s2, s10
	s_cvt_u32_f32 s2, s40
	s_sub_co_i32 s40, 0, s46
	s_mul_f32 s10, s41, 0x4f7ffffe
	s_delay_alu instid0(TRANS32_DEP_1)
	v_readfirstlane_b32 s41, v1
	s_wait_alu 0xfffe
	s_mul_i32 s40, s40, s2
	s_add_nc_u64 s[4:5], s[4:5], s[42:43]
	s_cvt_u32_f32 s10, s10
	s_mul_hi_u32 s40, s2, s40
	s_sub_co_i32 s42, 0, s47
	s_add_co_i32 s50, s2, s40
	s_mul_f32 s2, s41, 0x4f7ffffe
	s_mul_i32 s42, s42, s10
	s_delay_alu instid0(SALU_CYCLE_1)
	s_mul_hi_u32 s40, s10, s42
	s_wait_alu 0xfffe
	s_cvt_u32_f32 s2, s2
	s_add_co_i32 s52, s10, s40
	s_mul_u64 s[40:41], s[18:19], s[34:35]
	s_sub_co_i32 s35, 0, s48
	s_add_nc_u64 s[10:11], s[20:21], s[38:39]
	s_wait_alu 0xfffe
	s_mul_i32 s35, s35, s2
	s_mul_u64 s[10:11], s[40:41], s[10:11]
	s_wait_alu 0xfffe
	s_mul_hi_u32 s20, s2, s35
	s_lshl_b64 s[10:11], s[10:11], 1
	s_add_co_i32 s35, s2, s20
	s_mul_u64 s[20:21], s[40:41], s[36:37]
	s_add_nc_u64 s[10:11], s[22:23], s[10:11]
	s_lshl_b64 s[20:21], s[20:21], 1
	s_lshl_b64 s[22:23], s[18:19], 1
	s_mov_b32 s19, 0
	s_branch .LBB32_3
.LBB32_2:                               ;   in Loop: Header=BB32_3 Depth=1
	v_add_nc_u32_e32 v0, s49, v0
	s_delay_alu instid0(VALU_DEP_1) | instskip(SKIP_1) | instid1(SALU_CYCLE_1)
	v_cmp_le_i32_e32 vcc_lo, s6, v0
	s_or_b32 s19, vcc_lo, s19
	s_and_not1_b32 exec_lo, exec_lo, s19
	s_cbranch_execz .LBB32_31
.LBB32_3:                               ; =>This Loop Header: Depth=1
                                        ;     Child Loop BB32_6 Depth 2
                                        ;       Child Loop BB32_9 Depth 3
                                        ;         Child Loop BB32_18 Depth 4
	v_sub_nc_u32_e32 v1, 0, v0
	s_delay_alu instid0(VALU_DEP_1) | instskip(NEXT) | instid1(VALU_DEP_1)
	v_max_i32_e32 v1, v0, v1
	v_mul_hi_u32 v2, v1, s50
	s_delay_alu instid0(VALU_DEP_1) | instskip(NEXT) | instid1(VALU_DEP_1)
	v_mul_lo_u32 v3, v2, s46
	v_sub_nc_u32_e32 v1, v1, v3
	v_add_nc_u32_e32 v3, 1, v2
	s_delay_alu instid0(VALU_DEP_2) | instskip(SKIP_2) | instid1(VALU_DEP_2)
	v_subrev_nc_u32_e32 v4, s46, v1
	v_cmp_le_u32_e32 vcc_lo, s46, v1
	s_wait_alu 0xfffd
	v_dual_cndmask_b32 v2, v2, v3 :: v_dual_cndmask_b32 v1, v1, v4
	v_ashrrev_i32_e32 v3, 31, v0
	s_delay_alu instid0(VALU_DEP_2) | instskip(NEXT) | instid1(VALU_DEP_3)
	v_add_nc_u32_e32 v4, 1, v2
	v_cmp_le_u32_e32 vcc_lo, s46, v1
	s_delay_alu instid0(VALU_DEP_3) | instskip(SKIP_1) | instid1(VALU_DEP_3)
	v_xor_b32_e32 v3, s29, v3
	s_wait_alu 0xfffd
	v_cndmask_b32_e32 v1, v2, v4, vcc_lo
	s_and_not1_b32 vcc_lo, exec_lo, s33
	s_delay_alu instid0(VALU_DEP_1) | instskip(NEXT) | instid1(VALU_DEP_1)
	v_xor_b32_e32 v1, v1, v3
	v_sub_nc_u32_e32 v8, v1, v3
	s_delay_alu instid0(VALU_DEP_1) | instskip(NEXT) | instid1(VALU_DEP_1)
	v_mul_lo_u32 v1, v8, s28
	v_sub_nc_u32_e32 v3, v0, v1
	s_wait_alu 0xfffe
	s_cbranch_vccnz .LBB32_26
; %bb.4:                                ;   in Loop: Header=BB32_3 Depth=1
	s_delay_alu instid0(VALU_DEP_1)
	v_dual_mov_b32 v1, 0 :: v_dual_add_nc_u32 v10, s16, v3
	v_dual_mov_b32 v2, 0 :: v_dual_add_nc_u32 v9, s15, v8
	s_mov_b32 s2, 0
	s_mov_b64 s[36:37], s[10:11]
	s_branch .LBB32_6
.LBB32_5:                               ;   in Loop: Header=BB32_6 Depth=2
	s_add_co_i32 s2, s2, 1
	s_add_nc_u64 s[36:37], s[36:37], s[20:21]
	s_wait_alu 0xfffe
	s_cmp_eq_u32 s2, s7
	s_cbranch_scc1 .LBB32_27
.LBB32_6:                               ;   Parent Loop BB32_3 Depth=1
                                        ; =>  This Loop Header: Depth=2
                                        ;       Child Loop BB32_9 Depth 3
                                        ;         Child Loop BB32_18 Depth 4
	s_and_not1_b32 vcc_lo, exec_lo, s44
	s_wait_alu 0xfffe
	s_cbranch_vccnz .LBB32_5
; %bb.7:                                ;   in Loop: Header=BB32_6 Depth=2
	s_mul_u64 s[38:39], s[2:3], s[30:31]
	s_mov_b32 s53, 0
	s_mov_b64 s[40:41], s[36:37]
	s_branch .LBB32_9
.LBB32_8:                               ;   in Loop: Header=BB32_9 Depth=3
	s_add_co_i32 s53, s53, 1
	s_add_nc_u64 s[40:41], s[40:41], s[22:23]
	s_wait_alu 0xfffe
	s_cmp_eq_u32 s53, s34
	s_cbranch_scc1 .LBB32_5
.LBB32_9:                               ;   Parent Loop BB32_3 Depth=1
                                        ;     Parent Loop BB32_6 Depth=2
                                        ; =>    This Loop Header: Depth=3
                                        ;         Child Loop BB32_18 Depth 4
	s_wait_alu 0xfffe
	s_mul_i32 s42, s13, s53
	s_mov_b32 s43, exec_lo
	s_wait_alu 0xfffe
	v_subrev_nc_u32_e32 v13, s42, v9
	s_mov_b32 s42, 0
                                        ; implicit-def: $vgpr11
                                        ; implicit-def: $vgpr4
                                        ; implicit-def: $vgpr5
                                        ; implicit-def: $vgpr12
	s_delay_alu instid0(VALU_DEP_1)
	v_cmpx_lt_i32_e32 -1, v13
	s_xor_b32 s43, exec_lo, s43
	s_cbranch_execnz .LBB32_13
; %bb.10:                               ;   in Loop: Header=BB32_9 Depth=3
	s_wait_alu 0xfffe
	s_and_not1_saveexec_b32 s43, s43
	s_cbranch_execnz .LBB32_14
.LBB32_11:                              ;   in Loop: Header=BB32_9 Depth=3
	s_wait_alu 0xfffe
	s_or_b32 exec_lo, exec_lo, s43
	v_mov_b32_e32 v13, 1
	s_and_saveexec_b32 s43, s42
	s_cbranch_execnz .LBB32_15
.LBB32_12:                              ;   in Loop: Header=BB32_9 Depth=3
	s_wait_alu 0xfffe
	s_or_b32 exec_lo, exec_lo, s43
	s_delay_alu instid0(SALU_CYCLE_1)
	s_and_not1_b32 vcc_lo, exec_lo, s45
	s_wait_alu 0xfffe
	s_cbranch_vccz .LBB32_16
	s_branch .LBB32_8
.LBB32_13:                              ;   in Loop: Header=BB32_9 Depth=3
	v_sub_nc_u32_e32 v4, 0, v13
	s_delay_alu instid0(VALU_DEP_1) | instskip(NEXT) | instid1(VALU_DEP_1)
	v_max_i32_e32 v5, v13, v4
	v_mul_hi_u32 v4, v5, s52
	s_delay_alu instid0(VALU_DEP_1) | instskip(NEXT) | instid1(VALU_DEP_1)
	v_mul_lo_u32 v11, v4, s47
	v_sub_nc_u32_e32 v5, v5, v11
	v_ashrrev_i32_e32 v11, 31, v13
	s_delay_alu instid0(VALU_DEP_2) | instskip(SKIP_2) | instid1(VALU_DEP_2)
	v_subrev_nc_u32_e32 v12, s47, v5
	v_cmp_le_u32_e32 vcc_lo, s47, v5
	s_wait_alu 0xfffd
	v_cndmask_b32_e32 v14, v5, v12, vcc_lo
	s_delay_alu instid0(VALU_DEP_1) | instskip(SKIP_2) | instid1(VALU_DEP_2)
	v_subrev_nc_u32_e32 v15, s47, v14
	v_cmp_le_u32_e32 vcc_lo, s47, v14
	s_wait_alu 0xfffd
	v_cndmask_b32_e32 v13, v14, v15, vcc_lo
	s_delay_alu instid0(VALU_DEP_1) | instskip(NEXT) | instid1(VALU_DEP_1)
	v_xor_b32_e32 v13, v13, v11
	v_sub_nc_u32_e32 v13, v13, v11
	s_delay_alu instid0(VALU_DEP_1)
	v_cmp_ne_u32_e32 vcc_lo, 0, v13
                                        ; implicit-def: $vgpr13
	s_and_b32 s42, vcc_lo, exec_lo
	s_wait_alu 0xfffe
	s_and_not1_saveexec_b32 s43, s43
	s_cbranch_execz .LBB32_11
.LBB32_14:                              ;   in Loop: Header=BB32_9 Depth=3
	v_sub_nc_u32_e32 v4, 0, v13
	s_or_b32 s42, s42, exec_lo
	s_delay_alu instid0(VALU_DEP_1) | instskip(NEXT) | instid1(VALU_DEP_1)
	v_max_i32_e32 v5, v13, v4
	v_mul_hi_u32 v4, v5, s52
	s_delay_alu instid0(VALU_DEP_1) | instskip(NEXT) | instid1(VALU_DEP_1)
	v_mul_lo_u32 v11, v4, s47
	v_sub_nc_u32_e32 v5, v5, v11
	v_ashrrev_i32_e32 v11, 31, v13
	s_delay_alu instid0(VALU_DEP_2)
	v_subrev_nc_u32_e32 v12, s47, v5
	s_wait_alu 0xfffe
	s_or_b32 exec_lo, exec_lo, s43
	v_mov_b32_e32 v13, 1
	s_and_saveexec_b32 s43, s42
	s_cbranch_execz .LBB32_12
.LBB32_15:                              ;   in Loop: Header=BB32_9 Depth=3
	v_mov_b32_e32 v13, 0
	s_wait_alu 0xfffe
	s_or_b32 exec_lo, exec_lo, s43
	s_delay_alu instid0(SALU_CYCLE_1)
	s_and_not1_b32 vcc_lo, exec_lo, s45
	s_wait_alu 0xfffe
	s_cbranch_vccnz .LBB32_8
.LBB32_16:                              ;   in Loop: Header=BB32_9 Depth=3
	v_add_nc_u32_e32 v14, 1, v4
	v_cmp_le_u32_e32 vcc_lo, s47, v5
	v_xor_b32_e32 v11, s51, v11
	s_mov_b64 s[42:43], s[40:41]
	s_mov_b32 s54, s18
	s_wait_alu 0xfffd
	v_dual_cndmask_b32 v4, v4, v14 :: v_dual_cndmask_b32 v5, v5, v12
	s_delay_alu instid0(VALU_DEP_1) | instskip(NEXT) | instid1(VALU_DEP_2)
	v_add_nc_u32_e32 v12, 1, v4
	v_cmp_le_u32_e32 vcc_lo, s47, v5
	s_wait_alu 0xfffd
	s_delay_alu instid0(VALU_DEP_2) | instskip(NEXT) | instid1(VALU_DEP_1)
	v_cndmask_b32_e32 v4, v4, v12, vcc_lo
	v_xor_b32_e32 v4, v4, v11
	s_delay_alu instid0(VALU_DEP_1) | instskip(NEXT) | instid1(VALU_DEP_1)
	v_sub_nc_u32_e32 v11, v4, v11
	v_ashrrev_i32_e32 v4, 31, v11
	v_add_co_u32 v5, vcc_lo, s38, v11
	s_wait_alu 0xfffd
	s_delay_alu instid0(VALU_DEP_2) | instskip(NEXT) | instid1(VALU_DEP_2)
	v_add_co_ci_u32_e64 v12, null, s39, v4, vcc_lo
	v_mul_lo_u32 v14, v5, s9
	v_mad_co_u64_u32 v[4:5], null, v5, s8, 0
	s_delay_alu instid0(VALU_DEP_3) | instskip(SKIP_3) | instid1(VALU_DEP_3)
	v_mul_lo_u32 v12, v12, s8
	v_cmp_gt_i32_e32 vcc_lo, s30, v11
	s_wait_alu 0xfffd
	v_cndmask_b32_e32 v11, 0, v13, vcc_lo
	v_add3_u32 v5, v5, v14, v12
	v_mov_b32_e32 v14, v10
	s_delay_alu instid0(VALU_DEP_2) | instskip(NEXT) | instid1(VALU_DEP_1)
	v_lshlrev_b64_e32 v[4:5], 1, v[4:5]
	v_add_co_u32 v12, vcc_lo, s4, v4
	s_wait_alu 0xfffd
	s_delay_alu instid0(VALU_DEP_2)
	v_add_co_ci_u32_e64 v13, null, s5, v5, vcc_lo
	s_branch .LBB32_18
.LBB32_17:                              ;   in Loop: Header=BB32_18 Depth=4
	s_or_b32 exec_lo, exec_lo, s55
	v_subrev_nc_u32_e32 v14, s14, v14
	s_add_co_i32 s54, s54, -1
	s_wait_alu 0xfffe
	s_add_nc_u64 s[42:43], s[42:43], 2
	s_cmp_eq_u32 s54, 0
	s_cbranch_scc1 .LBB32_8
.LBB32_18:                              ;   Parent Loop BB32_3 Depth=1
                                        ;     Parent Loop BB32_6 Depth=2
                                        ;       Parent Loop BB32_9 Depth=3
                                        ; =>      This Inner Loop Header: Depth=4
	v_sub_nc_u32_e32 v17, 0, v14
	s_mov_b32 s55, 0
	s_mov_b32 s56, exec_lo
                                        ; implicit-def: $vgpr15
                                        ; implicit-def: $vgpr4
                                        ; implicit-def: $vgpr5
                                        ; implicit-def: $vgpr16
	v_cmpx_lt_i32_e32 -1, v14
	s_xor_b32 s56, exec_lo, s56
	s_cbranch_execnz .LBB32_24
; %bb.19:                               ;   in Loop: Header=BB32_18 Depth=4
	s_and_not1_saveexec_b32 s56, s56
	s_cbranch_execnz .LBB32_25
.LBB32_20:                              ;   in Loop: Header=BB32_18 Depth=4
	s_or_b32 exec_lo, exec_lo, s56
	v_mov_b32_e32 v17, 1
	s_and_saveexec_b32 s56, s55
.LBB32_21:                              ;   in Loop: Header=BB32_18 Depth=4
	v_mov_b32_e32 v17, 0
.LBB32_22:                              ;   in Loop: Header=BB32_18 Depth=4
	s_or_b32 exec_lo, exec_lo, s56
	v_add_nc_u32_e32 v18, 1, v4
	v_cmp_le_u32_e32 vcc_lo, s48, v5
	v_xor_b32_e32 v15, s12, v15
	s_mov_b32 s55, exec_lo
	s_wait_alu 0xfffd
	v_dual_cndmask_b32 v4, v4, v18 :: v_dual_cndmask_b32 v5, v5, v16
	s_delay_alu instid0(VALU_DEP_1) | instskip(NEXT) | instid1(VALU_DEP_2)
	v_add_nc_u32_e32 v16, 1, v4
	v_cmp_le_u32_e32 vcc_lo, s48, v5
	s_wait_alu 0xfffd
	s_delay_alu instid0(VALU_DEP_2) | instskip(NEXT) | instid1(VALU_DEP_1)
	v_cndmask_b32_e32 v4, v4, v16, vcc_lo
	v_xor_b32_e32 v4, v4, v15
	s_delay_alu instid0(VALU_DEP_1) | instskip(NEXT) | instid1(VALU_DEP_1)
	v_sub_nc_u32_e32 v4, v4, v15
	v_cmp_gt_i32_e32 vcc_lo, s8, v4
	s_wait_alu 0xfffd
	v_cndmask_b32_e32 v5, 0, v17, vcc_lo
	s_delay_alu instid0(VALU_DEP_1) | instskip(NEXT) | instid1(VALU_DEP_1)
	v_and_b32_e32 v5, v5, v11
	v_and_b32_e32 v5, 1, v5
	s_delay_alu instid0(VALU_DEP_1)
	v_cmpx_eq_u32_e32 1, v5
	s_cbranch_execz .LBB32_17
; %bb.23:                               ;   in Loop: Header=BB32_18 Depth=4
	v_ashrrev_i32_e32 v5, 31, v4
	s_delay_alu instid0(VALU_DEP_1) | instskip(NEXT) | instid1(VALU_DEP_1)
	v_lshlrev_b64_e32 v[4:5], 1, v[4:5]
	v_add_co_u32 v4, vcc_lo, v12, v4
	s_wait_alu 0xfffd
	s_delay_alu instid0(VALU_DEP_2)
	v_add_co_ci_u32_e64 v5, null, v13, v5, vcc_lo
	global_load_u16 v4, v[4:5], off
	global_load_u16 v5, v6, s[42:43]
	s_wait_loadcnt 0x1
	v_cvt_f32_f16_e32 v4, v4
	s_wait_loadcnt 0x0
	v_cvt_f32_f16_e32 v15, v5
	s_delay_alu instid0(VALU_DEP_2) | instskip(NEXT) | instid1(VALU_DEP_2)
	v_cvt_f64_f32_e32 v[4:5], v4
	v_cvt_f64_f32_e32 v[15:16], v15
	s_delay_alu instid0(VALU_DEP_1)
	v_fma_f64 v[1:2], v[4:5], v[15:16], v[1:2]
	s_branch .LBB32_17
.LBB32_24:                              ;   in Loop: Header=BB32_18 Depth=4
	v_max_i32_e32 v5, v14, v17
	s_delay_alu instid0(VALU_DEP_1) | instskip(NEXT) | instid1(VALU_DEP_1)
	v_mul_hi_u32 v4, v5, s35
	v_mul_lo_u32 v15, v4, s48
	s_delay_alu instid0(VALU_DEP_1) | instskip(SKIP_1) | instid1(VALU_DEP_2)
	v_sub_nc_u32_e32 v5, v5, v15
	v_ashrrev_i32_e32 v15, 31, v14
	v_subrev_nc_u32_e32 v16, s48, v5
	v_cmp_le_u32_e32 vcc_lo, s48, v5
	s_wait_alu 0xfffd
	s_delay_alu instid0(VALU_DEP_2) | instskip(NEXT) | instid1(VALU_DEP_1)
	v_cndmask_b32_e32 v17, v5, v16, vcc_lo
	v_subrev_nc_u32_e32 v18, s48, v17
	v_cmp_le_u32_e32 vcc_lo, s48, v17
	s_wait_alu 0xfffd
	s_delay_alu instid0(VALU_DEP_2) | instskip(NEXT) | instid1(VALU_DEP_1)
	v_cndmask_b32_e32 v17, v17, v18, vcc_lo
	v_xor_b32_e32 v17, v17, v15
	s_delay_alu instid0(VALU_DEP_1) | instskip(NEXT) | instid1(VALU_DEP_1)
	v_sub_nc_u32_e32 v17, v17, v15
	v_cmp_ne_u32_e32 vcc_lo, 0, v17
                                        ; implicit-def: $vgpr17
	s_and_b32 s55, vcc_lo, exec_lo
	s_and_not1_saveexec_b32 s56, s56
	s_cbranch_execz .LBB32_20
.LBB32_25:                              ;   in Loop: Header=BB32_18 Depth=4
	v_max_i32_e32 v5, v14, v17
	s_or_b32 s55, s55, exec_lo
	s_delay_alu instid0(VALU_DEP_1) | instskip(NEXT) | instid1(VALU_DEP_1)
	v_mul_hi_u32 v4, v5, s35
	v_mul_lo_u32 v15, v4, s48
	s_delay_alu instid0(VALU_DEP_1) | instskip(SKIP_1) | instid1(VALU_DEP_2)
	v_sub_nc_u32_e32 v5, v5, v15
	v_ashrrev_i32_e32 v15, 31, v14
	v_subrev_nc_u32_e32 v16, s48, v5
	s_or_b32 exec_lo, exec_lo, s56
	v_mov_b32_e32 v17, 1
	s_and_saveexec_b32 s56, s55
	s_cbranch_execnz .LBB32_21
	s_branch .LBB32_22
.LBB32_26:                              ;   in Loop: Header=BB32_3 Depth=1
	v_mov_b32_e32 v1, 0
	v_mov_b32_e32 v2, 0
.LBB32_27:                              ;   in Loop: Header=BB32_3 Depth=1
	v_ashrrev_i32_e32 v4, 31, v3
	s_and_b32 vcc_lo, exec_lo, s17
	s_mov_b32 s2, -1
	s_delay_alu instid0(VALU_DEP_1)
	v_mad_co_i64_i32 v[3:4], null, v8, s28, v[3:4]
	s_wait_alu 0xfffe
	s_cbranch_vccz .LBB32_29
; %bb.28:                               ;   in Loop: Header=BB32_3 Depth=1
	s_delay_alu instid0(VALU_DEP_1) | instskip(SKIP_1) | instid1(VALU_DEP_1)
	v_lshlrev_b64_e32 v[8:9], 1, v[3:4]
	s_mov_b32 s2, 0
	v_add_co_u32 v8, vcc_lo, s0, v8
	s_wait_alu 0xfffd
	s_delay_alu instid0(VALU_DEP_2) | instskip(SKIP_3) | instid1(VALU_DEP_1)
	v_add_co_ci_u32_e64 v9, null, s1, v9, vcc_lo
	global_load_u16 v5, v[8:9], off
	s_wait_loadcnt 0x0
	v_cvt_f32_f16_e32 v5, v5
	v_cvt_f64_f32_e32 v[10:11], v5
	s_delay_alu instid0(VALU_DEP_1) | instskip(NEXT) | instid1(VALU_DEP_1)
	v_mul_f64_e32 v[10:11], s[26:27], v[10:11]
	v_fma_f64 v[10:11], s[24:25], v[1:2], v[10:11]
	s_delay_alu instid0(VALU_DEP_1) | instskip(SKIP_2) | instid1(VALU_DEP_3)
	v_and_or_b32 v5, 0x1ff, v11, v10
	v_lshrrev_b32_e32 v10, 8, v11
	v_bfe_u32 v12, v11, 20, 11
	v_cmp_ne_u32_e32 vcc_lo, 0, v5
	s_delay_alu instid0(VALU_DEP_2) | instskip(SKIP_3) | instid1(VALU_DEP_1)
	v_sub_nc_u32_e32 v13, 0x3f1, v12
	v_add_nc_u32_e32 v12, 0xfffffc10, v12
	s_wait_alu 0xfffd
	v_cndmask_b32_e64 v5, 0, 1, vcc_lo
	v_and_or_b32 v5, 0xffe, v10, v5
	v_med3_i32 v10, v13, 0, 13
	s_delay_alu instid0(VALU_DEP_2) | instskip(NEXT) | instid1(VALU_DEP_1)
	v_or_b32_e32 v13, 0x1000, v5
	v_lshrrev_b32_e32 v14, v10, v13
	s_delay_alu instid0(VALU_DEP_1) | instskip(NEXT) | instid1(VALU_DEP_1)
	v_lshlrev_b32_e32 v10, v10, v14
	v_cmp_ne_u32_e32 vcc_lo, v10, v13
	v_lshl_or_b32 v13, v12, 12, v5
	s_wait_alu 0xfffd
	v_cndmask_b32_e64 v10, 0, 1, vcc_lo
	v_cmp_gt_i32_e32 vcc_lo, 1, v12
	s_delay_alu instid0(VALU_DEP_2) | instskip(SKIP_1) | instid1(VALU_DEP_1)
	v_or_b32_e32 v10, v14, v10
	s_wait_alu 0xfffd
	v_cndmask_b32_e32 v10, v13, v10, vcc_lo
	s_delay_alu instid0(VALU_DEP_1) | instskip(SKIP_1) | instid1(VALU_DEP_2)
	v_and_b32_e32 v13, 7, v10
	v_lshrrev_b32_e32 v10, 2, v10
	v_cmp_lt_i32_e32 vcc_lo, 5, v13
	s_wait_alu 0xfffd
	v_cndmask_b32_e64 v14, 0, 1, vcc_lo
	v_cmp_eq_u32_e32 vcc_lo, 3, v13
	s_wait_alu 0xfffd
	v_cndmask_b32_e64 v13, 0, 1, vcc_lo
	v_cmp_ne_u32_e32 vcc_lo, 0, v5
	s_delay_alu instid0(VALU_DEP_2) | instskip(SKIP_3) | instid1(VALU_DEP_3)
	v_or_b32_e32 v13, v13, v14
	s_wait_alu 0xfffd
	v_cndmask_b32_e32 v5, 0x7c00, v7, vcc_lo
	v_cmp_gt_i32_e32 vcc_lo, 31, v12
	v_add_nc_u32_e32 v10, v10, v13
	s_wait_alu 0xfffd
	s_delay_alu instid0(VALU_DEP_1) | instskip(SKIP_2) | instid1(VALU_DEP_2)
	v_cndmask_b32_e32 v10, 0x7c00, v10, vcc_lo
	v_cmp_eq_u32_e32 vcc_lo, 0x40f, v12
	s_wait_alu 0xfffd
	v_cndmask_b32_e32 v5, v10, v5, vcc_lo
	v_lshrrev_b32_e32 v10, 16, v11
	s_delay_alu instid0(VALU_DEP_1)
	v_and_or_b32 v5, 0x8000, v10, v5
	global_store_b16 v[8:9], v5, off
.LBB32_29:                              ;   in Loop: Header=BB32_3 Depth=1
	s_wait_alu 0xfffe
	s_and_not1_b32 vcc_lo, exec_lo, s2
	s_wait_alu 0xfffe
	s_cbranch_vccnz .LBB32_2
; %bb.30:                               ;   in Loop: Header=BB32_3 Depth=1
	s_delay_alu instid0(VALU_DEP_3) | instskip(SKIP_2) | instid1(VALU_DEP_3)
	v_and_or_b32 v1, 0x1ff, v2, v1
	v_lshrrev_b32_e32 v5, 8, v2
	v_bfe_u32 v8, v2, 20, 11
	v_cmp_ne_u32_e32 vcc_lo, 0, v1
	s_delay_alu instid0(VALU_DEP_2) | instskip(SKIP_2) | instid1(VALU_DEP_1)
	v_sub_nc_u32_e32 v9, 0x3f1, v8
	s_wait_alu 0xfffd
	v_cndmask_b32_e64 v1, 0, 1, vcc_lo
	v_and_or_b32 v1, 0xffe, v5, v1
	s_delay_alu instid0(VALU_DEP_3) | instskip(NEXT) | instid1(VALU_DEP_2)
	v_med3_i32 v5, v9, 0, 13
	v_or_b32_e32 v9, 0x1000, v1
	s_delay_alu instid0(VALU_DEP_1) | instskip(NEXT) | instid1(VALU_DEP_1)
	v_lshrrev_b32_e32 v10, v5, v9
	v_lshlrev_b32_e32 v5, v5, v10
	s_delay_alu instid0(VALU_DEP_1) | instskip(SKIP_2) | instid1(VALU_DEP_1)
	v_cmp_ne_u32_e32 vcc_lo, v5, v9
	s_wait_alu 0xfffd
	v_cndmask_b32_e64 v5, 0, 1, vcc_lo
	v_or_b32_e32 v5, v10, v5
	v_add_nc_u32_e32 v8, 0xfffffc10, v8
	s_delay_alu instid0(VALU_DEP_1) | instskip(SKIP_2) | instid1(VALU_DEP_2)
	v_lshl_or_b32 v9, v8, 12, v1
	v_cmp_gt_i32_e32 vcc_lo, 1, v8
	s_wait_alu 0xfffd
	v_cndmask_b32_e32 v5, v9, v5, vcc_lo
	s_delay_alu instid0(VALU_DEP_1) | instskip(SKIP_1) | instid1(VALU_DEP_2)
	v_and_b32_e32 v9, 7, v5
	v_lshrrev_b32_e32 v5, 2, v5
	v_cmp_lt_i32_e32 vcc_lo, 5, v9
	s_wait_alu 0xfffd
	v_cndmask_b32_e64 v10, 0, 1, vcc_lo
	v_cmp_eq_u32_e32 vcc_lo, 3, v9
	s_wait_alu 0xfffd
	v_cndmask_b32_e64 v9, 0, 1, vcc_lo
	v_cmp_ne_u32_e32 vcc_lo, 0, v1
	s_delay_alu instid0(VALU_DEP_2) | instskip(SKIP_3) | instid1(VALU_DEP_3)
	v_or_b32_e32 v9, v9, v10
	s_wait_alu 0xfffd
	v_cndmask_b32_e32 v1, 0x7c00, v7, vcc_lo
	v_cmp_gt_i32_e32 vcc_lo, 31, v8
	v_add_nc_u32_e32 v5, v5, v9
	v_lshrrev_b32_e32 v9, 16, v2
	s_wait_alu 0xfffd
	s_delay_alu instid0(VALU_DEP_2) | instskip(SKIP_2) | instid1(VALU_DEP_2)
	v_cndmask_b32_e32 v5, 0x7c00, v5, vcc_lo
	v_cmp_eq_u32_e32 vcc_lo, 0x40f, v8
	s_wait_alu 0xfffd
	v_cndmask_b32_e32 v5, v5, v1, vcc_lo
	v_lshlrev_b64_e32 v[1:2], 1, v[3:4]
	s_delay_alu instid0(VALU_DEP_2) | instskip(NEXT) | instid1(VALU_DEP_2)
	v_and_or_b32 v3, 0x8000, v9, v5
	v_add_co_u32 v1, vcc_lo, s0, v1
	s_wait_alu 0xfffd
	s_delay_alu instid0(VALU_DEP_3)
	v_add_co_ci_u32_e64 v2, null, s1, v2, vcc_lo
	global_store_b16 v[1:2], v3, off
	s_branch .LBB32_2
.LBB32_31:
	s_endpgm
	.section	.rodata,"a",@progbits
	.p2align	6, 0x0
	.amdhsa_kernel naive_conv_ab_packed_bwd_nchw_half_double_half_0
		.amdhsa_group_segment_fixed_size 0
		.amdhsa_private_segment_fixed_size 0
		.amdhsa_kernarg_size 480
		.amdhsa_user_sgpr_count 2
		.amdhsa_user_sgpr_dispatch_ptr 0
		.amdhsa_user_sgpr_queue_ptr 0
		.amdhsa_user_sgpr_kernarg_segment_ptr 1
		.amdhsa_user_sgpr_dispatch_id 0
		.amdhsa_user_sgpr_private_segment_size 0
		.amdhsa_wavefront_size32 1
		.amdhsa_uses_dynamic_stack 0
		.amdhsa_enable_private_segment 0
		.amdhsa_system_sgpr_workgroup_id_x 1
		.amdhsa_system_sgpr_workgroup_id_y 0
		.amdhsa_system_sgpr_workgroup_id_z 0
		.amdhsa_system_sgpr_workgroup_info 0
		.amdhsa_system_vgpr_workitem_id 0
		.amdhsa_next_free_vgpr 19
		.amdhsa_next_free_sgpr 57
		.amdhsa_reserve_vcc 1
		.amdhsa_float_round_mode_32 0
		.amdhsa_float_round_mode_16_64 0
		.amdhsa_float_denorm_mode_32 3
		.amdhsa_float_denorm_mode_16_64 3
		.amdhsa_fp16_overflow 0
		.amdhsa_workgroup_processor_mode 1
		.amdhsa_memory_ordered 1
		.amdhsa_forward_progress 1
		.amdhsa_inst_pref_size 23
		.amdhsa_round_robin_scheduling 0
		.amdhsa_exception_fp_ieee_invalid_op 0
		.amdhsa_exception_fp_denorm_src 0
		.amdhsa_exception_fp_ieee_div_zero 0
		.amdhsa_exception_fp_ieee_overflow 0
		.amdhsa_exception_fp_ieee_underflow 0
		.amdhsa_exception_fp_ieee_inexact 0
		.amdhsa_exception_int_div_zero 0
	.end_amdhsa_kernel
	.text
.Lfunc_end32:
	.size	naive_conv_ab_packed_bwd_nchw_half_double_half_0, .Lfunc_end32-naive_conv_ab_packed_bwd_nchw_half_double_half_0
                                        ; -- End function
	.set naive_conv_ab_packed_bwd_nchw_half_double_half_0.num_vgpr, 19
	.set naive_conv_ab_packed_bwd_nchw_half_double_half_0.num_agpr, 0
	.set naive_conv_ab_packed_bwd_nchw_half_double_half_0.numbered_sgpr, 57
	.set naive_conv_ab_packed_bwd_nchw_half_double_half_0.num_named_barrier, 0
	.set naive_conv_ab_packed_bwd_nchw_half_double_half_0.private_seg_size, 0
	.set naive_conv_ab_packed_bwd_nchw_half_double_half_0.uses_vcc, 1
	.set naive_conv_ab_packed_bwd_nchw_half_double_half_0.uses_flat_scratch, 0
	.set naive_conv_ab_packed_bwd_nchw_half_double_half_0.has_dyn_sized_stack, 0
	.set naive_conv_ab_packed_bwd_nchw_half_double_half_0.has_recursion, 0
	.set naive_conv_ab_packed_bwd_nchw_half_double_half_0.has_indirect_call, 0
	.section	.AMDGPU.csdata,"",@progbits
; Kernel info:
; codeLenInByte = 2856
; TotalNumSgprs: 59
; NumVgprs: 19
; ScratchSize: 0
; MemoryBound: 0
; FloatMode: 240
; IeeeMode: 1
; LDSByteSize: 0 bytes/workgroup (compile time only)
; SGPRBlocks: 0
; VGPRBlocks: 2
; NumSGPRsForWavesPerEU: 59
; NumVGPRsForWavesPerEU: 19
; Occupancy: 16
; WaveLimiterHint : 0
; COMPUTE_PGM_RSRC2:SCRATCH_EN: 0
; COMPUTE_PGM_RSRC2:USER_SGPR: 2
; COMPUTE_PGM_RSRC2:TRAP_HANDLER: 0
; COMPUTE_PGM_RSRC2:TGID_X_EN: 1
; COMPUTE_PGM_RSRC2:TGID_Y_EN: 0
; COMPUTE_PGM_RSRC2:TGID_Z_EN: 0
; COMPUTE_PGM_RSRC2:TIDIG_COMP_CNT: 0
	.text
	.protected	naive_conv_ab_nonpacked_bwd_nchw_half_double_half_0 ; -- Begin function naive_conv_ab_nonpacked_bwd_nchw_half_double_half_0
	.globl	naive_conv_ab_nonpacked_bwd_nchw_half_double_half_0
	.p2align	8
	.type	naive_conv_ab_nonpacked_bwd_nchw_half_double_half_0,@function
naive_conv_ab_nonpacked_bwd_nchw_half_double_half_0: ; @naive_conv_ab_nonpacked_bwd_nchw_half_double_half_0
; %bb.0:
	s_load_b256 s[20:27], s[0:1], 0xa0
	s_mov_b32 s9, exec_lo
	s_wait_kmcnt 0x0
	s_abs_i32 s3, s24
	s_mul_i32 s20, s21, s20
	s_cvt_f32_u32 s2, s3
	s_delay_alu instid0(SALU_CYCLE_3) | instskip(NEXT) | instid1(TRANS32_DEP_1)
	v_rcp_iflag_f32_e32 v1, s2
	v_readfirstlane_b32 s2, v1
	s_mul_f32 s2, s2, 0x4f7ffffe
	s_wait_alu 0xfffe
	s_delay_alu instid0(SALU_CYCLE_2) | instskip(SKIP_2) | instid1(SALU_CYCLE_1)
	s_cvt_u32_f32 s4, s2
	s_sub_co_i32 s2, 0, s3
	s_wait_alu 0xfffe
	s_mul_i32 s2, s2, s4
	s_wait_alu 0xfffe
	s_mul_hi_u32 s5, s4, s2
	s_abs_i32 s2, ttmp9
	s_add_co_i32 s4, s4, s5
	s_wait_alu 0xfffe
	s_mul_hi_u32 s4, s2, s4
	s_delay_alu instid0(SALU_CYCLE_1) | instskip(SKIP_2) | instid1(SALU_CYCLE_1)
	s_mul_i32 s5, s4, s3
	s_add_co_i32 s6, s4, 1
	s_sub_co_i32 s5, s2, s5
	s_sub_co_i32 s7, s5, s3
	s_cmp_ge_u32 s5, s3
	s_cselect_b32 s4, s6, s4
	s_cselect_b32 s5, s7, s5
	s_add_co_i32 s6, s4, 1
	s_cmp_ge_u32 s5, s3
	s_mul_i32 s5, s24, s22
	s_cselect_b32 s6, s6, s4
	s_abs_i32 s4, s22
	s_abs_i32 s22, s5
	s_cvt_f32_u32 s3, s4
	s_cvt_f32_u32 s7, s22
	s_wait_alu 0xfffe
	s_delay_alu instid0(SALU_CYCLE_1) | instskip(NEXT) | instid1(SALU_CYCLE_1)
	v_rcp_iflag_f32_e32 v1, s3
	v_rcp_iflag_f32_e32 v2, s7
	s_mov_b32 s3, 0
	s_delay_alu instid0(TRANS32_DEP_2) | instskip(NEXT) | instid1(TRANS32_DEP_1)
	v_readfirstlane_b32 s8, v1
	v_readfirstlane_b32 s7, v2
	v_cmpx_gt_i32_e64 s20, v0
	s_cbranch_execz .LBB33_31
; %bb.1:
	s_mul_f32 s8, s8, 0x4f7ffffe
	s_ashr_i32 s28, ttmp9, 31
	s_ashr_i32 s9, s24, 31
	s_sub_co_i32 s10, 0, s4
	s_cvt_u32_f32 s8, s8
	s_xor_b32 s9, s28, s9
	s_mul_f32 s11, s7, 0x4f7ffffe
	s_xor_b32 s6, s6, s9
	s_mul_i32 s10, s10, s8
	s_wait_alu 0xfffe
	s_sub_co_i32 s12, s6, s9
	s_mul_hi_u32 s7, s8, s10
	s_abs_i32 s6, s12
	s_wait_alu 0xfffe
	s_add_co_i32 s8, s8, s7
	s_mov_b32 s7, s3
	s_cvt_u32_f32 s10, s11
	s_mov_b32 s9, s3
	s_sub_co_i32 s11, 0, s22
	s_wait_alu 0xfffe
	s_mul_u64 s[8:9], s[6:7], s[8:9]
	s_mul_i32 s11, s11, s10
	s_ashr_i32 s30, s5, 31
	s_mul_i32 s5, s9, s4
	s_ashr_i32 s29, s12, 31
	s_mul_hi_u32 s7, s10, s11
	s_mul_i32 s12, s12, s24
	s_sub_co_i32 s5, s6, s5
	s_wait_alu 0xfffe
	s_add_co_i32 s8, s10, s7
	s_sub_co_i32 s34, ttmp9, s12
	s_sub_co_i32 s6, s5, s4
	s_cmp_ge_u32 s5, s4
	s_mov_b32 s9, s3
	s_wait_alu 0xfffe
	s_cselect_b32 s5, s6, s5
	s_load_b256 s[36:43], s[0:1], 0x0
	s_sub_co_i32 s6, s5, s4
	s_cmp_ge_u32 s5, s4
	s_mul_u64 s[44:45], s[2:3], s[8:9]
	s_wait_alu 0xfffe
	s_cselect_b32 s4, s6, s5
	s_xor_b32 s33, s28, s30
	s_xor_b32 s24, s4, s29
	s_load_b512 s[4:19], s[0:1], 0x28
	s_sub_co_i32 s52, s24, s29
	s_mul_i32 s24, s45, s22
	s_clause 0x1
	s_load_b64 s[54:55], s[0:1], 0x98
	s_load_b128 s[28:31], s[0:1], 0x88
	s_sub_co_i32 s2, s2, s24
	s_add_co_i32 s24, s45, 1
	s_wait_alu 0xfffe
	s_sub_co_i32 s35, s2, s22
	s_cmp_ge_u32 s2, s22
	s_load_b64 s[66:67], s[0:1], 0x20
	s_cselect_b32 s24, s24, s45
	s_cselect_b32 s2, s35, s2
	s_load_b256 s[44:51], s[0:1], 0xc0
	s_add_co_i32 s35, s24, 1
	s_cmp_ge_u32 s2, s22
	s_wait_kmcnt 0x0
	v_cmp_neq_f64_e64 s68, s[42:43], 0
	s_cselect_b32 s2, s35, s24
	s_ashr_i32 s53, s52, 31
	s_wait_alu 0xfffe
	s_xor_b32 s2, s2, s33
	s_ashr_i32 s35, s34, 31
	s_wait_alu 0xfffe
	s_sub_co_i32 s60, s2, s33
	v_cmp_neq_f64_e64 s2, s[40:41], 1.0
	s_ashr_i32 s61, s60, 31
	s_mul_u64 s[12:13], s[12:13], s[52:53]
	s_mul_u64 s[10:11], s[10:11], s[60:61]
	;; [unrolled: 1-line block ×5, first 2 shown]
	s_lshl_b64 s[12:13], s[12:13], 1
	s_lshl_b64 s[10:11], s[10:11], 1
	;; [unrolled: 1-line block ×5, first 2 shown]
	s_cmp_gt_i32 s23, 0
	s_add_nc_u64 s[12:13], s[36:37], s[12:13]
	s_cselect_b32 s22, -1, 0
	s_cmp_gt_i32 s49, 0
	s_load_b32 s69, s[0:1], 0xec
	s_cselect_b32 s24, -1, 0
	s_cmp_gt_i32 s50, 0
	v_dual_mov_b32 v5, 0 :: v_dual_mov_b32 v6, 0x7e00
	s_cselect_b32 s33, -1, 0
	s_abs_i32 s51, s21
	s_abs_i32 s62, s27
	s_cvt_f32_u32 s52, s51
	s_cvt_f32_u32 s63, s62
	s_ashr_i32 s27, s27, 31
	s_lshl_b64 s[16:17], s[16:17], 1
	v_rcp_iflag_f32_e32 v1, s52
	v_rcp_iflag_f32_e32 v2, s63
	s_abs_i32 s63, s44
	s_load_b256 s[52:59], s[0:1], 0x68
	s_add_nc_u64 s[0:1], s[12:13], s[10:11]
	s_cvt_f32_u32 s13, s63
	s_add_nc_u64 s[10:11], s[66:67], s[64:65]
	s_add_nc_u64 s[0:1], s[0:1], s[8:9]
	;; [unrolled: 1-line block ×3, first 2 shown]
	s_sub_co_i32 s11, 0, s51
	v_readfirstlane_b32 s12, v1
	v_rcp_iflag_f32_e32 v1, s13
	s_or_b32 s64, s2, s68
	v_readfirstlane_b32 s2, v2
	s_wait_kmcnt 0x0
	s_and_b32 s65, s69, 0xffff
	s_mul_f32 s10, s12, 0x4f7ffffe
	s_ashr_i32 s66, s21, 31
	s_ashr_i32 s44, s44, 31
	s_mul_f32 s2, s2, 0x4f7ffffe
	s_cvt_u32_f32 s10, s10
	s_lshl_b64 s[14:15], s[14:15], 1
	v_readfirstlane_b32 s12, v1
	s_wait_alu 0xfffe
	s_cvt_u32_f32 s2, s2
	s_mul_i32 s11, s11, s10
	s_delay_alu instid0(SALU_CYCLE_1) | instskip(NEXT) | instid1(SALU_CYCLE_1)
	s_mul_hi_u32 s11, s10, s11
	s_add_co_i32 s67, s10, s11
	s_sub_co_i32 s10, 0, s62
	s_mul_f32 s11, s12, 0x4f7ffffe
	s_wait_alu 0xfffe
	s_mul_i32 s10, s10, s2
	s_mul_u64 s[12:13], s[54:55], s[60:61]
	s_mul_hi_u32 s10, s2, s10
	s_cvt_u32_f32 s30, s11
	s_add_co_i32 s68, s2, s10
	s_sub_co_i32 s2, 0, s63
	s_mul_u64 s[10:11], s[18:19], s[34:35]
	s_wait_alu 0xfffe
	s_mul_i32 s2, s2, s30
	s_lshl_b64 s[10:11], s[10:11], 1
	s_lshl_b64 s[12:13], s[12:13], 1
	s_wait_alu 0xfffe
	s_mul_hi_u32 s2, s30, s2
	s_add_nc_u64 s[10:11], s[10:11], s[12:13]
	s_wait_alu 0xfffe
	s_add_co_i32 s54, s30, s2
	s_add_nc_u64 s[10:11], s[38:39], s[10:11]
	s_lshl_b64 s[12:13], s[52:53], 1
	s_mov_b32 s38, 0
	s_branch .LBB33_3
.LBB33_2:                               ;   in Loop: Header=BB33_3 Depth=1
	v_add_nc_u32_e32 v0, s65, v0
	s_delay_alu instid0(VALU_DEP_1) | instskip(SKIP_1) | instid1(SALU_CYCLE_1)
	v_cmp_le_i32_e32 vcc_lo, s20, v0
	s_or_b32 s38, vcc_lo, s38
	s_and_not1_b32 exec_lo, exec_lo, s38
	s_cbranch_execz .LBB33_31
.LBB33_3:                               ; =>This Loop Header: Depth=1
                                        ;     Child Loop BB33_6 Depth 2
                                        ;       Child Loop BB33_9 Depth 3
                                        ;         Child Loop BB33_18 Depth 4
	v_sub_nc_u32_e32 v1, 0, v0
	s_delay_alu instid0(VALU_DEP_1) | instskip(NEXT) | instid1(VALU_DEP_1)
	v_max_i32_e32 v1, v0, v1
	v_mul_hi_u32 v2, v1, s67
	s_delay_alu instid0(VALU_DEP_1) | instskip(NEXT) | instid1(VALU_DEP_1)
	v_mul_lo_u32 v3, v2, s51
	v_sub_nc_u32_e32 v1, v1, v3
	v_add_nc_u32_e32 v3, 1, v2
	s_delay_alu instid0(VALU_DEP_2) | instskip(SKIP_2) | instid1(VALU_DEP_2)
	v_subrev_nc_u32_e32 v4, s51, v1
	v_cmp_le_u32_e32 vcc_lo, s51, v1
	s_wait_alu 0xfffd
	v_dual_cndmask_b32 v2, v2, v3 :: v_dual_cndmask_b32 v1, v1, v4
	v_ashrrev_i32_e32 v3, 31, v0
	s_delay_alu instid0(VALU_DEP_2) | instskip(NEXT) | instid1(VALU_DEP_3)
	v_add_nc_u32_e32 v4, 1, v2
	v_cmp_le_u32_e32 vcc_lo, s51, v1
	s_delay_alu instid0(VALU_DEP_3) | instskip(SKIP_1) | instid1(VALU_DEP_3)
	v_xor_b32_e32 v3, s66, v3
	s_wait_alu 0xfffd
	v_cndmask_b32_e32 v1, v2, v4, vcc_lo
	s_and_not1_b32 vcc_lo, exec_lo, s22
	s_delay_alu instid0(VALU_DEP_1) | instskip(NEXT) | instid1(VALU_DEP_1)
	v_xor_b32_e32 v1, v1, v3
	v_sub_nc_u32_e32 v4, v1, v3
	s_delay_alu instid0(VALU_DEP_1) | instskip(NEXT) | instid1(VALU_DEP_1)
	v_mul_lo_u32 v1, v4, s21
	v_sub_nc_u32_e32 v3, v0, v1
	s_wait_alu 0xfffe
	s_cbranch_vccnz .LBB33_26
; %bb.4:                                ;   in Loop: Header=BB33_3 Depth=1
	s_delay_alu instid0(VALU_DEP_1)
	v_dual_mov_b32 v1, 0 :: v_dual_add_nc_u32 v8, s48, v3
	v_dual_mov_b32 v2, 0 :: v_dual_add_nc_u32 v7, s47, v4
	s_mov_b32 s2, 0
	s_mov_b64 s[18:19], s[10:11]
	s_branch .LBB33_6
.LBB33_5:                               ;   in Loop: Header=BB33_6 Depth=2
	s_add_co_i32 s2, s2, 1
	s_add_nc_u64 s[18:19], s[18:19], s[12:13]
	s_wait_alu 0xfffe
	s_cmp_eq_u32 s2, s23
	s_cbranch_scc1 .LBB33_27
.LBB33_6:                               ;   Parent Loop BB33_3 Depth=1
                                        ; =>  This Loop Header: Depth=2
                                        ;       Child Loop BB33_9 Depth 3
                                        ;         Child Loop BB33_18 Depth 4
	s_and_not1_b32 vcc_lo, exec_lo, s24
	s_wait_alu 0xfffe
	s_cbranch_vccnz .LBB33_5
; %bb.7:                                ;   in Loop: Header=BB33_6 Depth=2
	s_mul_u64 s[30:31], s[28:29], s[2:3]
	s_mov_b32 s39, 0
	s_wait_alu 0xfffe
	s_lshl_b64 s[30:31], s[30:31], 1
	s_mov_b64 s[34:35], s[18:19]
	s_wait_alu 0xfffe
	s_add_nc_u64 s[30:31], s[8:9], s[30:31]
	s_branch .LBB33_9
.LBB33_8:                               ;   in Loop: Header=BB33_9 Depth=3
	s_add_co_i32 s39, s39, 1
	s_add_nc_u64 s[34:35], s[34:35], s[16:17]
	s_cmp_eq_u32 s39, s49
	s_cbranch_scc1 .LBB33_5
.LBB33_9:                               ;   Parent Loop BB33_3 Depth=1
                                        ;     Parent Loop BB33_6 Depth=2
                                        ; =>    This Loop Header: Depth=3
                                        ;         Child Loop BB33_18 Depth 4
	s_mul_i32 s36, s45, s39
	s_mov_b32 s37, exec_lo
	s_wait_alu 0xfffe
	v_subrev_nc_u32_e32 v13, s36, v7
	s_mov_b32 s36, 0
                                        ; implicit-def: $vgpr11
                                        ; implicit-def: $vgpr9
                                        ; implicit-def: $vgpr10
                                        ; implicit-def: $vgpr12
	s_delay_alu instid0(VALU_DEP_1)
	v_cmpx_lt_i32_e32 -1, v13
	s_xor_b32 s37, exec_lo, s37
	s_cbranch_execnz .LBB33_13
; %bb.10:                               ;   in Loop: Header=BB33_9 Depth=3
	s_wait_alu 0xfffe
	s_and_not1_saveexec_b32 s37, s37
	s_cbranch_execnz .LBB33_14
.LBB33_11:                              ;   in Loop: Header=BB33_9 Depth=3
	s_wait_alu 0xfffe
	s_or_b32 exec_lo, exec_lo, s37
	v_mov_b32_e32 v13, 1
	s_and_saveexec_b32 s37, s36
	s_cbranch_execnz .LBB33_15
.LBB33_12:                              ;   in Loop: Header=BB33_9 Depth=3
	s_wait_alu 0xfffe
	s_or_b32 exec_lo, exec_lo, s37
	s_delay_alu instid0(SALU_CYCLE_1)
	s_and_not1_b32 vcc_lo, exec_lo, s33
	s_wait_alu 0xfffe
	s_cbranch_vccz .LBB33_16
	s_branch .LBB33_8
.LBB33_13:                              ;   in Loop: Header=BB33_9 Depth=3
	v_sub_nc_u32_e32 v9, 0, v13
	s_delay_alu instid0(VALU_DEP_1) | instskip(NEXT) | instid1(VALU_DEP_1)
	v_max_i32_e32 v10, v13, v9
	v_mul_hi_u32 v9, v10, s68
	s_delay_alu instid0(VALU_DEP_1) | instskip(NEXT) | instid1(VALU_DEP_1)
	v_mul_lo_u32 v11, v9, s62
	v_sub_nc_u32_e32 v10, v10, v11
	v_ashrrev_i32_e32 v11, 31, v13
	s_delay_alu instid0(VALU_DEP_2) | instskip(SKIP_2) | instid1(VALU_DEP_2)
	v_subrev_nc_u32_e32 v12, s62, v10
	v_cmp_le_u32_e32 vcc_lo, s62, v10
	s_wait_alu 0xfffd
	v_cndmask_b32_e32 v14, v10, v12, vcc_lo
	s_delay_alu instid0(VALU_DEP_1) | instskip(SKIP_2) | instid1(VALU_DEP_2)
	v_subrev_nc_u32_e32 v15, s62, v14
	v_cmp_le_u32_e32 vcc_lo, s62, v14
	s_wait_alu 0xfffd
	v_cndmask_b32_e32 v13, v14, v15, vcc_lo
	s_delay_alu instid0(VALU_DEP_1) | instskip(NEXT) | instid1(VALU_DEP_1)
	v_xor_b32_e32 v13, v13, v11
	v_sub_nc_u32_e32 v13, v13, v11
	s_delay_alu instid0(VALU_DEP_1)
	v_cmp_ne_u32_e32 vcc_lo, 0, v13
                                        ; implicit-def: $vgpr13
	s_and_b32 s36, vcc_lo, exec_lo
	s_wait_alu 0xfffe
	s_and_not1_saveexec_b32 s37, s37
	s_cbranch_execz .LBB33_11
.LBB33_14:                              ;   in Loop: Header=BB33_9 Depth=3
	v_sub_nc_u32_e32 v9, 0, v13
	s_or_b32 s36, s36, exec_lo
	s_delay_alu instid0(VALU_DEP_1) | instskip(NEXT) | instid1(VALU_DEP_1)
	v_max_i32_e32 v10, v13, v9
	v_mul_hi_u32 v9, v10, s68
	s_delay_alu instid0(VALU_DEP_1) | instskip(NEXT) | instid1(VALU_DEP_1)
	v_mul_lo_u32 v11, v9, s62
	v_sub_nc_u32_e32 v10, v10, v11
	v_ashrrev_i32_e32 v11, 31, v13
	s_delay_alu instid0(VALU_DEP_2)
	v_subrev_nc_u32_e32 v12, s62, v10
	s_wait_alu 0xfffe
	s_or_b32 exec_lo, exec_lo, s37
	v_mov_b32_e32 v13, 1
	s_and_saveexec_b32 s37, s36
	s_cbranch_execz .LBB33_12
.LBB33_15:                              ;   in Loop: Header=BB33_9 Depth=3
	v_mov_b32_e32 v13, 0
	s_wait_alu 0xfffe
	s_or_b32 exec_lo, exec_lo, s37
	s_delay_alu instid0(SALU_CYCLE_1)
	s_and_not1_b32 vcc_lo, exec_lo, s33
	s_wait_alu 0xfffe
	s_cbranch_vccnz .LBB33_8
.LBB33_16:                              ;   in Loop: Header=BB33_9 Depth=3
	v_add_nc_u32_e32 v14, 1, v9
	v_cmp_le_u32_e32 vcc_lo, s62, v10
	v_xor_b32_e32 v11, s27, v11
	s_mov_b64 s[36:37], s[34:35]
	s_mov_b32 s52, s50
	s_wait_alu 0xfffd
	v_dual_cndmask_b32 v9, v9, v14 :: v_dual_cndmask_b32 v10, v10, v12
	s_delay_alu instid0(VALU_DEP_1) | instskip(NEXT) | instid1(VALU_DEP_2)
	v_add_nc_u32_e32 v12, 1, v9
	v_cmp_le_u32_e32 vcc_lo, s62, v10
	s_wait_alu 0xfffd
	s_delay_alu instid0(VALU_DEP_2) | instskip(NEXT) | instid1(VALU_DEP_1)
	v_cndmask_b32_e32 v9, v9, v12, vcc_lo
	v_xor_b32_e32 v9, v9, v11
	s_delay_alu instid0(VALU_DEP_1) | instskip(NEXT) | instid1(VALU_DEP_1)
	v_sub_nc_u32_e32 v12, v9, v11
	v_ashrrev_i32_e32 v11, 31, v12
	v_mul_lo_u32 v14, s59, v12
	v_mad_co_u64_u32 v[9:10], null, s58, v12, 0
	v_cmp_gt_i32_e32 vcc_lo, s25, v12
	s_delay_alu instid0(VALU_DEP_4) | instskip(SKIP_1) | instid1(VALU_DEP_2)
	v_mul_lo_u32 v11, s58, v11
	v_mov_b32_e32 v12, v8
	v_add3_u32 v10, v10, v11, v14
	s_delay_alu instid0(VALU_DEP_1) | instskip(SKIP_2) | instid1(VALU_DEP_2)
	v_lshlrev_b64_e32 v[10:11], 1, v[9:10]
	s_wait_alu 0xfffd
	v_cndmask_b32_e32 v9, 0, v13, vcc_lo
	v_add_co_u32 v10, vcc_lo, s30, v10
	s_wait_alu 0xfffd
	s_delay_alu instid0(VALU_DEP_3)
	v_add_co_ci_u32_e64 v11, null, s31, v11, vcc_lo
	s_branch .LBB33_18
.LBB33_17:                              ;   in Loop: Header=BB33_18 Depth=4
	s_wait_alu 0xfffe
	s_or_b32 exec_lo, exec_lo, s53
	v_subrev_nc_u32_e32 v12, s46, v12
	s_add_co_i32 s52, s52, -1
	s_add_nc_u64 s[36:37], s[36:37], s[14:15]
	s_wait_alu 0xfffe
	s_cmp_eq_u32 s52, 0
	s_cbranch_scc1 .LBB33_8
.LBB33_18:                              ;   Parent Loop BB33_3 Depth=1
                                        ;     Parent Loop BB33_6 Depth=2
                                        ;       Parent Loop BB33_9 Depth=3
                                        ; =>      This Inner Loop Header: Depth=4
	v_sub_nc_u32_e32 v17, 0, v12
	s_mov_b32 s53, 0
	s_mov_b32 s55, exec_lo
                                        ; implicit-def: $vgpr15
                                        ; implicit-def: $vgpr13
                                        ; implicit-def: $vgpr14
                                        ; implicit-def: $vgpr16
	v_cmpx_lt_i32_e32 -1, v12
	s_wait_alu 0xfffe
	s_xor_b32 s55, exec_lo, s55
	s_cbranch_execnz .LBB33_24
; %bb.19:                               ;   in Loop: Header=BB33_18 Depth=4
	s_wait_alu 0xfffe
	s_and_not1_saveexec_b32 s55, s55
	s_cbranch_execnz .LBB33_25
.LBB33_20:                              ;   in Loop: Header=BB33_18 Depth=4
	s_wait_alu 0xfffe
	s_or_b32 exec_lo, exec_lo, s55
	v_mov_b32_e32 v17, 1
	s_and_saveexec_b32 s55, s53
.LBB33_21:                              ;   in Loop: Header=BB33_18 Depth=4
	v_mov_b32_e32 v17, 0
.LBB33_22:                              ;   in Loop: Header=BB33_18 Depth=4
	s_wait_alu 0xfffe
	s_or_b32 exec_lo, exec_lo, s55
	v_add_nc_u32_e32 v18, 1, v13
	v_cmp_le_u32_e32 vcc_lo, s63, v14
	v_xor_b32_e32 v15, s44, v15
	s_mov_b32 s53, exec_lo
	s_wait_alu 0xfffd
	v_dual_cndmask_b32 v13, v13, v18 :: v_dual_cndmask_b32 v14, v14, v16
	s_delay_alu instid0(VALU_DEP_1) | instskip(NEXT) | instid1(VALU_DEP_2)
	v_add_nc_u32_e32 v16, 1, v13
	v_cmp_le_u32_e32 vcc_lo, s63, v14
	s_wait_alu 0xfffd
	s_delay_alu instid0(VALU_DEP_2) | instskip(NEXT) | instid1(VALU_DEP_1)
	v_cndmask_b32_e32 v13, v13, v16, vcc_lo
	v_xor_b32_e32 v13, v13, v15
	s_delay_alu instid0(VALU_DEP_1) | instskip(NEXT) | instid1(VALU_DEP_1)
	v_sub_nc_u32_e32 v13, v13, v15
	v_cmp_gt_i32_e32 vcc_lo, s26, v13
	s_wait_alu 0xfffd
	v_cndmask_b32_e32 v14, 0, v17, vcc_lo
	s_delay_alu instid0(VALU_DEP_1) | instskip(NEXT) | instid1(VALU_DEP_1)
	v_and_b32_e32 v14, v14, v9
	v_and_b32_e32 v14, 1, v14
	s_delay_alu instid0(VALU_DEP_1)
	v_cmpx_eq_u32_e32 1, v14
	s_cbranch_execz .LBB33_17
; %bb.23:                               ;   in Loop: Header=BB33_18 Depth=4
	v_ashrrev_i32_e32 v15, 31, v13
	v_mul_lo_u32 v16, s57, v13
	v_mad_co_u64_u32 v[13:14], null, s56, v13, 0
	s_delay_alu instid0(VALU_DEP_3) | instskip(NEXT) | instid1(VALU_DEP_1)
	v_mul_lo_u32 v15, s56, v15
	v_add3_u32 v14, v14, v15, v16
	s_delay_alu instid0(VALU_DEP_1) | instskip(NEXT) | instid1(VALU_DEP_1)
	v_lshlrev_b64_e32 v[13:14], 1, v[13:14]
	v_add_co_u32 v13, vcc_lo, v10, v13
	s_wait_alu 0xfffd
	s_delay_alu instid0(VALU_DEP_2)
	v_add_co_ci_u32_e64 v14, null, v11, v14, vcc_lo
	global_load_u16 v13, v[13:14], off
	global_load_u16 v14, v5, s[36:37]
	s_wait_loadcnt 0x1
	v_cvt_f32_f16_e32 v13, v13
	s_wait_loadcnt 0x0
	v_cvt_f32_f16_e32 v15, v14
	s_delay_alu instid0(VALU_DEP_2) | instskip(NEXT) | instid1(VALU_DEP_2)
	v_cvt_f64_f32_e32 v[13:14], v13
	v_cvt_f64_f32_e32 v[15:16], v15
	s_delay_alu instid0(VALU_DEP_1)
	v_fma_f64 v[1:2], v[13:14], v[15:16], v[1:2]
	s_branch .LBB33_17
.LBB33_24:                              ;   in Loop: Header=BB33_18 Depth=4
	v_max_i32_e32 v14, v12, v17
	s_delay_alu instid0(VALU_DEP_1) | instskip(NEXT) | instid1(VALU_DEP_1)
	v_mul_hi_u32 v13, v14, s54
	v_mul_lo_u32 v15, v13, s63
	s_delay_alu instid0(VALU_DEP_1) | instskip(SKIP_1) | instid1(VALU_DEP_2)
	v_sub_nc_u32_e32 v14, v14, v15
	v_ashrrev_i32_e32 v15, 31, v12
	v_subrev_nc_u32_e32 v16, s63, v14
	v_cmp_le_u32_e32 vcc_lo, s63, v14
	s_wait_alu 0xfffd
	s_delay_alu instid0(VALU_DEP_2) | instskip(NEXT) | instid1(VALU_DEP_1)
	v_cndmask_b32_e32 v17, v14, v16, vcc_lo
	v_subrev_nc_u32_e32 v18, s63, v17
	v_cmp_le_u32_e32 vcc_lo, s63, v17
	s_wait_alu 0xfffd
	s_delay_alu instid0(VALU_DEP_2) | instskip(NEXT) | instid1(VALU_DEP_1)
	v_cndmask_b32_e32 v17, v17, v18, vcc_lo
	v_xor_b32_e32 v17, v17, v15
	s_delay_alu instid0(VALU_DEP_1) | instskip(NEXT) | instid1(VALU_DEP_1)
	v_sub_nc_u32_e32 v17, v17, v15
	v_cmp_ne_u32_e32 vcc_lo, 0, v17
                                        ; implicit-def: $vgpr17
	s_and_b32 s53, vcc_lo, exec_lo
	s_wait_alu 0xfffe
	s_and_not1_saveexec_b32 s55, s55
	s_cbranch_execz .LBB33_20
.LBB33_25:                              ;   in Loop: Header=BB33_18 Depth=4
	v_max_i32_e32 v14, v12, v17
	s_wait_alu 0xfffe
	s_or_b32 s53, s53, exec_lo
	s_delay_alu instid0(VALU_DEP_1) | instskip(NEXT) | instid1(VALU_DEP_1)
	v_mul_hi_u32 v13, v14, s54
	v_mul_lo_u32 v15, v13, s63
	s_delay_alu instid0(VALU_DEP_1) | instskip(SKIP_1) | instid1(VALU_DEP_2)
	v_sub_nc_u32_e32 v14, v14, v15
	v_ashrrev_i32_e32 v15, 31, v12
	v_subrev_nc_u32_e32 v16, s63, v14
	s_or_b32 exec_lo, exec_lo, s55
	v_mov_b32_e32 v17, 1
	s_wait_alu 0xfffe
	s_and_saveexec_b32 s55, s53
	s_cbranch_execnz .LBB33_21
	s_branch .LBB33_22
.LBB33_26:                              ;   in Loop: Header=BB33_3 Depth=1
	v_mov_b32_e32 v1, 0
	v_mov_b32_e32 v2, 0
.LBB33_27:                              ;   in Loop: Header=BB33_3 Depth=1
	v_ashrrev_i32_e32 v9, 31, v4
	v_mul_lo_u32 v10, s7, v4
	v_mad_co_u64_u32 v[7:8], null, s6, v4, 0
	s_and_b32 vcc_lo, exec_lo, s64
	v_mul_lo_u32 v4, s6, v9
	v_ashrrev_i32_e32 v9, 31, v3
	s_mov_b32 s2, -1
	s_delay_alu instid0(VALU_DEP_1) | instskip(NEXT) | instid1(VALU_DEP_3)
	v_mul_lo_u32 v9, s4, v9
	v_add3_u32 v8, v8, v4, v10
	v_mul_lo_u32 v10, s5, v3
	s_delay_alu instid0(VALU_DEP_2) | instskip(NEXT) | instid1(VALU_DEP_1)
	v_mad_co_u64_u32 v[3:4], null, s4, v3, v[7:8]
	v_add3_u32 v4, v10, v4, v9
	s_wait_alu 0xfffe
	s_cbranch_vccz .LBB33_29
; %bb.28:                               ;   in Loop: Header=BB33_3 Depth=1
	s_delay_alu instid0(VALU_DEP_1) | instskip(SKIP_1) | instid1(VALU_DEP_1)
	v_lshlrev_b64_e32 v[7:8], 1, v[3:4]
	s_mov_b32 s2, 0
	v_add_co_u32 v7, vcc_lo, s0, v7
	s_wait_alu 0xfffd
	s_delay_alu instid0(VALU_DEP_2) | instskip(SKIP_3) | instid1(VALU_DEP_1)
	v_add_co_ci_u32_e64 v8, null, s1, v8, vcc_lo
	global_load_u16 v9, v[7:8], off
	s_wait_loadcnt 0x0
	v_cvt_f32_f16_e32 v9, v9
	v_cvt_f64_f32_e32 v[9:10], v9
	s_delay_alu instid0(VALU_DEP_1) | instskip(NEXT) | instid1(VALU_DEP_1)
	v_mul_f64_e32 v[9:10], s[42:43], v[9:10]
	v_fma_f64 v[9:10], s[40:41], v[1:2], v[9:10]
	s_delay_alu instid0(VALU_DEP_1) | instskip(SKIP_3) | instid1(VALU_DEP_4)
	v_and_or_b32 v9, 0x1ff, v10, v9
	v_lshrrev_b32_e32 v11, 8, v10
	v_bfe_u32 v12, v10, 20, 11
	v_lshrrev_b32_e32 v10, 16, v10
	v_cmp_ne_u32_e32 vcc_lo, 0, v9
	s_delay_alu instid0(VALU_DEP_3) | instskip(SKIP_2) | instid1(VALU_DEP_1)
	v_sub_nc_u32_e32 v13, 0x3f1, v12
	s_wait_alu 0xfffd
	v_cndmask_b32_e64 v9, 0, 1, vcc_lo
	v_and_or_b32 v9, 0xffe, v11, v9
	s_delay_alu instid0(VALU_DEP_3) | instskip(NEXT) | instid1(VALU_DEP_2)
	v_med3_i32 v11, v13, 0, 13
	v_or_b32_e32 v13, 0x1000, v9
	s_delay_alu instid0(VALU_DEP_1) | instskip(NEXT) | instid1(VALU_DEP_1)
	v_lshrrev_b32_e32 v14, v11, v13
	v_lshlrev_b32_e32 v11, v11, v14
	s_delay_alu instid0(VALU_DEP_1) | instskip(SKIP_2) | instid1(VALU_DEP_1)
	v_cmp_ne_u32_e32 vcc_lo, v11, v13
	s_wait_alu 0xfffd
	v_cndmask_b32_e64 v11, 0, 1, vcc_lo
	v_or_b32_e32 v11, v14, v11
	v_add_nc_u32_e32 v12, 0xfffffc10, v12
	s_delay_alu instid0(VALU_DEP_1) | instskip(SKIP_2) | instid1(VALU_DEP_2)
	v_lshl_or_b32 v13, v12, 12, v9
	v_cmp_gt_i32_e32 vcc_lo, 1, v12
	s_wait_alu 0xfffd
	v_cndmask_b32_e32 v11, v13, v11, vcc_lo
	s_delay_alu instid0(VALU_DEP_1) | instskip(SKIP_1) | instid1(VALU_DEP_2)
	v_and_b32_e32 v13, 7, v11
	v_lshrrev_b32_e32 v11, 2, v11
	v_cmp_lt_i32_e32 vcc_lo, 5, v13
	s_wait_alu 0xfffd
	v_cndmask_b32_e64 v14, 0, 1, vcc_lo
	v_cmp_eq_u32_e32 vcc_lo, 3, v13
	s_wait_alu 0xfffd
	v_cndmask_b32_e64 v13, 0, 1, vcc_lo
	v_cmp_ne_u32_e32 vcc_lo, 0, v9
	s_delay_alu instid0(VALU_DEP_2) | instskip(SKIP_3) | instid1(VALU_DEP_3)
	v_or_b32_e32 v13, v13, v14
	s_wait_alu 0xfffd
	v_cndmask_b32_e32 v9, 0x7c00, v6, vcc_lo
	v_cmp_gt_i32_e32 vcc_lo, 31, v12
	v_add_nc_u32_e32 v11, v11, v13
	s_wait_alu 0xfffd
	s_delay_alu instid0(VALU_DEP_1) | instskip(SKIP_2) | instid1(VALU_DEP_2)
	v_cndmask_b32_e32 v11, 0x7c00, v11, vcc_lo
	v_cmp_eq_u32_e32 vcc_lo, 0x40f, v12
	s_wait_alu 0xfffd
	v_cndmask_b32_e32 v9, v11, v9, vcc_lo
	s_delay_alu instid0(VALU_DEP_1)
	v_and_or_b32 v9, 0x8000, v10, v9
	global_store_b16 v[7:8], v9, off
.LBB33_29:                              ;   in Loop: Header=BB33_3 Depth=1
	s_wait_alu 0xfffe
	s_and_not1_b32 vcc_lo, exec_lo, s2
	s_wait_alu 0xfffe
	s_cbranch_vccnz .LBB33_2
; %bb.30:                               ;   in Loop: Header=BB33_3 Depth=1
	v_and_or_b32 v1, 0x1ff, v2, v1
	v_lshrrev_b32_e32 v7, 8, v2
	v_bfe_u32 v8, v2, 20, 11
	s_delay_alu instid0(VALU_DEP_3) | instskip(NEXT) | instid1(VALU_DEP_2)
	v_cmp_ne_u32_e32 vcc_lo, 0, v1
	v_sub_nc_u32_e32 v9, 0x3f1, v8
	s_wait_alu 0xfffd
	v_cndmask_b32_e64 v1, 0, 1, vcc_lo
	s_delay_alu instid0(VALU_DEP_1) | instskip(NEXT) | instid1(VALU_DEP_3)
	v_and_or_b32 v1, 0xffe, v7, v1
	v_med3_i32 v7, v9, 0, 13
	s_delay_alu instid0(VALU_DEP_2) | instskip(NEXT) | instid1(VALU_DEP_1)
	v_or_b32_e32 v9, 0x1000, v1
	v_lshrrev_b32_e32 v10, v7, v9
	s_delay_alu instid0(VALU_DEP_1) | instskip(NEXT) | instid1(VALU_DEP_1)
	v_lshlrev_b32_e32 v7, v7, v10
	v_cmp_ne_u32_e32 vcc_lo, v7, v9
	s_wait_alu 0xfffd
	v_cndmask_b32_e64 v7, 0, 1, vcc_lo
	s_delay_alu instid0(VALU_DEP_1) | instskip(SKIP_1) | instid1(VALU_DEP_1)
	v_or_b32_e32 v7, v10, v7
	v_add_nc_u32_e32 v8, 0xfffffc10, v8
	v_lshl_or_b32 v9, v8, 12, v1
	v_cmp_gt_i32_e32 vcc_lo, 1, v8
	s_wait_alu 0xfffd
	s_delay_alu instid0(VALU_DEP_2) | instskip(NEXT) | instid1(VALU_DEP_1)
	v_cndmask_b32_e32 v7, v9, v7, vcc_lo
	v_and_b32_e32 v9, 7, v7
	v_lshrrev_b32_e32 v7, 2, v7
	s_delay_alu instid0(VALU_DEP_2)
	v_cmp_lt_i32_e32 vcc_lo, 5, v9
	s_wait_alu 0xfffd
	v_cndmask_b32_e64 v10, 0, 1, vcc_lo
	v_cmp_eq_u32_e32 vcc_lo, 3, v9
	s_wait_alu 0xfffd
	v_cndmask_b32_e64 v9, 0, 1, vcc_lo
	v_cmp_ne_u32_e32 vcc_lo, 0, v1
	s_delay_alu instid0(VALU_DEP_2) | instskip(SKIP_3) | instid1(VALU_DEP_3)
	v_or_b32_e32 v9, v9, v10
	s_wait_alu 0xfffd
	v_cndmask_b32_e32 v1, 0x7c00, v6, vcc_lo
	v_cmp_gt_i32_e32 vcc_lo, 31, v8
	v_add_nc_u32_e32 v7, v7, v9
	v_lshrrev_b32_e32 v9, 16, v2
	s_wait_alu 0xfffd
	s_delay_alu instid0(VALU_DEP_2) | instskip(SKIP_2) | instid1(VALU_DEP_2)
	v_cndmask_b32_e32 v7, 0x7c00, v7, vcc_lo
	v_cmp_eq_u32_e32 vcc_lo, 0x40f, v8
	s_wait_alu 0xfffd
	v_cndmask_b32_e32 v7, v7, v1, vcc_lo
	v_lshlrev_b64_e32 v[1:2], 1, v[3:4]
	s_delay_alu instid0(VALU_DEP_2) | instskip(NEXT) | instid1(VALU_DEP_2)
	v_and_or_b32 v3, 0x8000, v9, v7
	v_add_co_u32 v1, vcc_lo, s0, v1
	s_wait_alu 0xfffd
	s_delay_alu instid0(VALU_DEP_3)
	v_add_co_ci_u32_e64 v2, null, s1, v2, vcc_lo
	global_store_b16 v[1:2], v3, off
	s_branch .LBB33_2
.LBB33_31:
	s_endpgm
	.section	.rodata,"a",@progbits
	.p2align	6, 0x0
	.amdhsa_kernel naive_conv_ab_nonpacked_bwd_nchw_half_double_half_0
		.amdhsa_group_segment_fixed_size 0
		.amdhsa_private_segment_fixed_size 0
		.amdhsa_kernarg_size 480
		.amdhsa_user_sgpr_count 2
		.amdhsa_user_sgpr_dispatch_ptr 0
		.amdhsa_user_sgpr_queue_ptr 0
		.amdhsa_user_sgpr_kernarg_segment_ptr 1
		.amdhsa_user_sgpr_dispatch_id 0
		.amdhsa_user_sgpr_private_segment_size 0
		.amdhsa_wavefront_size32 1
		.amdhsa_uses_dynamic_stack 0
		.amdhsa_enable_private_segment 0
		.amdhsa_system_sgpr_workgroup_id_x 1
		.amdhsa_system_sgpr_workgroup_id_y 0
		.amdhsa_system_sgpr_workgroup_id_z 0
		.amdhsa_system_sgpr_workgroup_info 0
		.amdhsa_system_vgpr_workitem_id 0
		.amdhsa_next_free_vgpr 19
		.amdhsa_next_free_sgpr 70
		.amdhsa_reserve_vcc 1
		.amdhsa_float_round_mode_32 0
		.amdhsa_float_round_mode_16_64 0
		.amdhsa_float_denorm_mode_32 3
		.amdhsa_float_denorm_mode_16_64 3
		.amdhsa_fp16_overflow 0
		.amdhsa_workgroup_processor_mode 1
		.amdhsa_memory_ordered 1
		.amdhsa_forward_progress 1
		.amdhsa_inst_pref_size 24
		.amdhsa_round_robin_scheduling 0
		.amdhsa_exception_fp_ieee_invalid_op 0
		.amdhsa_exception_fp_denorm_src 0
		.amdhsa_exception_fp_ieee_div_zero 0
		.amdhsa_exception_fp_ieee_overflow 0
		.amdhsa_exception_fp_ieee_underflow 0
		.amdhsa_exception_fp_ieee_inexact 0
		.amdhsa_exception_int_div_zero 0
	.end_amdhsa_kernel
	.text
.Lfunc_end33:
	.size	naive_conv_ab_nonpacked_bwd_nchw_half_double_half_0, .Lfunc_end33-naive_conv_ab_nonpacked_bwd_nchw_half_double_half_0
                                        ; -- End function
	.set naive_conv_ab_nonpacked_bwd_nchw_half_double_half_0.num_vgpr, 19
	.set naive_conv_ab_nonpacked_bwd_nchw_half_double_half_0.num_agpr, 0
	.set naive_conv_ab_nonpacked_bwd_nchw_half_double_half_0.numbered_sgpr, 70
	.set naive_conv_ab_nonpacked_bwd_nchw_half_double_half_0.num_named_barrier, 0
	.set naive_conv_ab_nonpacked_bwd_nchw_half_double_half_0.private_seg_size, 0
	.set naive_conv_ab_nonpacked_bwd_nchw_half_double_half_0.uses_vcc, 1
	.set naive_conv_ab_nonpacked_bwd_nchw_half_double_half_0.uses_flat_scratch, 0
	.set naive_conv_ab_nonpacked_bwd_nchw_half_double_half_0.has_dyn_sized_stack, 0
	.set naive_conv_ab_nonpacked_bwd_nchw_half_double_half_0.has_recursion, 0
	.set naive_conv_ab_nonpacked_bwd_nchw_half_double_half_0.has_indirect_call, 0
	.section	.AMDGPU.csdata,"",@progbits
; Kernel info:
; codeLenInByte = 2960
; TotalNumSgprs: 72
; NumVgprs: 19
; ScratchSize: 0
; MemoryBound: 0
; FloatMode: 240
; IeeeMode: 1
; LDSByteSize: 0 bytes/workgroup (compile time only)
; SGPRBlocks: 0
; VGPRBlocks: 2
; NumSGPRsForWavesPerEU: 72
; NumVGPRsForWavesPerEU: 19
; Occupancy: 16
; WaveLimiterHint : 0
; COMPUTE_PGM_RSRC2:SCRATCH_EN: 0
; COMPUTE_PGM_RSRC2:USER_SGPR: 2
; COMPUTE_PGM_RSRC2:TRAP_HANDLER: 0
; COMPUTE_PGM_RSRC2:TGID_X_EN: 1
; COMPUTE_PGM_RSRC2:TGID_Y_EN: 0
; COMPUTE_PGM_RSRC2:TGID_Z_EN: 0
; COMPUTE_PGM_RSRC2:TIDIG_COMP_CNT: 0
	.text
	.protected	naive_conv_ab_packed_bwd_nchw_ushort_double_ushort_0 ; -- Begin function naive_conv_ab_packed_bwd_nchw_ushort_double_ushort_0
	.globl	naive_conv_ab_packed_bwd_nchw_ushort_double_ushort_0
	.p2align	8
	.type	naive_conv_ab_packed_bwd_nchw_ushort_double_ushort_0,@function
naive_conv_ab_packed_bwd_nchw_ushort_double_ushort_0: ; @naive_conv_ab_packed_bwd_nchw_ushort_double_ushort_0
; %bb.0:
	s_load_b512 s[4:19], s[0:1], 0xa0
	s_mov_b32 s25, exec_lo
	s_wait_kmcnt 0x0
	s_abs_i32 s3, s8
	s_delay_alu instid0(SALU_CYCLE_1) | instskip(NEXT) | instid1(SALU_CYCLE_3)
	s_cvt_f32_u32 s2, s3
	v_rcp_iflag_f32_e32 v1, s2
	s_delay_alu instid0(TRANS32_DEP_1) | instskip(SKIP_2) | instid1(SALU_CYCLE_2)
	v_readfirstlane_b32 s2, v1
	s_mul_f32 s2, s2, 0x4f7ffffe
	s_wait_alu 0xfffe
	s_cvt_u32_f32 s20, s2
	s_sub_co_i32 s2, 0, s3
	s_wait_alu 0xfffe
	s_delay_alu instid0(SALU_CYCLE_1)
	s_mul_i32 s2, s2, s20
	s_wait_alu 0xfffe
	s_mul_hi_u32 s21, s20, s2
	s_abs_i32 s2, ttmp9
	s_add_co_i32 s20, s20, s21
	s_wait_alu 0xfffe
	s_mul_hi_u32 s20, s2, s20
	s_delay_alu instid0(SALU_CYCLE_1) | instskip(SKIP_2) | instid1(SALU_CYCLE_1)
	s_mul_i32 s21, s20, s3
	s_add_co_i32 s22, s20, 1
	s_sub_co_i32 s21, s2, s21
	s_sub_co_i32 s23, s21, s3
	s_cmp_ge_u32 s21, s3
	s_cselect_b32 s20, s22, s20
	s_cselect_b32 s21, s23, s21
	s_add_co_i32 s22, s20, 1
	s_cmp_ge_u32 s21, s3
	s_mul_i32 s21, s8, s6
	s_cselect_b32 s22, s22, s20
	s_abs_i32 s20, s6
	s_abs_i32 s28, s21
	s_cvt_f32_u32 s3, s20
	s_cvt_f32_u32 s6, s28
	s_wait_alu 0xfffe
	s_delay_alu instid0(SALU_CYCLE_1) | instskip(NEXT) | instid1(SALU_CYCLE_1)
	v_rcp_iflag_f32_e32 v1, s3
	v_rcp_iflag_f32_e32 v2, s6
	s_mul_i32 s6, s5, s4
	s_mov_b32 s3, 0
	s_delay_alu instid0(TRANS32_DEP_2) | instskip(NEXT) | instid1(TRANS32_DEP_1)
	v_readfirstlane_b32 s24, v1
	v_readfirstlane_b32 s23, v2
	s_wait_alu 0xfffe
	v_cmpx_gt_i32_e64 s6, v0
	s_cbranch_execz .LBB34_31
; %bb.1:
	s_mul_f32 s24, s24, 0x4f7ffffe
	s_ashr_i32 s26, ttmp9, 31
	s_ashr_i32 s37, s8, 31
	s_sub_co_i32 s25, 0, s20
	s_cvt_u32_f32 s24, s24
	s_xor_b32 s27, s26, s37
	s_mul_f32 s29, s23, 0x4f7ffffe
	s_xor_b32 s22, s22, s27
	s_mul_i32 s25, s25, s24
	s_sub_co_i32 s27, s22, s27
	s_mul_hi_u32 s23, s24, s25
	s_abs_i32 s22, s27
	s_add_co_i32 s24, s24, s23
	s_mov_b32 s23, s3
	s_cvt_u32_f32 s29, s29
	s_mov_b32 s25, s3
	s_sub_co_i32 s30, 0, s28
	s_mul_u64 s[24:25], s[22:23], s[24:25]
	s_mul_i32 s30, s30, s29
	s_mul_i32 s25, s25, s20
	s_ashr_i32 s23, s27, 31
	s_mul_hi_u32 s24, s29, s30
	s_mul_i32 s27, s27, s8
	s_sub_co_i32 s22, s22, s25
	s_ashr_i32 s21, s21, 31
	s_add_co_i32 s24, s29, s24
	s_sub_co_i32 s38, ttmp9, s27
	s_sub_co_i32 s25, s22, s20
	s_cmp_ge_u32 s22, s20
	s_mov_b32 s36, s8
	s_cselect_b32 s22, s25, s22
	s_mov_b32 s25, s3
	s_sub_co_i32 s27, s22, s20
	s_cmp_ge_u32 s22, s20
	s_mul_u64 s[30:31], s[2:3], s[24:25]
	s_cselect_b32 s20, s27, s22
	s_xor_b32 s33, s26, s21
	s_xor_b32 s20, s20, s23
	s_add_co_i32 s29, s31, 1
	s_sub_co_i32 s30, s20, s23
	s_mul_i32 s20, s31, s28
	s_mov_b32 s44, s4
	s_sub_co_i32 s2, s2, s20
	s_load_b256 s[20:27], s[0:1], 0x0
	s_sub_co_i32 s34, s2, s28
	s_cmp_ge_u32 s2, s28
	s_clause 0x1
	s_load_b64 s[52:53], s[0:1], 0x20
	s_load_b32 s49, s[0:1], 0xec
	s_cselect_b32 s29, s29, s31
	s_cselect_b32 s2, s34, s2
	s_add_co_i32 s31, s29, 1
	s_wait_alu 0xfffe
	s_cmp_ge_u32 s2, s28
	s_mul_i32 s28, s19, s8
	s_cselect_b32 s2, s31, s29
	s_ashr_i32 s31, s30, 31
	s_wait_alu 0xfffe
	s_xor_b32 s2, s2, s33
	s_ashr_i32 s29, s28, 31
	s_wait_alu 0xfffe
	s_sub_co_i32 s40, s2, s33
	s_mul_u64 s[42:43], s[30:31], s[28:29]
	s_ashr_i32 s41, s40, 31
	s_ashr_i32 s39, s38, 31
	s_mul_i32 s34, s19, s7
	s_mul_u64 s[46:47], s[40:41], s[36:37]
	s_add_nc_u64 s[42:43], s[42:43], s[38:39]
	s_ashr_i32 s45, s4, 31
	s_ashr_i32 s29, s5, 31
	s_mov_b32 s28, s5
	s_add_nc_u64 s[42:43], s[42:43], s[46:47]
	s_ashr_i32 s47, s7, 31
	s_mov_b32 s46, s7
	s_ashr_i32 s35, s34, 31
	s_mul_u64 s[44:45], s[28:29], s[44:45]
	s_mul_u64 s[40:41], s[40:41], s[46:47]
	;; [unrolled: 1-line block ×3, first 2 shown]
	s_ashr_i32 s31, s9, 31
	s_mov_b32 s30, s9
	s_ashr_i32 s9, s10, 31
	s_mov_b32 s8, s10
	s_wait_kmcnt 0x0
	v_cmp_neq_f64_e64 s2, s[24:25], 1.0
	v_cmp_neq_f64_e64 s10, s[26:27], 0
	s_mul_u64 s[34:35], s[44:45], s[42:43]
	s_mul_u64 s[42:43], s[8:9], s[30:31]
	s_add_nc_u64 s[44:45], s[40:41], s[46:47]
	s_lshl_b64 s[50:51], s[34:35], 1
	s_mul_u64 s[42:43], s[42:43], s[44:45]
	s_ashr_i32 s35, s17, 31
	s_ashr_i32 s19, s18, 31
	s_lshl_b64 s[42:43], s[42:43], 1
	s_cmp_gt_i32 s7, 0
	s_mul_u64 s[0:1], s[40:41], s[36:37]
	s_cselect_b32 s33, -1, 0
	s_cmp_gt_i32 s17, 0
	s_add_nc_u64 s[0:1], s[0:1], s[38:39]
	s_cselect_b32 s44, -1, 0
	s_cmp_gt_i32 s18, 0
	s_cselect_b32 s45, -1, 0
	s_abs_i32 s46, s5
	s_abs_i32 s47, s11
	s_cvt_f32_u32 s4, s46
	s_abs_i32 s48, s12
	s_and_b32 s49, s49, 0xffff
	s_ashr_i32 s12, s12, 31
	v_rcp_iflag_f32_e32 v1, s4
	s_cvt_f32_u32 s4, s47
	s_wait_alu 0xfffe
	s_delay_alu instid0(SALU_CYCLE_2) | instskip(SKIP_3) | instid1(TRANS32_DEP_2)
	v_rcp_iflag_f32_e32 v2, s4
	s_add_nc_u64 s[4:5], s[20:21], s[50:51]
	s_cvt_f32_u32 s20, s48
	s_ashr_i32 s51, s11, 31
	v_readfirstlane_b32 s34, v1
	s_delay_alu instid0(SALU_CYCLE_1) | instskip(SKIP_3) | instid1(TRANS32_DEP_2)
	v_rcp_iflag_f32_e32 v1, s20
	s_add_nc_u64 s[20:21], s[52:53], s[42:43]
	s_sub_co_i32 s42, 0, s47
	s_mul_f32 s40, s34, 0x4f7ffffe
	v_readfirstlane_b32 s41, v2
	s_mov_b32 s34, s17
	s_or_b32 s17, s2, s10
	s_cvt_u32_f32 s2, s40
	s_sub_co_i32 s40, 0, s46
	s_mul_f32 s10, s41, 0x4f7ffffe
	v_readfirstlane_b32 s41, v1
	s_wait_alu 0xfffe
	s_mul_i32 s40, s40, s2
	s_cvt_u32_f32 s10, s10
	s_mul_hi_u32 s40, s2, s40
	s_delay_alu instid0(SALU_CYCLE_1) | instskip(SKIP_2) | instid1(SALU_CYCLE_1)
	s_add_co_i32 s50, s2, s40
	s_mul_f32 s2, s41, 0x4f7ffffe
	s_mul_i32 s42, s42, s10
	s_mul_hi_u32 s40, s10, s42
	s_wait_alu 0xfffe
	s_cvt_u32_f32 s2, s2
	s_add_co_i32 s52, s10, s40
	s_mul_u64 s[40:41], s[18:19], s[34:35]
	s_sub_co_i32 s10, 0, s48
	s_mul_u64 s[0:1], s[40:41], s[0:1]
	s_wait_alu 0xfffe
	s_mul_i32 s10, s10, s2
	s_lshl_b64 s[0:1], s[0:1], 1
	s_mul_hi_u32 s10, s2, s10
	s_delay_alu instid0(SALU_CYCLE_1)
	s_add_co_i32 s35, s2, s10
	s_add_nc_u64 s[10:11], s[22:23], s[0:1]
	s_mul_u64 s[0:1], s[40:41], s[36:37]
	s_lshl_b64 s[36:37], s[18:19], 1
	s_lshl_b64 s[22:23], s[0:1], 1
	s_mov_b32 s19, 0
	s_branch .LBB34_3
.LBB34_2:                               ;   in Loop: Header=BB34_3 Depth=1
	v_add_nc_u32_e32 v0, s49, v0
	s_delay_alu instid0(VALU_DEP_1) | instskip(SKIP_1) | instid1(SALU_CYCLE_1)
	v_cmp_le_i32_e32 vcc_lo, s6, v0
	s_or_b32 s19, vcc_lo, s19
	s_and_not1_b32 exec_lo, exec_lo, s19
	s_cbranch_execz .LBB34_31
.LBB34_3:                               ; =>This Loop Header: Depth=1
                                        ;     Child Loop BB34_6 Depth 2
                                        ;       Child Loop BB34_9 Depth 3
                                        ;         Child Loop BB34_18 Depth 4
	v_sub_nc_u32_e32 v1, 0, v0
	s_delay_alu instid0(VALU_DEP_1) | instskip(NEXT) | instid1(VALU_DEP_1)
	v_max_i32_e32 v1, v0, v1
	v_mul_hi_u32 v2, v1, s50
	s_delay_alu instid0(VALU_DEP_1) | instskip(NEXT) | instid1(VALU_DEP_1)
	v_mul_lo_u32 v3, v2, s46
	v_sub_nc_u32_e32 v1, v1, v3
	v_add_nc_u32_e32 v3, 1, v2
	s_delay_alu instid0(VALU_DEP_2) | instskip(SKIP_2) | instid1(VALU_DEP_2)
	v_subrev_nc_u32_e32 v4, s46, v1
	v_cmp_le_u32_e32 vcc_lo, s46, v1
	s_wait_alu 0xfffd
	v_dual_cndmask_b32 v2, v2, v3 :: v_dual_cndmask_b32 v1, v1, v4
	v_ashrrev_i32_e32 v3, 31, v0
	s_delay_alu instid0(VALU_DEP_2) | instskip(NEXT) | instid1(VALU_DEP_3)
	v_add_nc_u32_e32 v4, 1, v2
	v_cmp_le_u32_e32 vcc_lo, s46, v1
	s_delay_alu instid0(VALU_DEP_3) | instskip(SKIP_1) | instid1(VALU_DEP_3)
	v_xor_b32_e32 v3, s29, v3
	s_wait_alu 0xfffd
	v_cndmask_b32_e32 v1, v2, v4, vcc_lo
	s_and_not1_b32 vcc_lo, exec_lo, s33
	s_delay_alu instid0(VALU_DEP_1) | instskip(NEXT) | instid1(VALU_DEP_1)
	v_xor_b32_e32 v1, v1, v3
	v_sub_nc_u32_e32 v6, v1, v3
	s_delay_alu instid0(VALU_DEP_1) | instskip(NEXT) | instid1(VALU_DEP_1)
	v_mul_lo_u32 v1, v6, s28
	v_sub_nc_u32_e32 v3, v0, v1
	s_wait_alu 0xfffe
	s_cbranch_vccnz .LBB34_26
; %bb.4:                                ;   in Loop: Header=BB34_3 Depth=1
	s_delay_alu instid0(VALU_DEP_1)
	v_dual_mov_b32 v1, 0 :: v_dual_add_nc_u32 v8, s16, v3
	v_dual_mov_b32 v2, 0 :: v_dual_add_nc_u32 v7, s15, v6
	s_mov_b32 s2, 0
	s_mov_b64 s[0:1], s[10:11]
	s_branch .LBB34_6
.LBB34_5:                               ;   in Loop: Header=BB34_6 Depth=2
	s_add_co_i32 s2, s2, 1
	s_add_nc_u64 s[0:1], s[0:1], s[22:23]
	s_wait_alu 0xfffe
	s_cmp_eq_u32 s2, s7
	s_cbranch_scc1 .LBB34_27
.LBB34_6:                               ;   Parent Loop BB34_3 Depth=1
                                        ; =>  This Loop Header: Depth=2
                                        ;       Child Loop BB34_9 Depth 3
                                        ;         Child Loop BB34_18 Depth 4
	s_and_not1_b32 vcc_lo, exec_lo, s44
	s_wait_alu 0xfffe
	s_cbranch_vccnz .LBB34_5
; %bb.7:                                ;   in Loop: Header=BB34_6 Depth=2
	s_mul_u64 s[38:39], s[2:3], s[30:31]
	s_mov_b32 s53, 0
	s_mov_b64 s[40:41], s[0:1]
	s_branch .LBB34_9
.LBB34_8:                               ;   in Loop: Header=BB34_9 Depth=3
	s_add_co_i32 s53, s53, 1
	s_add_nc_u64 s[40:41], s[40:41], s[36:37]
	s_wait_alu 0xfffe
	s_cmp_eq_u32 s53, s34
	s_cbranch_scc1 .LBB34_5
.LBB34_9:                               ;   Parent Loop BB34_3 Depth=1
                                        ;     Parent Loop BB34_6 Depth=2
                                        ; =>    This Loop Header: Depth=3
                                        ;         Child Loop BB34_18 Depth 4
	s_wait_alu 0xfffe
	s_mul_i32 s42, s13, s53
	s_mov_b32 s43, exec_lo
	s_wait_alu 0xfffe
	v_subrev_nc_u32_e32 v11, s42, v7
	s_mov_b32 s42, 0
                                        ; implicit-def: $vgpr9
                                        ; implicit-def: $vgpr4
                                        ; implicit-def: $vgpr5
                                        ; implicit-def: $vgpr10
	s_delay_alu instid0(VALU_DEP_1)
	v_cmpx_lt_i32_e32 -1, v11
	s_xor_b32 s43, exec_lo, s43
	s_cbranch_execnz .LBB34_13
; %bb.10:                               ;   in Loop: Header=BB34_9 Depth=3
	s_wait_alu 0xfffe
	s_and_not1_saveexec_b32 s43, s43
	s_cbranch_execnz .LBB34_14
.LBB34_11:                              ;   in Loop: Header=BB34_9 Depth=3
	s_wait_alu 0xfffe
	s_or_b32 exec_lo, exec_lo, s43
	v_mov_b32_e32 v11, 1
	s_and_saveexec_b32 s43, s42
	s_cbranch_execnz .LBB34_15
.LBB34_12:                              ;   in Loop: Header=BB34_9 Depth=3
	s_wait_alu 0xfffe
	s_or_b32 exec_lo, exec_lo, s43
	s_delay_alu instid0(SALU_CYCLE_1)
	s_and_not1_b32 vcc_lo, exec_lo, s45
	s_wait_alu 0xfffe
	s_cbranch_vccz .LBB34_16
	s_branch .LBB34_8
.LBB34_13:                              ;   in Loop: Header=BB34_9 Depth=3
	v_sub_nc_u32_e32 v4, 0, v11
	s_delay_alu instid0(VALU_DEP_1) | instskip(NEXT) | instid1(VALU_DEP_1)
	v_max_i32_e32 v5, v11, v4
	v_mul_hi_u32 v4, v5, s52
	s_delay_alu instid0(VALU_DEP_1) | instskip(NEXT) | instid1(VALU_DEP_1)
	v_mul_lo_u32 v9, v4, s47
	v_sub_nc_u32_e32 v5, v5, v9
	v_ashrrev_i32_e32 v9, 31, v11
	s_delay_alu instid0(VALU_DEP_2) | instskip(SKIP_2) | instid1(VALU_DEP_2)
	v_subrev_nc_u32_e32 v10, s47, v5
	v_cmp_le_u32_e32 vcc_lo, s47, v5
	s_wait_alu 0xfffd
	v_cndmask_b32_e32 v12, v5, v10, vcc_lo
	s_delay_alu instid0(VALU_DEP_1) | instskip(SKIP_2) | instid1(VALU_DEP_2)
	v_subrev_nc_u32_e32 v13, s47, v12
	v_cmp_le_u32_e32 vcc_lo, s47, v12
	s_wait_alu 0xfffd
	v_cndmask_b32_e32 v11, v12, v13, vcc_lo
	s_delay_alu instid0(VALU_DEP_1) | instskip(NEXT) | instid1(VALU_DEP_1)
	v_xor_b32_e32 v11, v11, v9
	v_sub_nc_u32_e32 v11, v11, v9
	s_delay_alu instid0(VALU_DEP_1)
	v_cmp_ne_u32_e32 vcc_lo, 0, v11
                                        ; implicit-def: $vgpr11
	s_and_b32 s42, vcc_lo, exec_lo
	s_wait_alu 0xfffe
	s_and_not1_saveexec_b32 s43, s43
	s_cbranch_execz .LBB34_11
.LBB34_14:                              ;   in Loop: Header=BB34_9 Depth=3
	v_sub_nc_u32_e32 v4, 0, v11
	s_or_b32 s42, s42, exec_lo
	s_delay_alu instid0(VALU_DEP_1) | instskip(NEXT) | instid1(VALU_DEP_1)
	v_max_i32_e32 v5, v11, v4
	v_mul_hi_u32 v4, v5, s52
	s_delay_alu instid0(VALU_DEP_1) | instskip(NEXT) | instid1(VALU_DEP_1)
	v_mul_lo_u32 v9, v4, s47
	v_sub_nc_u32_e32 v5, v5, v9
	v_ashrrev_i32_e32 v9, 31, v11
	s_delay_alu instid0(VALU_DEP_2)
	v_subrev_nc_u32_e32 v10, s47, v5
	s_wait_alu 0xfffe
	s_or_b32 exec_lo, exec_lo, s43
	v_mov_b32_e32 v11, 1
	s_and_saveexec_b32 s43, s42
	s_cbranch_execz .LBB34_12
.LBB34_15:                              ;   in Loop: Header=BB34_9 Depth=3
	v_mov_b32_e32 v11, 0
	s_wait_alu 0xfffe
	s_or_b32 exec_lo, exec_lo, s43
	s_delay_alu instid0(SALU_CYCLE_1)
	s_and_not1_b32 vcc_lo, exec_lo, s45
	s_wait_alu 0xfffe
	s_cbranch_vccnz .LBB34_8
.LBB34_16:                              ;   in Loop: Header=BB34_9 Depth=3
	v_cmp_le_u32_e32 vcc_lo, s47, v5
	v_add_nc_u32_e32 v12, 1, v4
	v_xor_b32_e32 v9, s51, v9
	s_mov_b64 s[42:43], s[40:41]
	s_mov_b32 s54, s18
	s_wait_alu 0xfffd
	v_dual_cndmask_b32 v5, v5, v10 :: v_dual_cndmask_b32 v4, v4, v12
	s_delay_alu instid0(VALU_DEP_1) | instskip(NEXT) | instid1(VALU_DEP_2)
	v_cmp_le_u32_e32 vcc_lo, s47, v5
	v_add_nc_u32_e32 v10, 1, v4
	s_wait_alu 0xfffd
	s_delay_alu instid0(VALU_DEP_1) | instskip(NEXT) | instid1(VALU_DEP_1)
	v_cndmask_b32_e32 v4, v4, v10, vcc_lo
	v_xor_b32_e32 v4, v4, v9
	s_delay_alu instid0(VALU_DEP_1) | instskip(NEXT) | instid1(VALU_DEP_1)
	v_sub_nc_u32_e32 v9, v4, v9
	v_ashrrev_i32_e32 v4, 31, v9
	v_add_co_u32 v5, vcc_lo, s38, v9
	s_wait_alu 0xfffd
	s_delay_alu instid0(VALU_DEP_2) | instskip(NEXT) | instid1(VALU_DEP_2)
	v_add_co_ci_u32_e64 v10, null, s39, v4, vcc_lo
	v_mul_lo_u32 v12, v5, s9
	v_mad_co_u64_u32 v[4:5], null, v5, s8, 0
	s_delay_alu instid0(VALU_DEP_3) | instskip(SKIP_3) | instid1(VALU_DEP_3)
	v_mul_lo_u32 v10, v10, s8
	v_cmp_gt_i32_e32 vcc_lo, s30, v9
	s_wait_alu 0xfffd
	v_cndmask_b32_e32 v9, 0, v11, vcc_lo
	v_add3_u32 v5, v5, v12, v10
	v_mov_b32_e32 v12, v8
	s_delay_alu instid0(VALU_DEP_2) | instskip(NEXT) | instid1(VALU_DEP_1)
	v_lshlrev_b64_e32 v[4:5], 1, v[4:5]
	v_add_co_u32 v10, vcc_lo, s20, v4
	s_wait_alu 0xfffd
	s_delay_alu instid0(VALU_DEP_2)
	v_add_co_ci_u32_e64 v11, null, s21, v5, vcc_lo
	s_branch .LBB34_18
.LBB34_17:                              ;   in Loop: Header=BB34_18 Depth=4
	s_or_b32 exec_lo, exec_lo, s55
	v_subrev_nc_u32_e32 v12, s14, v12
	s_add_co_i32 s54, s54, -1
	s_wait_alu 0xfffe
	s_add_nc_u64 s[42:43], s[42:43], 2
	s_cmp_eq_u32 s54, 0
	s_cbranch_scc1 .LBB34_8
.LBB34_18:                              ;   Parent Loop BB34_3 Depth=1
                                        ;     Parent Loop BB34_6 Depth=2
                                        ;       Parent Loop BB34_9 Depth=3
                                        ; =>      This Inner Loop Header: Depth=4
	v_sub_nc_u32_e32 v15, 0, v12
	s_mov_b32 s55, 0
	s_mov_b32 s56, exec_lo
                                        ; implicit-def: $vgpr13
                                        ; implicit-def: $vgpr4
                                        ; implicit-def: $vgpr5
                                        ; implicit-def: $vgpr14
	v_cmpx_lt_i32_e32 -1, v12
	s_wait_alu 0xfffe
	s_xor_b32 s56, exec_lo, s56
	s_cbranch_execnz .LBB34_24
; %bb.19:                               ;   in Loop: Header=BB34_18 Depth=4
	s_wait_alu 0xfffe
	s_and_not1_saveexec_b32 s56, s56
	s_cbranch_execnz .LBB34_25
.LBB34_20:                              ;   in Loop: Header=BB34_18 Depth=4
	s_wait_alu 0xfffe
	s_or_b32 exec_lo, exec_lo, s56
	v_mov_b32_e32 v15, 1
	s_and_saveexec_b32 s56, s55
.LBB34_21:                              ;   in Loop: Header=BB34_18 Depth=4
	v_mov_b32_e32 v15, 0
.LBB34_22:                              ;   in Loop: Header=BB34_18 Depth=4
	s_wait_alu 0xfffe
	s_or_b32 exec_lo, exec_lo, s56
	v_cmp_le_u32_e32 vcc_lo, s48, v5
	v_add_nc_u32_e32 v16, 1, v4
	v_xor_b32_e32 v13, s12, v13
	s_mov_b32 s55, exec_lo
	s_wait_alu 0xfffd
	s_delay_alu instid0(VALU_DEP_2) | instskip(NEXT) | instid1(VALU_DEP_1)
	v_dual_cndmask_b32 v5, v5, v14 :: v_dual_cndmask_b32 v4, v4, v16
	v_cmp_le_u32_e32 vcc_lo, s48, v5
	s_delay_alu instid0(VALU_DEP_2) | instskip(SKIP_1) | instid1(VALU_DEP_1)
	v_add_nc_u32_e32 v14, 1, v4
	s_wait_alu 0xfffd
	v_cndmask_b32_e32 v4, v4, v14, vcc_lo
	s_delay_alu instid0(VALU_DEP_1) | instskip(NEXT) | instid1(VALU_DEP_1)
	v_xor_b32_e32 v4, v4, v13
	v_sub_nc_u32_e32 v4, v4, v13
	s_delay_alu instid0(VALU_DEP_1) | instskip(SKIP_2) | instid1(VALU_DEP_1)
	v_cmp_gt_i32_e32 vcc_lo, s8, v4
	s_wait_alu 0xfffd
	v_cndmask_b32_e32 v5, 0, v15, vcc_lo
	v_and_b32_e32 v5, v5, v9
	s_delay_alu instid0(VALU_DEP_1) | instskip(NEXT) | instid1(VALU_DEP_1)
	v_and_b32_e32 v5, 1, v5
	v_cmpx_eq_u32_e32 1, v5
	s_cbranch_execz .LBB34_17
; %bb.23:                               ;   in Loop: Header=BB34_18 Depth=4
	v_ashrrev_i32_e32 v5, 31, v4
	s_load_u16 s56, s[42:43], 0x0
	s_delay_alu instid0(VALU_DEP_1) | instskip(NEXT) | instid1(VALU_DEP_1)
	v_lshlrev_b64_e32 v[4:5], 1, v[4:5]
	v_add_co_u32 v4, vcc_lo, v10, v4
	s_wait_alu 0xfffd
	s_delay_alu instid0(VALU_DEP_2)
	v_add_co_ci_u32_e64 v5, null, v11, v5, vcc_lo
	global_load_u16 v4, v[4:5], off
	s_wait_kmcnt 0x0
	s_lshl_b32 s56, s56, 16
	s_wait_loadcnt 0x0
	v_lshlrev_b32_e32 v13, 16, v4
	s_wait_alu 0xfffe
	v_cvt_f64_f32_e32 v[4:5], s56
	s_delay_alu instid0(VALU_DEP_2) | instskip(NEXT) | instid1(VALU_DEP_1)
	v_cvt_f64_f32_e32 v[13:14], v13
	v_fma_f64 v[1:2], v[13:14], v[4:5], v[1:2]
	s_branch .LBB34_17
.LBB34_24:                              ;   in Loop: Header=BB34_18 Depth=4
	v_max_i32_e32 v5, v12, v15
	s_delay_alu instid0(VALU_DEP_1) | instskip(NEXT) | instid1(VALU_DEP_1)
	v_mul_hi_u32 v4, v5, s35
	v_mul_lo_u32 v13, v4, s48
	s_delay_alu instid0(VALU_DEP_1) | instskip(SKIP_1) | instid1(VALU_DEP_2)
	v_sub_nc_u32_e32 v5, v5, v13
	v_ashrrev_i32_e32 v13, 31, v12
	v_subrev_nc_u32_e32 v14, s48, v5
	v_cmp_le_u32_e32 vcc_lo, s48, v5
	s_wait_alu 0xfffd
	s_delay_alu instid0(VALU_DEP_2) | instskip(NEXT) | instid1(VALU_DEP_1)
	v_cndmask_b32_e32 v15, v5, v14, vcc_lo
	v_subrev_nc_u32_e32 v16, s48, v15
	v_cmp_le_u32_e32 vcc_lo, s48, v15
	s_wait_alu 0xfffd
	s_delay_alu instid0(VALU_DEP_2) | instskip(NEXT) | instid1(VALU_DEP_1)
	v_cndmask_b32_e32 v15, v15, v16, vcc_lo
	v_xor_b32_e32 v15, v15, v13
	s_delay_alu instid0(VALU_DEP_1) | instskip(NEXT) | instid1(VALU_DEP_1)
	v_sub_nc_u32_e32 v15, v15, v13
	v_cmp_ne_u32_e32 vcc_lo, 0, v15
                                        ; implicit-def: $vgpr15
	s_and_b32 s55, vcc_lo, exec_lo
	s_wait_alu 0xfffe
	s_and_not1_saveexec_b32 s56, s56
	s_cbranch_execz .LBB34_20
.LBB34_25:                              ;   in Loop: Header=BB34_18 Depth=4
	v_max_i32_e32 v5, v12, v15
	s_or_b32 s55, s55, exec_lo
	s_delay_alu instid0(VALU_DEP_1) | instskip(NEXT) | instid1(VALU_DEP_1)
	v_mul_hi_u32 v4, v5, s35
	v_mul_lo_u32 v13, v4, s48
	s_delay_alu instid0(VALU_DEP_1) | instskip(SKIP_1) | instid1(VALU_DEP_2)
	v_sub_nc_u32_e32 v5, v5, v13
	v_ashrrev_i32_e32 v13, 31, v12
	v_subrev_nc_u32_e32 v14, s48, v5
	s_wait_alu 0xfffe
	s_or_b32 exec_lo, exec_lo, s56
	v_mov_b32_e32 v15, 1
	s_and_saveexec_b32 s56, s55
	s_cbranch_execnz .LBB34_21
	s_branch .LBB34_22
.LBB34_26:                              ;   in Loop: Header=BB34_3 Depth=1
	v_mov_b32_e32 v1, 0
	v_mov_b32_e32 v2, 0
.LBB34_27:                              ;   in Loop: Header=BB34_3 Depth=1
	v_ashrrev_i32_e32 v4, 31, v3
	s_and_b32 vcc_lo, exec_lo, s17
	s_mov_b32 s0, -1
	s_delay_alu instid0(VALU_DEP_1)
	v_mad_co_i64_i32 v[3:4], null, v6, s28, v[3:4]
	s_wait_alu 0xfffe
	s_cbranch_vccz .LBB34_29
; %bb.28:                               ;   in Loop: Header=BB34_3 Depth=1
	s_delay_alu instid0(VALU_DEP_1) | instskip(NEXT) | instid1(VALU_DEP_1)
	v_lshlrev_b64_e32 v[5:6], 1, v[3:4]
	v_add_co_u32 v5, vcc_lo, s4, v5
	s_wait_alu 0xfffd
	s_delay_alu instid0(VALU_DEP_2) | instskip(SKIP_3) | instid1(VALU_DEP_1)
	v_add_co_ci_u32_e64 v6, null, s5, v6, vcc_lo
	global_load_u16 v7, v[5:6], off
	s_wait_loadcnt 0x0
	v_lshlrev_b32_e32 v7, 16, v7
	v_cvt_f64_f32_e32 v[7:8], v7
	s_delay_alu instid0(VALU_DEP_1) | instskip(NEXT) | instid1(VALU_DEP_1)
	v_mul_f64_e32 v[7:8], s[26:27], v[7:8]
	v_fma_f64 v[7:8], s[24:25], v[1:2], v[7:8]
	s_delay_alu instid0(VALU_DEP_1) | instskip(NEXT) | instid1(VALU_DEP_1)
	v_cvt_f32_f64_e32 v7, v[7:8]
	v_and_b32_e32 v8, 0x7f800000, v7
	v_and_b32_e32 v9, 0xffff, v7
	v_lshrrev_b32_e32 v7, 16, v7
	s_delay_alu instid0(VALU_DEP_3) | instskip(NEXT) | instid1(VALU_DEP_3)
	v_cmp_eq_u32_e32 vcc_lo, 0x7f800000, v8
	v_cmp_ne_u32_e64 s0, 0, v9
	s_and_b32 s0, vcc_lo, s0
	s_wait_alu 0xfffe
	v_cndmask_b32_e64 v8, 0, 1, s0
	s_mov_b32 s0, 0
	s_delay_alu instid0(VALU_DEP_1)
	v_or_b32_e32 v7, v7, v8
	global_store_b16 v[5:6], v7, off
.LBB34_29:                              ;   in Loop: Header=BB34_3 Depth=1
	s_wait_alu 0xfffe
	s_and_not1_b32 vcc_lo, exec_lo, s0
	s_wait_alu 0xfffe
	s_cbranch_vccnz .LBB34_2
; %bb.30:                               ;   in Loop: Header=BB34_3 Depth=1
	s_delay_alu instid0(VALU_DEP_3) | instskip(NEXT) | instid1(VALU_DEP_1)
	v_cvt_f32_f64_e32 v1, v[1:2]
	v_and_b32_e32 v2, 0x7f800000, v1
	v_and_b32_e32 v5, 0xffff, v1
	s_delay_alu instid0(VALU_DEP_2) | instskip(NEXT) | instid1(VALU_DEP_2)
	v_cmp_eq_u32_e32 vcc_lo, 0x7f800000, v2
	v_cmp_ne_u32_e64 s0, 0, v5
	v_lshrrev_b32_e32 v5, 16, v1
	v_lshlrev_b64_e32 v[1:2], 1, v[3:4]
	s_and_b32 s0, vcc_lo, s0
	s_wait_alu 0xfffe
	v_cndmask_b32_e64 v6, 0, 1, s0
	s_delay_alu instid0(VALU_DEP_2) | instskip(SKIP_2) | instid1(VALU_DEP_3)
	v_add_co_u32 v1, vcc_lo, s4, v1
	s_wait_alu 0xfffd
	v_add_co_ci_u32_e64 v2, null, s5, v2, vcc_lo
	v_or_b32_e32 v3, v5, v6
	global_store_b16 v[1:2], v3, off
	s_branch .LBB34_2
.LBB34_31:
	s_endpgm
	.section	.rodata,"a",@progbits
	.p2align	6, 0x0
	.amdhsa_kernel naive_conv_ab_packed_bwd_nchw_ushort_double_ushort_0
		.amdhsa_group_segment_fixed_size 0
		.amdhsa_private_segment_fixed_size 0
		.amdhsa_kernarg_size 480
		.amdhsa_user_sgpr_count 2
		.amdhsa_user_sgpr_dispatch_ptr 0
		.amdhsa_user_sgpr_queue_ptr 0
		.amdhsa_user_sgpr_kernarg_segment_ptr 1
		.amdhsa_user_sgpr_dispatch_id 0
		.amdhsa_user_sgpr_private_segment_size 0
		.amdhsa_wavefront_size32 1
		.amdhsa_uses_dynamic_stack 0
		.amdhsa_enable_private_segment 0
		.amdhsa_system_sgpr_workgroup_id_x 1
		.amdhsa_system_sgpr_workgroup_id_y 0
		.amdhsa_system_sgpr_workgroup_id_z 0
		.amdhsa_system_sgpr_workgroup_info 0
		.amdhsa_system_vgpr_workitem_id 0
		.amdhsa_next_free_vgpr 17
		.amdhsa_next_free_sgpr 57
		.amdhsa_reserve_vcc 1
		.amdhsa_float_round_mode_32 0
		.amdhsa_float_round_mode_16_64 0
		.amdhsa_float_denorm_mode_32 3
		.amdhsa_float_denorm_mode_16_64 3
		.amdhsa_fp16_overflow 0
		.amdhsa_workgroup_processor_mode 1
		.amdhsa_memory_ordered 1
		.amdhsa_forward_progress 1
		.amdhsa_inst_pref_size 20
		.amdhsa_round_robin_scheduling 0
		.amdhsa_exception_fp_ieee_invalid_op 0
		.amdhsa_exception_fp_denorm_src 0
		.amdhsa_exception_fp_ieee_div_zero 0
		.amdhsa_exception_fp_ieee_overflow 0
		.amdhsa_exception_fp_ieee_underflow 0
		.amdhsa_exception_fp_ieee_inexact 0
		.amdhsa_exception_int_div_zero 0
	.end_amdhsa_kernel
	.text
.Lfunc_end34:
	.size	naive_conv_ab_packed_bwd_nchw_ushort_double_ushort_0, .Lfunc_end34-naive_conv_ab_packed_bwd_nchw_ushort_double_ushort_0
                                        ; -- End function
	.set naive_conv_ab_packed_bwd_nchw_ushort_double_ushort_0.num_vgpr, 17
	.set naive_conv_ab_packed_bwd_nchw_ushort_double_ushort_0.num_agpr, 0
	.set naive_conv_ab_packed_bwd_nchw_ushort_double_ushort_0.numbered_sgpr, 57
	.set naive_conv_ab_packed_bwd_nchw_ushort_double_ushort_0.num_named_barrier, 0
	.set naive_conv_ab_packed_bwd_nchw_ushort_double_ushort_0.private_seg_size, 0
	.set naive_conv_ab_packed_bwd_nchw_ushort_double_ushort_0.uses_vcc, 1
	.set naive_conv_ab_packed_bwd_nchw_ushort_double_ushort_0.uses_flat_scratch, 0
	.set naive_conv_ab_packed_bwd_nchw_ushort_double_ushort_0.has_dyn_sized_stack, 0
	.set naive_conv_ab_packed_bwd_nchw_ushort_double_ushort_0.has_recursion, 0
	.set naive_conv_ab_packed_bwd_nchw_ushort_double_ushort_0.has_indirect_call, 0
	.section	.AMDGPU.csdata,"",@progbits
; Kernel info:
; codeLenInByte = 2440
; TotalNumSgprs: 59
; NumVgprs: 17
; ScratchSize: 0
; MemoryBound: 0
; FloatMode: 240
; IeeeMode: 1
; LDSByteSize: 0 bytes/workgroup (compile time only)
; SGPRBlocks: 0
; VGPRBlocks: 2
; NumSGPRsForWavesPerEU: 59
; NumVGPRsForWavesPerEU: 17
; Occupancy: 16
; WaveLimiterHint : 0
; COMPUTE_PGM_RSRC2:SCRATCH_EN: 0
; COMPUTE_PGM_RSRC2:USER_SGPR: 2
; COMPUTE_PGM_RSRC2:TRAP_HANDLER: 0
; COMPUTE_PGM_RSRC2:TGID_X_EN: 1
; COMPUTE_PGM_RSRC2:TGID_Y_EN: 0
; COMPUTE_PGM_RSRC2:TGID_Z_EN: 0
; COMPUTE_PGM_RSRC2:TIDIG_COMP_CNT: 0
	.text
	.protected	naive_conv_ab_nonpacked_bwd_nchw_ushort_double_ushort_0 ; -- Begin function naive_conv_ab_nonpacked_bwd_nchw_ushort_double_ushort_0
	.globl	naive_conv_ab_nonpacked_bwd_nchw_ushort_double_ushort_0
	.p2align	8
	.type	naive_conv_ab_nonpacked_bwd_nchw_ushort_double_ushort_0,@function
naive_conv_ab_nonpacked_bwd_nchw_ushort_double_ushort_0: ; @naive_conv_ab_nonpacked_bwd_nchw_ushort_double_ushort_0
; %bb.0:
	s_load_b256 s[20:27], s[0:1], 0xa0
	s_mov_b32 s9, exec_lo
	s_wait_kmcnt 0x0
	s_abs_i32 s3, s24
	s_mul_i32 s20, s21, s20
	s_cvt_f32_u32 s2, s3
	s_delay_alu instid0(SALU_CYCLE_3) | instskip(NEXT) | instid1(TRANS32_DEP_1)
	v_rcp_iflag_f32_e32 v1, s2
	v_readfirstlane_b32 s2, v1
	s_mul_f32 s2, s2, 0x4f7ffffe
	s_wait_alu 0xfffe
	s_delay_alu instid0(SALU_CYCLE_2) | instskip(SKIP_2) | instid1(SALU_CYCLE_1)
	s_cvt_u32_f32 s4, s2
	s_sub_co_i32 s2, 0, s3
	s_wait_alu 0xfffe
	s_mul_i32 s2, s2, s4
	s_wait_alu 0xfffe
	s_mul_hi_u32 s5, s4, s2
	s_abs_i32 s2, ttmp9
	s_add_co_i32 s4, s4, s5
	s_wait_alu 0xfffe
	s_mul_hi_u32 s4, s2, s4
	s_delay_alu instid0(SALU_CYCLE_1) | instskip(SKIP_2) | instid1(SALU_CYCLE_1)
	s_mul_i32 s5, s4, s3
	s_add_co_i32 s6, s4, 1
	s_sub_co_i32 s5, s2, s5
	s_sub_co_i32 s7, s5, s3
	s_cmp_ge_u32 s5, s3
	s_cselect_b32 s4, s6, s4
	s_cselect_b32 s5, s7, s5
	s_add_co_i32 s6, s4, 1
	s_cmp_ge_u32 s5, s3
	s_mul_i32 s5, s24, s22
	s_cselect_b32 s6, s6, s4
	s_abs_i32 s4, s22
	s_abs_i32 s22, s5
	s_cvt_f32_u32 s3, s4
	s_cvt_f32_u32 s7, s22
	s_wait_alu 0xfffe
	s_delay_alu instid0(SALU_CYCLE_1) | instskip(NEXT) | instid1(SALU_CYCLE_1)
	v_rcp_iflag_f32_e32 v1, s3
	v_rcp_iflag_f32_e32 v2, s7
	s_mov_b32 s3, 0
	s_delay_alu instid0(TRANS32_DEP_2) | instskip(NEXT) | instid1(TRANS32_DEP_1)
	v_readfirstlane_b32 s8, v1
	v_readfirstlane_b32 s7, v2
	v_cmpx_gt_i32_e64 s20, v0
	s_cbranch_execz .LBB35_31
; %bb.1:
	s_mul_f32 s8, s8, 0x4f7ffffe
	s_ashr_i32 s28, ttmp9, 31
	s_ashr_i32 s9, s24, 31
	s_sub_co_i32 s10, 0, s4
	s_cvt_u32_f32 s8, s8
	s_xor_b32 s9, s28, s9
	s_mul_f32 s11, s7, 0x4f7ffffe
	s_xor_b32 s6, s6, s9
	s_mul_i32 s10, s10, s8
	s_wait_alu 0xfffe
	s_sub_co_i32 s12, s6, s9
	s_mul_hi_u32 s7, s8, s10
	s_abs_i32 s6, s12
	s_wait_alu 0xfffe
	s_add_co_i32 s8, s8, s7
	s_mov_b32 s7, s3
	s_cvt_u32_f32 s10, s11
	s_mov_b32 s9, s3
	s_sub_co_i32 s11, 0, s22
	s_wait_alu 0xfffe
	s_mul_u64 s[8:9], s[6:7], s[8:9]
	s_mul_i32 s11, s11, s10
	s_ashr_i32 s30, s5, 31
	s_mul_i32 s5, s9, s4
	s_ashr_i32 s29, s12, 31
	s_mul_hi_u32 s7, s10, s11
	s_mul_i32 s12, s12, s24
	s_sub_co_i32 s5, s6, s5
	s_wait_alu 0xfffe
	s_add_co_i32 s8, s10, s7
	s_sub_co_i32 s34, ttmp9, s12
	s_sub_co_i32 s6, s5, s4
	s_cmp_ge_u32 s5, s4
	s_mov_b32 s9, s3
	s_wait_alu 0xfffe
	s_cselect_b32 s5, s6, s5
	s_mul_u64 s[44:45], s[2:3], s[8:9]
	s_sub_co_i32 s6, s5, s4
	s_cmp_ge_u32 s5, s4
	s_load_b256 s[36:43], s[0:1], 0x0
	s_cselect_b32 s4, s6, s5
	s_xor_b32 s33, s28, s30
	s_xor_b32 s24, s4, s29
	s_load_b512 s[4:19], s[0:1], 0x28
	s_sub_co_i32 s52, s24, s29
	s_mul_i32 s24, s45, s22
	s_clause 0x1
	s_load_b64 s[54:55], s[0:1], 0x98
	s_load_b128 s[28:31], s[0:1], 0x88
	s_sub_co_i32 s2, s2, s24
	s_add_co_i32 s24, s45, 1
	s_wait_alu 0xfffe
	s_sub_co_i32 s35, s2, s22
	s_cmp_ge_u32 s2, s22
	s_load_b64 s[66:67], s[0:1], 0x20
	s_cselect_b32 s24, s24, s45
	s_load_b256 s[44:51], s[0:1], 0xc0
	s_cselect_b32 s2, s35, s2
	s_add_co_i32 s35, s24, 1
	s_wait_alu 0xfffe
	s_cmp_ge_u32 s2, s22
	s_load_b32 s69, s[0:1], 0xec
	s_cselect_b32 s2, s35, s24
	s_ashr_i32 s53, s52, 31
	s_wait_alu 0xfffe
	s_xor_b32 s2, s2, s33
	s_ashr_i32 s35, s34, 31
	s_wait_alu 0xfffe
	s_sub_co_i32 s60, s2, s33
	s_wait_kmcnt 0x0
	v_cmp_neq_f64_e64 s2, s[40:41], 1.0
	s_ashr_i32 s61, s60, 31
	v_cmp_neq_f64_e64 s68, s[42:43], 0
	s_mul_u64 s[12:13], s[12:13], s[52:53]
	s_mul_u64 s[10:11], s[10:11], s[60:61]
	;; [unrolled: 1-line block ×5, first 2 shown]
	s_lshl_b64 s[12:13], s[12:13], 1
	s_lshl_b64 s[10:11], s[10:11], 1
	;; [unrolled: 1-line block ×5, first 2 shown]
	s_cmp_gt_i32 s23, 0
	s_add_nc_u64 s[12:13], s[36:37], s[12:13]
	s_cselect_b32 s22, -1, 0
	s_cmp_gt_i32 s49, 0
	s_cselect_b32 s24, -1, 0
	s_cmp_gt_i32 s50, 0
	s_cselect_b32 s33, -1, 0
	s_abs_i32 s51, s21
	s_abs_i32 s62, s27
	s_cvt_f32_u32 s52, s51
	s_cvt_f32_u32 s63, s62
	s_ashr_i32 s27, s27, 31
	s_lshl_b64 s[16:17], s[16:17], 1
	v_rcp_iflag_f32_e32 v1, s52
	v_rcp_iflag_f32_e32 v2, s63
	s_abs_i32 s63, s44
	s_load_b256 s[52:59], s[0:1], 0x68
	s_add_nc_u64 s[0:1], s[12:13], s[10:11]
	s_cvt_f32_u32 s13, s63
	s_add_nc_u64 s[8:9], s[0:1], s[8:9]
	s_add_nc_u64 s[10:11], s[66:67], s[64:65]
	s_and_b32 s65, s69, 0xffff
	s_add_nc_u64 s[10:11], s[10:11], s[30:31]
	v_readfirstlane_b32 s12, v1
	v_rcp_iflag_f32_e32 v1, s13
	v_readfirstlane_b32 s1, v2
	s_or_b32 s64, s2, s68
	s_sub_co_i32 s2, 0, s51
	s_mul_f32 s0, s12, 0x4f7ffffe
	s_ashr_i32 s66, s21, 31
	s_mul_f32 s1, s1, 0x4f7ffffe
	s_ashr_i32 s44, s44, 31
	s_cvt_u32_f32 s0, s0
	s_lshl_b64 s[14:15], s[14:15], 1
	v_readfirstlane_b32 s12, v1
	s_cvt_u32_f32 s1, s1
	s_wait_alu 0xfffe
	s_mul_i32 s2, s2, s0
	s_wait_alu 0xfffe
	s_mul_hi_u32 s2, s0, s2
	s_wait_alu 0xfffe
	s_add_co_i32 s67, s0, s2
	s_sub_co_i32 s0, 0, s62
	s_mul_f32 s2, s12, 0x4f7ffffe
	s_mul_i32 s0, s0, s1
	s_wait_kmcnt 0x0
	s_mul_u64 s[12:13], s[54:55], s[60:61]
	s_mul_hi_u32 s0, s1, s0
	s_wait_alu 0xfffe
	s_cvt_u32_f32 s2, s2
	s_add_co_i32 s68, s1, s0
	s_sub_co_i32 s0, 0, s63
	s_lshl_b64 s[12:13], s[12:13], 1
	s_wait_alu 0xfffe
	s_mul_i32 s30, s0, s2
	s_mul_u64 s[0:1], s[18:19], s[34:35]
	s_mul_hi_u32 s18, s2, s30
	s_lshl_b64 s[0:1], s[0:1], 1
	s_add_co_i32 s54, s2, s18
	s_add_nc_u64 s[0:1], s[0:1], s[12:13]
	s_lshl_b64 s[18:19], s[52:53], 1
	s_add_nc_u64 s[12:13], s[38:39], s[0:1]
	s_mov_b32 s38, 0
	s_branch .LBB35_3
.LBB35_2:                               ;   in Loop: Header=BB35_3 Depth=1
	v_add_nc_u32_e32 v0, s65, v0
	s_delay_alu instid0(VALU_DEP_1) | instskip(SKIP_1) | instid1(SALU_CYCLE_1)
	v_cmp_le_i32_e32 vcc_lo, s20, v0
	s_or_b32 s38, vcc_lo, s38
	s_and_not1_b32 exec_lo, exec_lo, s38
	s_cbranch_execz .LBB35_31
.LBB35_3:                               ; =>This Loop Header: Depth=1
                                        ;     Child Loop BB35_6 Depth 2
                                        ;       Child Loop BB35_9 Depth 3
                                        ;         Child Loop BB35_18 Depth 4
	v_sub_nc_u32_e32 v1, 0, v0
	s_delay_alu instid0(VALU_DEP_1) | instskip(NEXT) | instid1(VALU_DEP_1)
	v_max_i32_e32 v1, v0, v1
	v_mul_hi_u32 v2, v1, s67
	s_delay_alu instid0(VALU_DEP_1) | instskip(NEXT) | instid1(VALU_DEP_1)
	v_mul_lo_u32 v3, v2, s51
	v_sub_nc_u32_e32 v1, v1, v3
	v_add_nc_u32_e32 v3, 1, v2
	s_delay_alu instid0(VALU_DEP_2) | instskip(SKIP_2) | instid1(VALU_DEP_2)
	v_subrev_nc_u32_e32 v4, s51, v1
	v_cmp_le_u32_e32 vcc_lo, s51, v1
	s_wait_alu 0xfffd
	v_dual_cndmask_b32 v2, v2, v3 :: v_dual_cndmask_b32 v1, v1, v4
	v_ashrrev_i32_e32 v3, 31, v0
	s_delay_alu instid0(VALU_DEP_2) | instskip(NEXT) | instid1(VALU_DEP_3)
	v_add_nc_u32_e32 v4, 1, v2
	v_cmp_le_u32_e32 vcc_lo, s51, v1
	s_delay_alu instid0(VALU_DEP_3) | instskip(SKIP_1) | instid1(VALU_DEP_3)
	v_xor_b32_e32 v3, s66, v3
	s_wait_alu 0xfffd
	v_cndmask_b32_e32 v1, v2, v4, vcc_lo
	s_and_not1_b32 vcc_lo, exec_lo, s22
	s_delay_alu instid0(VALU_DEP_1) | instskip(NEXT) | instid1(VALU_DEP_1)
	v_xor_b32_e32 v1, v1, v3
	v_sub_nc_u32_e32 v4, v1, v3
	s_delay_alu instid0(VALU_DEP_1) | instskip(NEXT) | instid1(VALU_DEP_1)
	v_mul_lo_u32 v1, v4, s21
	v_sub_nc_u32_e32 v3, v0, v1
	s_wait_alu 0xfffe
	s_cbranch_vccnz .LBB35_26
; %bb.4:                                ;   in Loop: Header=BB35_3 Depth=1
	s_delay_alu instid0(VALU_DEP_1)
	v_dual_mov_b32 v1, 0 :: v_dual_add_nc_u32 v6, s48, v3
	v_dual_mov_b32 v2, 0 :: v_dual_add_nc_u32 v5, s47, v4
	s_mov_b32 s2, 0
	s_mov_b64 s[0:1], s[12:13]
	s_branch .LBB35_6
.LBB35_5:                               ;   in Loop: Header=BB35_6 Depth=2
	s_add_co_i32 s2, s2, 1
	s_add_nc_u64 s[0:1], s[0:1], s[18:19]
	s_wait_alu 0xfffe
	s_cmp_eq_u32 s2, s23
	s_cbranch_scc1 .LBB35_27
.LBB35_6:                               ;   Parent Loop BB35_3 Depth=1
                                        ; =>  This Loop Header: Depth=2
                                        ;       Child Loop BB35_9 Depth 3
                                        ;         Child Loop BB35_18 Depth 4
	s_and_not1_b32 vcc_lo, exec_lo, s24
	s_wait_alu 0xfffe
	s_cbranch_vccnz .LBB35_5
; %bb.7:                                ;   in Loop: Header=BB35_6 Depth=2
	s_mul_u64 s[30:31], s[28:29], s[2:3]
	s_mov_b32 s39, 0
	s_wait_alu 0xfffe
	s_lshl_b64 s[30:31], s[30:31], 1
	s_mov_b64 s[34:35], s[0:1]
	s_wait_alu 0xfffe
	s_add_nc_u64 s[30:31], s[10:11], s[30:31]
	s_branch .LBB35_9
.LBB35_8:                               ;   in Loop: Header=BB35_9 Depth=3
	s_add_co_i32 s39, s39, 1
	s_add_nc_u64 s[34:35], s[34:35], s[16:17]
	s_cmp_eq_u32 s39, s49
	s_cbranch_scc1 .LBB35_5
.LBB35_9:                               ;   Parent Loop BB35_3 Depth=1
                                        ;     Parent Loop BB35_6 Depth=2
                                        ; =>    This Loop Header: Depth=3
                                        ;         Child Loop BB35_18 Depth 4
	s_mul_i32 s36, s45, s39
	s_mov_b32 s37, exec_lo
	s_wait_alu 0xfffe
	v_subrev_nc_u32_e32 v11, s36, v5
	s_mov_b32 s36, 0
                                        ; implicit-def: $vgpr9
                                        ; implicit-def: $vgpr7
                                        ; implicit-def: $vgpr8
                                        ; implicit-def: $vgpr10
	s_delay_alu instid0(VALU_DEP_1)
	v_cmpx_lt_i32_e32 -1, v11
	s_xor_b32 s37, exec_lo, s37
	s_cbranch_execnz .LBB35_13
; %bb.10:                               ;   in Loop: Header=BB35_9 Depth=3
	s_wait_alu 0xfffe
	s_and_not1_saveexec_b32 s37, s37
	s_cbranch_execnz .LBB35_14
.LBB35_11:                              ;   in Loop: Header=BB35_9 Depth=3
	s_wait_alu 0xfffe
	s_or_b32 exec_lo, exec_lo, s37
	v_mov_b32_e32 v11, 1
	s_and_saveexec_b32 s37, s36
	s_cbranch_execnz .LBB35_15
.LBB35_12:                              ;   in Loop: Header=BB35_9 Depth=3
	s_wait_alu 0xfffe
	s_or_b32 exec_lo, exec_lo, s37
	s_delay_alu instid0(SALU_CYCLE_1)
	s_and_not1_b32 vcc_lo, exec_lo, s33
	s_wait_alu 0xfffe
	s_cbranch_vccz .LBB35_16
	s_branch .LBB35_8
.LBB35_13:                              ;   in Loop: Header=BB35_9 Depth=3
	v_sub_nc_u32_e32 v7, 0, v11
	s_delay_alu instid0(VALU_DEP_1) | instskip(NEXT) | instid1(VALU_DEP_1)
	v_max_i32_e32 v8, v11, v7
	v_mul_hi_u32 v7, v8, s68
	s_delay_alu instid0(VALU_DEP_1) | instskip(NEXT) | instid1(VALU_DEP_1)
	v_mul_lo_u32 v9, v7, s62
	v_sub_nc_u32_e32 v8, v8, v9
	v_ashrrev_i32_e32 v9, 31, v11
	s_delay_alu instid0(VALU_DEP_2) | instskip(SKIP_2) | instid1(VALU_DEP_2)
	v_subrev_nc_u32_e32 v10, s62, v8
	v_cmp_le_u32_e32 vcc_lo, s62, v8
	s_wait_alu 0xfffd
	v_cndmask_b32_e32 v12, v8, v10, vcc_lo
	s_delay_alu instid0(VALU_DEP_1) | instskip(SKIP_2) | instid1(VALU_DEP_2)
	v_subrev_nc_u32_e32 v13, s62, v12
	v_cmp_le_u32_e32 vcc_lo, s62, v12
	s_wait_alu 0xfffd
	v_cndmask_b32_e32 v11, v12, v13, vcc_lo
	s_delay_alu instid0(VALU_DEP_1) | instskip(NEXT) | instid1(VALU_DEP_1)
	v_xor_b32_e32 v11, v11, v9
	v_sub_nc_u32_e32 v11, v11, v9
	s_delay_alu instid0(VALU_DEP_1)
	v_cmp_ne_u32_e32 vcc_lo, 0, v11
                                        ; implicit-def: $vgpr11
	s_and_b32 s36, vcc_lo, exec_lo
	s_wait_alu 0xfffe
	s_and_not1_saveexec_b32 s37, s37
	s_cbranch_execz .LBB35_11
.LBB35_14:                              ;   in Loop: Header=BB35_9 Depth=3
	v_sub_nc_u32_e32 v7, 0, v11
	s_or_b32 s36, s36, exec_lo
	s_delay_alu instid0(VALU_DEP_1) | instskip(NEXT) | instid1(VALU_DEP_1)
	v_max_i32_e32 v8, v11, v7
	v_mul_hi_u32 v7, v8, s68
	s_delay_alu instid0(VALU_DEP_1) | instskip(NEXT) | instid1(VALU_DEP_1)
	v_mul_lo_u32 v9, v7, s62
	v_sub_nc_u32_e32 v8, v8, v9
	v_ashrrev_i32_e32 v9, 31, v11
	s_delay_alu instid0(VALU_DEP_2)
	v_subrev_nc_u32_e32 v10, s62, v8
	s_wait_alu 0xfffe
	s_or_b32 exec_lo, exec_lo, s37
	v_mov_b32_e32 v11, 1
	s_and_saveexec_b32 s37, s36
	s_cbranch_execz .LBB35_12
.LBB35_15:                              ;   in Loop: Header=BB35_9 Depth=3
	v_mov_b32_e32 v11, 0
	s_wait_alu 0xfffe
	s_or_b32 exec_lo, exec_lo, s37
	s_delay_alu instid0(SALU_CYCLE_1)
	s_and_not1_b32 vcc_lo, exec_lo, s33
	s_wait_alu 0xfffe
	s_cbranch_vccnz .LBB35_8
.LBB35_16:                              ;   in Loop: Header=BB35_9 Depth=3
	v_add_nc_u32_e32 v12, 1, v7
	v_cmp_le_u32_e32 vcc_lo, s62, v8
	v_xor_b32_e32 v9, s27, v9
	s_mov_b64 s[36:37], s[34:35]
	s_mov_b32 s52, s50
	s_wait_alu 0xfffd
	v_dual_cndmask_b32 v7, v7, v12 :: v_dual_cndmask_b32 v8, v8, v10
	s_delay_alu instid0(VALU_DEP_1) | instskip(NEXT) | instid1(VALU_DEP_2)
	v_add_nc_u32_e32 v10, 1, v7
	v_cmp_le_u32_e32 vcc_lo, s62, v8
	s_wait_alu 0xfffd
	s_delay_alu instid0(VALU_DEP_2) | instskip(NEXT) | instid1(VALU_DEP_1)
	v_cndmask_b32_e32 v7, v7, v10, vcc_lo
	v_xor_b32_e32 v7, v7, v9
	s_delay_alu instid0(VALU_DEP_1) | instskip(NEXT) | instid1(VALU_DEP_1)
	v_sub_nc_u32_e32 v10, v7, v9
	v_ashrrev_i32_e32 v9, 31, v10
	v_mul_lo_u32 v12, s59, v10
	v_mad_co_u64_u32 v[7:8], null, s58, v10, 0
	v_cmp_gt_i32_e32 vcc_lo, s25, v10
	s_delay_alu instid0(VALU_DEP_4) | instskip(SKIP_1) | instid1(VALU_DEP_2)
	v_mul_lo_u32 v9, s58, v9
	v_mov_b32_e32 v10, v6
	v_add3_u32 v8, v8, v9, v12
	s_delay_alu instid0(VALU_DEP_1) | instskip(SKIP_2) | instid1(VALU_DEP_2)
	v_lshlrev_b64_e32 v[8:9], 1, v[7:8]
	s_wait_alu 0xfffd
	v_cndmask_b32_e32 v7, 0, v11, vcc_lo
	v_add_co_u32 v8, vcc_lo, s30, v8
	s_wait_alu 0xfffd
	s_delay_alu instid0(VALU_DEP_3)
	v_add_co_ci_u32_e64 v9, null, s31, v9, vcc_lo
	s_branch .LBB35_18
.LBB35_17:                              ;   in Loop: Header=BB35_18 Depth=4
	s_wait_alu 0xfffe
	s_or_b32 exec_lo, exec_lo, s53
	v_subrev_nc_u32_e32 v10, s46, v10
	s_add_co_i32 s52, s52, -1
	s_add_nc_u64 s[36:37], s[36:37], s[14:15]
	s_wait_alu 0xfffe
	s_cmp_eq_u32 s52, 0
	s_cbranch_scc1 .LBB35_8
.LBB35_18:                              ;   Parent Loop BB35_3 Depth=1
                                        ;     Parent Loop BB35_6 Depth=2
                                        ;       Parent Loop BB35_9 Depth=3
                                        ; =>      This Inner Loop Header: Depth=4
	v_sub_nc_u32_e32 v15, 0, v10
	s_mov_b32 s53, 0
	s_mov_b32 s55, exec_lo
                                        ; implicit-def: $vgpr13
                                        ; implicit-def: $vgpr11
                                        ; implicit-def: $vgpr12
                                        ; implicit-def: $vgpr14
	v_cmpx_lt_i32_e32 -1, v10
	s_wait_alu 0xfffe
	s_xor_b32 s55, exec_lo, s55
	s_cbranch_execnz .LBB35_24
; %bb.19:                               ;   in Loop: Header=BB35_18 Depth=4
	s_wait_alu 0xfffe
	s_and_not1_saveexec_b32 s55, s55
	s_cbranch_execnz .LBB35_25
.LBB35_20:                              ;   in Loop: Header=BB35_18 Depth=4
	s_wait_alu 0xfffe
	s_or_b32 exec_lo, exec_lo, s55
	v_mov_b32_e32 v15, 1
	s_and_saveexec_b32 s55, s53
.LBB35_21:                              ;   in Loop: Header=BB35_18 Depth=4
	v_mov_b32_e32 v15, 0
.LBB35_22:                              ;   in Loop: Header=BB35_18 Depth=4
	s_wait_alu 0xfffe
	s_or_b32 exec_lo, exec_lo, s55
	v_add_nc_u32_e32 v16, 1, v11
	v_cmp_le_u32_e32 vcc_lo, s63, v12
	v_xor_b32_e32 v13, s44, v13
	s_mov_b32 s53, exec_lo
	s_wait_alu 0xfffd
	v_dual_cndmask_b32 v11, v11, v16 :: v_dual_cndmask_b32 v12, v12, v14
	s_delay_alu instid0(VALU_DEP_1) | instskip(NEXT) | instid1(VALU_DEP_2)
	v_add_nc_u32_e32 v14, 1, v11
	v_cmp_le_u32_e32 vcc_lo, s63, v12
	s_wait_alu 0xfffd
	s_delay_alu instid0(VALU_DEP_2) | instskip(NEXT) | instid1(VALU_DEP_1)
	v_cndmask_b32_e32 v11, v11, v14, vcc_lo
	v_xor_b32_e32 v11, v11, v13
	s_delay_alu instid0(VALU_DEP_1) | instskip(NEXT) | instid1(VALU_DEP_1)
	v_sub_nc_u32_e32 v11, v11, v13
	v_cmp_gt_i32_e32 vcc_lo, s26, v11
	s_wait_alu 0xfffd
	v_cndmask_b32_e32 v12, 0, v15, vcc_lo
	s_delay_alu instid0(VALU_DEP_1) | instskip(NEXT) | instid1(VALU_DEP_1)
	v_and_b32_e32 v12, v12, v7
	v_and_b32_e32 v12, 1, v12
	s_delay_alu instid0(VALU_DEP_1)
	v_cmpx_eq_u32_e32 1, v12
	s_cbranch_execz .LBB35_17
; %bb.23:                               ;   in Loop: Header=BB35_18 Depth=4
	v_ashrrev_i32_e32 v13, 31, v11
	v_mul_lo_u32 v14, s57, v11
	v_mad_co_u64_u32 v[11:12], null, s56, v11, 0
	s_load_u16 s55, s[36:37], 0x0
	v_mul_lo_u32 v13, s56, v13
	s_delay_alu instid0(VALU_DEP_1) | instskip(NEXT) | instid1(VALU_DEP_1)
	v_add3_u32 v12, v12, v13, v14
	v_lshlrev_b64_e32 v[11:12], 1, v[11:12]
	s_wait_kmcnt 0x0
	s_lshl_b32 s55, s55, 16
	s_delay_alu instid0(VALU_DEP_1) | instskip(SKIP_1) | instid1(VALU_DEP_2)
	v_add_co_u32 v11, vcc_lo, v8, v11
	s_wait_alu 0xfffd
	v_add_co_ci_u32_e64 v12, null, v9, v12, vcc_lo
	s_wait_alu 0xfffe
	v_cvt_f64_f32_e32 v[13:14], s55
	global_load_u16 v11, v[11:12], off
	s_wait_loadcnt 0x0
	v_lshlrev_b32_e32 v11, 16, v11
	s_delay_alu instid0(VALU_DEP_1) | instskip(NEXT) | instid1(VALU_DEP_1)
	v_cvt_f64_f32_e32 v[11:12], v11
	v_fma_f64 v[1:2], v[11:12], v[13:14], v[1:2]
	s_branch .LBB35_17
.LBB35_24:                              ;   in Loop: Header=BB35_18 Depth=4
	v_max_i32_e32 v12, v10, v15
	s_delay_alu instid0(VALU_DEP_1) | instskip(NEXT) | instid1(VALU_DEP_1)
	v_mul_hi_u32 v11, v12, s54
	v_mul_lo_u32 v13, v11, s63
	s_delay_alu instid0(VALU_DEP_1) | instskip(SKIP_1) | instid1(VALU_DEP_2)
	v_sub_nc_u32_e32 v12, v12, v13
	v_ashrrev_i32_e32 v13, 31, v10
	v_subrev_nc_u32_e32 v14, s63, v12
	v_cmp_le_u32_e32 vcc_lo, s63, v12
	s_wait_alu 0xfffd
	s_delay_alu instid0(VALU_DEP_2) | instskip(NEXT) | instid1(VALU_DEP_1)
	v_cndmask_b32_e32 v15, v12, v14, vcc_lo
	v_subrev_nc_u32_e32 v16, s63, v15
	v_cmp_le_u32_e32 vcc_lo, s63, v15
	s_wait_alu 0xfffd
	s_delay_alu instid0(VALU_DEP_2) | instskip(NEXT) | instid1(VALU_DEP_1)
	v_cndmask_b32_e32 v15, v15, v16, vcc_lo
	v_xor_b32_e32 v15, v15, v13
	s_delay_alu instid0(VALU_DEP_1) | instskip(NEXT) | instid1(VALU_DEP_1)
	v_sub_nc_u32_e32 v15, v15, v13
	v_cmp_ne_u32_e32 vcc_lo, 0, v15
                                        ; implicit-def: $vgpr15
	s_and_b32 s53, vcc_lo, exec_lo
	s_wait_alu 0xfffe
	s_and_not1_saveexec_b32 s55, s55
	s_cbranch_execz .LBB35_20
.LBB35_25:                              ;   in Loop: Header=BB35_18 Depth=4
	v_max_i32_e32 v12, v10, v15
	s_wait_alu 0xfffe
	s_or_b32 s53, s53, exec_lo
	s_delay_alu instid0(VALU_DEP_1) | instskip(NEXT) | instid1(VALU_DEP_1)
	v_mul_hi_u32 v11, v12, s54
	v_mul_lo_u32 v13, v11, s63
	s_delay_alu instid0(VALU_DEP_1) | instskip(SKIP_1) | instid1(VALU_DEP_2)
	v_sub_nc_u32_e32 v12, v12, v13
	v_ashrrev_i32_e32 v13, 31, v10
	v_subrev_nc_u32_e32 v14, s63, v12
	s_or_b32 exec_lo, exec_lo, s55
	v_mov_b32_e32 v15, 1
	s_wait_alu 0xfffe
	s_and_saveexec_b32 s55, s53
	s_cbranch_execnz .LBB35_21
	s_branch .LBB35_22
.LBB35_26:                              ;   in Loop: Header=BB35_3 Depth=1
	v_mov_b32_e32 v1, 0
	v_mov_b32_e32 v2, 0
.LBB35_27:                              ;   in Loop: Header=BB35_3 Depth=1
	v_ashrrev_i32_e32 v6, 31, v4
	v_mul_lo_u32 v7, s7, v4
	v_mad_co_u64_u32 v[4:5], null, s6, v4, 0
	v_ashrrev_i32_e32 v8, 31, v3
	s_delay_alu instid0(VALU_DEP_4) | instskip(SKIP_2) | instid1(VALU_DEP_1)
	v_mul_lo_u32 v6, s6, v6
	s_and_b32 vcc_lo, exec_lo, s64
	s_mov_b32 s0, -1
	v_add3_u32 v5, v5, v6, v7
	v_mul_lo_u32 v6, s5, v3
	v_mul_lo_u32 v7, s4, v8
	s_delay_alu instid0(VALU_DEP_3) | instskip(NEXT) | instid1(VALU_DEP_1)
	v_mad_co_u64_u32 v[3:4], null, s4, v3, v[4:5]
	v_add3_u32 v4, v6, v4, v7
	s_wait_alu 0xfffe
	s_cbranch_vccz .LBB35_29
; %bb.28:                               ;   in Loop: Header=BB35_3 Depth=1
	s_delay_alu instid0(VALU_DEP_1) | instskip(NEXT) | instid1(VALU_DEP_1)
	v_lshlrev_b64_e32 v[5:6], 1, v[3:4]
	v_add_co_u32 v5, vcc_lo, s8, v5
	s_wait_alu 0xfffd
	s_delay_alu instid0(VALU_DEP_2) | instskip(SKIP_3) | instid1(VALU_DEP_1)
	v_add_co_ci_u32_e64 v6, null, s9, v6, vcc_lo
	global_load_u16 v7, v[5:6], off
	s_wait_loadcnt 0x0
	v_lshlrev_b32_e32 v7, 16, v7
	v_cvt_f64_f32_e32 v[7:8], v7
	s_delay_alu instid0(VALU_DEP_1) | instskip(NEXT) | instid1(VALU_DEP_1)
	v_mul_f64_e32 v[7:8], s[42:43], v[7:8]
	v_fma_f64 v[7:8], s[40:41], v[1:2], v[7:8]
	s_delay_alu instid0(VALU_DEP_1) | instskip(NEXT) | instid1(VALU_DEP_1)
	v_cvt_f32_f64_e32 v7, v[7:8]
	v_and_b32_e32 v8, 0x7f800000, v7
	v_and_b32_e32 v9, 0xffff, v7
	v_lshrrev_b32_e32 v7, 16, v7
	s_delay_alu instid0(VALU_DEP_3) | instskip(NEXT) | instid1(VALU_DEP_3)
	v_cmp_eq_u32_e32 vcc_lo, 0x7f800000, v8
	v_cmp_ne_u32_e64 s0, 0, v9
	s_and_b32 s0, vcc_lo, s0
	s_wait_alu 0xfffe
	v_cndmask_b32_e64 v8, 0, 1, s0
	s_mov_b32 s0, 0
	s_delay_alu instid0(VALU_DEP_1)
	v_or_b32_e32 v7, v7, v8
	global_store_b16 v[5:6], v7, off
.LBB35_29:                              ;   in Loop: Header=BB35_3 Depth=1
	s_wait_alu 0xfffe
	s_and_not1_b32 vcc_lo, exec_lo, s0
	s_wait_alu 0xfffe
	s_cbranch_vccnz .LBB35_2
; %bb.30:                               ;   in Loop: Header=BB35_3 Depth=1
	v_cvt_f32_f64_e32 v1, v[1:2]
	s_delay_alu instid0(VALU_DEP_1) | instskip(SKIP_1) | instid1(VALU_DEP_2)
	v_and_b32_e32 v2, 0x7f800000, v1
	v_and_b32_e32 v5, 0xffff, v1
	v_cmp_eq_u32_e32 vcc_lo, 0x7f800000, v2
	s_delay_alu instid0(VALU_DEP_2)
	v_cmp_ne_u32_e64 s0, 0, v5
	v_lshrrev_b32_e32 v5, 16, v1
	v_lshlrev_b64_e32 v[1:2], 1, v[3:4]
	s_and_b32 s0, vcc_lo, s0
	s_wait_alu 0xfffe
	v_cndmask_b32_e64 v6, 0, 1, s0
	s_delay_alu instid0(VALU_DEP_2) | instskip(SKIP_2) | instid1(VALU_DEP_3)
	v_add_co_u32 v1, vcc_lo, s8, v1
	s_wait_alu 0xfffd
	v_add_co_ci_u32_e64 v2, null, s9, v2, vcc_lo
	v_or_b32_e32 v3, v5, v6
	global_store_b16 v[1:2], v3, off
	s_branch .LBB35_2
.LBB35_31:
	s_endpgm
	.section	.rodata,"a",@progbits
	.p2align	6, 0x0
	.amdhsa_kernel naive_conv_ab_nonpacked_bwd_nchw_ushort_double_ushort_0
		.amdhsa_group_segment_fixed_size 0
		.amdhsa_private_segment_fixed_size 0
		.amdhsa_kernarg_size 480
		.amdhsa_user_sgpr_count 2
		.amdhsa_user_sgpr_dispatch_ptr 0
		.amdhsa_user_sgpr_queue_ptr 0
		.amdhsa_user_sgpr_kernarg_segment_ptr 1
		.amdhsa_user_sgpr_dispatch_id 0
		.amdhsa_user_sgpr_private_segment_size 0
		.amdhsa_wavefront_size32 1
		.amdhsa_uses_dynamic_stack 0
		.amdhsa_enable_private_segment 0
		.amdhsa_system_sgpr_workgroup_id_x 1
		.amdhsa_system_sgpr_workgroup_id_y 0
		.amdhsa_system_sgpr_workgroup_id_z 0
		.amdhsa_system_sgpr_workgroup_info 0
		.amdhsa_system_vgpr_workitem_id 0
		.amdhsa_next_free_vgpr 17
		.amdhsa_next_free_sgpr 70
		.amdhsa_reserve_vcc 1
		.amdhsa_float_round_mode_32 0
		.amdhsa_float_round_mode_16_64 0
		.amdhsa_float_denorm_mode_32 3
		.amdhsa_float_denorm_mode_16_64 3
		.amdhsa_fp16_overflow 0
		.amdhsa_workgroup_processor_mode 1
		.amdhsa_memory_ordered 1
		.amdhsa_forward_progress 1
		.amdhsa_inst_pref_size 20
		.amdhsa_round_robin_scheduling 0
		.amdhsa_exception_fp_ieee_invalid_op 0
		.amdhsa_exception_fp_denorm_src 0
		.amdhsa_exception_fp_ieee_div_zero 0
		.amdhsa_exception_fp_ieee_overflow 0
		.amdhsa_exception_fp_ieee_underflow 0
		.amdhsa_exception_fp_ieee_inexact 0
		.amdhsa_exception_int_div_zero 0
	.end_amdhsa_kernel
	.text
.Lfunc_end35:
	.size	naive_conv_ab_nonpacked_bwd_nchw_ushort_double_ushort_0, .Lfunc_end35-naive_conv_ab_nonpacked_bwd_nchw_ushort_double_ushort_0
                                        ; -- End function
	.set naive_conv_ab_nonpacked_bwd_nchw_ushort_double_ushort_0.num_vgpr, 17
	.set naive_conv_ab_nonpacked_bwd_nchw_ushort_double_ushort_0.num_agpr, 0
	.set naive_conv_ab_nonpacked_bwd_nchw_ushort_double_ushort_0.numbered_sgpr, 70
	.set naive_conv_ab_nonpacked_bwd_nchw_ushort_double_ushort_0.num_named_barrier, 0
	.set naive_conv_ab_nonpacked_bwd_nchw_ushort_double_ushort_0.private_seg_size, 0
	.set naive_conv_ab_nonpacked_bwd_nchw_ushort_double_ushort_0.uses_vcc, 1
	.set naive_conv_ab_nonpacked_bwd_nchw_ushort_double_ushort_0.uses_flat_scratch, 0
	.set naive_conv_ab_nonpacked_bwd_nchw_ushort_double_ushort_0.has_dyn_sized_stack, 0
	.set naive_conv_ab_nonpacked_bwd_nchw_ushort_double_ushort_0.has_recursion, 0
	.set naive_conv_ab_nonpacked_bwd_nchw_ushort_double_ushort_0.has_indirect_call, 0
	.section	.AMDGPU.csdata,"",@progbits
; Kernel info:
; codeLenInByte = 2508
; TotalNumSgprs: 72
; NumVgprs: 17
; ScratchSize: 0
; MemoryBound: 0
; FloatMode: 240
; IeeeMode: 1
; LDSByteSize: 0 bytes/workgroup (compile time only)
; SGPRBlocks: 0
; VGPRBlocks: 2
; NumSGPRsForWavesPerEU: 72
; NumVGPRsForWavesPerEU: 17
; Occupancy: 16
; WaveLimiterHint : 0
; COMPUTE_PGM_RSRC2:SCRATCH_EN: 0
; COMPUTE_PGM_RSRC2:USER_SGPR: 2
; COMPUTE_PGM_RSRC2:TRAP_HANDLER: 0
; COMPUTE_PGM_RSRC2:TGID_X_EN: 1
; COMPUTE_PGM_RSRC2:TGID_Y_EN: 0
; COMPUTE_PGM_RSRC2:TGID_Z_EN: 0
; COMPUTE_PGM_RSRC2:TIDIG_COMP_CNT: 0
	.text
	.protected	naive_conv_ab_packed_bwd_nhwc_float_double_float_0 ; -- Begin function naive_conv_ab_packed_bwd_nhwc_float_double_float_0
	.globl	naive_conv_ab_packed_bwd_nhwc_float_double_float_0
	.p2align	8
	.type	naive_conv_ab_packed_bwd_nhwc_float_double_float_0,@function
naive_conv_ab_packed_bwd_nhwc_float_double_float_0: ; @naive_conv_ab_packed_bwd_nhwc_float_double_float_0
; %bb.0:
	s_load_b512 s[4:19], s[0:1], 0xa0
	s_abs_i32 s21, ttmp9
	s_mov_b32 s29, 0
	s_wait_kmcnt 0x0
	s_abs_i32 s2, s4
	s_delay_alu instid0(SALU_CYCLE_1) | instskip(SKIP_1) | instid1(SALU_CYCLE_2)
	s_cvt_f32_u32 s3, s2
	s_sub_co_i32 s20, 0, s2
	v_rcp_iflag_f32_e32 v1, s3
	s_delay_alu instid0(TRANS32_DEP_1) | instskip(SKIP_2) | instid1(SALU_CYCLE_2)
	v_readfirstlane_b32 s3, v1
	s_mul_f32 s3, s3, 0x4f7ffffe
	s_wait_alu 0xfffe
	s_cvt_u32_f32 s3, s3
	s_wait_alu 0xfffe
	s_delay_alu instid0(SALU_CYCLE_2) | instskip(NEXT) | instid1(SALU_CYCLE_1)
	s_mul_i32 s20, s20, s3
	s_mul_hi_u32 s20, s3, s20
	s_delay_alu instid0(SALU_CYCLE_1) | instskip(SKIP_4) | instid1(SALU_CYCLE_1)
	s_add_co_i32 s3, s3, s20
	s_wait_alu 0xfffe
	s_mul_hi_u32 s3, s21, s3
	s_wait_alu 0xfffe
	s_mul_i32 s20, s3, s2
	s_sub_co_i32 s20, s21, s20
	s_add_co_i32 s21, s3, 1
	s_sub_co_i32 s22, s20, s2
	s_cmp_ge_u32 s20, s2
	s_cselect_b32 s3, s21, s3
	s_cselect_b32 s20, s22, s20
	s_wait_alu 0xfffe
	s_add_co_i32 s21, s3, 1
	s_cmp_ge_u32 s20, s2
	s_cselect_b32 s28, s21, s3
	s_abs_i32 s3, s6
	s_mov_b32 s21, exec_lo
	s_wait_alu 0xfffe
	s_cvt_f32_u32 s2, s3
	s_wait_alu 0xfffe
	s_delay_alu instid0(SALU_CYCLE_2) | instskip(SKIP_3) | instid1(TRANS32_DEP_1)
	v_rcp_iflag_f32_e32 v1, s2
	s_mul_i32 s2, s19, s8
	s_wait_alu 0xfffe
	s_mul_i32 s6, s2, s5
	v_readfirstlane_b32 s20, v1
	v_cmpx_gt_i32_e64 s6, v0
	s_cbranch_execz .LBB36_28
; %bb.1:
	s_mul_f32 s30, s20, 0x4f7ffffe
	s_xor_b32 s31, ttmp9, s4
	s_sub_co_i32 s33, 0, s3
	s_ashr_i32 s34, s31, 31
	s_cvt_u32_f32 s30, s30
	s_xor_b32 s28, s28, s34
	s_mov_b32 s31, s29
	s_sub_co_i32 s34, s28, s34
	s_mul_i32 s33, s33, s30
	s_abs_i32 s28, s34
	s_mul_hi_u32 s33, s30, s33
	s_load_b256 s[20:27], s[0:1], 0x0
	s_add_co_i32 s30, s30, s33
	s_ashr_i32 s37, s34, 31
	s_mul_u64 s[30:31], s[28:29], s[30:31]
	s_mul_i32 s34, s34, s4
	s_mul_i32 s30, s31, s3
	;; [unrolled: 1-line block ×3, first 2 shown]
	s_sub_co_i32 s28, s28, s30
	s_sub_co_i32 s30, ttmp9, s34
	s_sub_co_i32 s31, s28, s3
	s_cmp_ge_u32 s28, s3
	s_mov_b32 s34, s4
	s_cselect_b32 s19, s31, s28
	s_mov_b32 s36, s5
	s_sub_co_i32 s28, s19, s3
	s_cmp_ge_u32 s19, s3
	s_mov_b32 s40, s17
	s_cselect_b32 s3, s28, s19
	s_ashr_i32 s35, s4, 31
	s_wait_alu 0xfffe
	s_xor_b32 s3, s3, s37
	s_wait_kmcnt 0x0
	v_cmp_neq_f64_e64 s28, s[24:25], 1.0
	s_wait_alu 0xfffe
	s_sub_co_i32 s38, s3, s37
	v_cmp_neq_f64_e64 s42, s[26:27], 0
	s_ashr_i32 s39, s38, 31
	s_ashr_i32 s37, s5, 31
	;; [unrolled: 1-line block ×3, first 2 shown]
	s_mul_u64 s[34:35], s[38:39], s[34:35]
	s_ashr_i32 s31, s30, 31
	s_wait_alu 0xfffe
	s_mul_u64 s[36:37], s[2:3], s[36:37]
	s_add_nc_u64 s[34:35], s[34:35], s[30:31]
	s_ashr_i32 s5, s9, 31
	s_mul_u64 s[34:35], s[36:37], s[34:35]
	s_ashr_i32 s31, s10, 31
	s_ashr_i32 s50, s33, 31
	s_lshl_b64 s[36:37], s[34:35], 2
	s_cmp_lt_i32 s17, 1
	s_mov_b32 s4, s9
	s_cselect_b32 s51, -1, 0
	s_add_co_i32 s15, s30, s15
	s_cmp_gt_i32 s18, 0
	s_mov_b32 s30, s10
	s_cselect_b32 s52, -1, 0
	s_cmp_gt_i32 s7, 0
	s_clause 0x1
	s_load_b64 s[34:35], s[0:1], 0x20
	s_load_b32 s10, s[0:1], 0xec
	s_cselect_b32 s53, -1, 0
	s_abs_i32 s54, s2
	s_abs_i32 s55, s8
	s_cvt_f32_u32 s1, s54
	s_cvt_f32_u32 s9, s55
	s_abs_i32 s56, s11
	s_add_nc_u64 s[20:21], s[20:21], s[36:37]
	v_rcp_iflag_f32_e32 v1, s1
	v_rcp_iflag_f32_e32 v2, s9
	s_cvt_f32_u32 s36, s56
	s_abs_i32 s57, s12
	s_ashr_i32 s19, s18, 31
	s_ashr_i32 s9, s8, 31
	;; [unrolled: 1-line block ×4, first 2 shown]
	s_mov_b32 s0, s7
	s_or_b32 s59, s28, s42
	v_readfirstlane_b32 s37, v1
	v_rcp_iflag_f32_e32 v1, s36
	s_cvt_f32_u32 s36, s57
	v_readfirstlane_b32 s43, v2
	s_wait_kmcnt 0x0
	s_and_b32 s58, s10, 0xffff
	s_mul_f32 s10, s37, 0x4f7ffffe
	s_wait_alu 0xfffe
	v_rcp_iflag_f32_e32 v2, s36
	s_sub_co_i32 s36, 0, s54
	s_mul_f32 s28, s43, 0x4f7ffffe
	s_cvt_u32_f32 s10, s10
	s_sub_co_i32 s42, 0, s55
	v_readfirstlane_b32 s37, v1
	s_cvt_u32_f32 s28, s28
	s_wait_alu 0xfffe
	s_mul_i32 s36, s36, s10
	s_ashr_i32 s1, s7, 31
	s_wait_alu 0xfffe
	s_mul_hi_u32 s36, s10, s36
	v_readfirstlane_b32 s43, v2
	s_mul_i32 s42, s42, s28
	s_mul_f32 s37, s37, 0x4f7ffffe
	s_mul_hi_u32 s42, s28, s42
	s_wait_alu 0xfffe
	s_add_co_i32 s60, s10, s36
	s_add_co_i32 s61, s28, s42
	s_cvt_u32_f32 s10, s37
	s_mul_f32 s28, s43, 0x4f7ffffe
	s_sub_co_i32 s36, 0, s56
	s_mul_u64 s[42:43], s[18:19], s[8:9]
	s_wait_alu 0xfffe
	s_mul_i32 s36, s36, s10
	s_cvt_u32_f32 s28, s28
	s_wait_alu 0xfffe
	s_mul_hi_u32 s11, s10, s36
	s_sub_co_i32 s36, 0, s57
	s_mul_u64 s[44:45], s[30:31], s[4:5]
	s_wait_alu 0xfffe
	s_mul_i32 s36, s36, s28
	s_mul_u64 s[46:47], s[42:43], s[40:41]
	s_wait_alu 0xfffe
	s_mul_hi_u32 s36, s28, s36
	s_ashr_i32 s5, s12, 31
	s_wait_alu 0xfffe
	s_add_co_i32 s12, s28, s36
	s_lshl_b64 s[36:37], s[0:1], 2
	s_mul_u64 s[38:39], s[44:45], s[38:39]
	s_mul_u64 s[0:1], s[46:47], s[0:1]
	s_add_co_i32 s10, s10, s11
	s_mov_b32 s11, s29
	s_lshl_b64 s[38:39], s[38:39], 2
	s_wait_alu 0xfffe
	s_lshl_b64 s[40:41], s[0:1], 2
	s_lshl_b64 s[42:43], s[42:43], 2
	;; [unrolled: 1-line block ×4, first 2 shown]
	s_mov_b32 s19, 0
	s_branch .LBB36_3
.LBB36_2:                               ;   in Loop: Header=BB36_3 Depth=1
	s_delay_alu instid0(VALU_DEP_1) | instskip(SKIP_1) | instid1(VALU_DEP_1)
	v_cvt_f32_f64_e32 v3, v[3:4]
	v_add_nc_u32_e32 v0, s58, v0
	v_cmp_le_i32_e32 vcc_lo, s6, v0
	s_or_b32 s19, vcc_lo, s19
	global_store_b32 v[1:2], v3, off
	s_and_not1_b32 exec_lo, exec_lo, s19
	s_cbranch_execz .LBB36_28
.LBB36_3:                               ; =>This Loop Header: Depth=1
                                        ;     Child Loop BB36_8 Depth 2
                                        ;       Child Loop BB36_17 Depth 3
                                        ;         Child Loop BB36_24 Depth 4
	v_sub_nc_u32_e32 v1, 0, v0
	s_mov_b32 s0, -1
	s_delay_alu instid0(VALU_DEP_1) | instskip(NEXT) | instid1(VALU_DEP_1)
	v_max_i32_e32 v1, v0, v1
	v_mul_hi_u32 v2, v1, s60
	s_delay_alu instid0(VALU_DEP_1) | instskip(NEXT) | instid1(VALU_DEP_1)
	v_mul_lo_u32 v3, v2, s54
	v_sub_nc_u32_e32 v1, v1, v3
	v_add_nc_u32_e32 v3, 1, v2
	s_delay_alu instid0(VALU_DEP_2) | instskip(SKIP_2) | instid1(VALU_DEP_2)
	v_subrev_nc_u32_e32 v4, s54, v1
	v_cmp_le_u32_e32 vcc_lo, s54, v1
	s_wait_alu 0xfffd
	v_dual_cndmask_b32 v2, v2, v3 :: v_dual_cndmask_b32 v1, v1, v4
	v_ashrrev_i32_e32 v3, 31, v0
	s_delay_alu instid0(VALU_DEP_2) | instskip(NEXT) | instid1(VALU_DEP_3)
	v_add_nc_u32_e32 v4, 1, v2
	v_cmp_le_u32_e32 vcc_lo, s54, v1
	s_delay_alu instid0(VALU_DEP_3) | instskip(SKIP_1) | instid1(VALU_DEP_3)
	v_xor_b32_e32 v3, s3, v3
	s_wait_alu 0xfffd
	v_cndmask_b32_e32 v1, v2, v4, vcc_lo
	s_delay_alu instid0(VALU_DEP_1) | instskip(NEXT) | instid1(VALU_DEP_1)
	v_xor_b32_e32 v1, v1, v3
	v_sub_nc_u32_e32 v15, v1, v3
	s_delay_alu instid0(VALU_DEP_1) | instskip(NEXT) | instid1(VALU_DEP_1)
	v_mul_lo_u32 v1, v15, s2
	v_sub_nc_u32_e32 v5, v0, v1
	s_delay_alu instid0(VALU_DEP_1) | instskip(SKIP_1) | instid1(VALU_DEP_2)
	v_sub_nc_u32_e32 v1, 0, v5
	v_ashrrev_i32_e32 v6, 31, v5
	v_max_i32_e32 v1, v5, v1
	s_delay_alu instid0(VALU_DEP_1) | instskip(NEXT) | instid1(VALU_DEP_1)
	v_mul_hi_u32 v2, v1, s61
	v_mul_lo_u32 v3, v2, s55
	s_delay_alu instid0(VALU_DEP_1) | instskip(SKIP_1) | instid1(VALU_DEP_2)
	v_sub_nc_u32_e32 v1, v1, v3
	v_add_nc_u32_e32 v3, 1, v2
	v_subrev_nc_u32_e32 v4, s55, v1
	v_cmp_le_u32_e32 vcc_lo, s55, v1
	s_wait_alu 0xfffd
	s_delay_alu instid0(VALU_DEP_2) | instskip(SKIP_1) | instid1(VALU_DEP_2)
	v_dual_cndmask_b32 v2, v2, v3 :: v_dual_cndmask_b32 v1, v1, v4
	v_xor_b32_e32 v4, s9, v6
	v_add_nc_u32_e32 v3, 1, v2
	s_delay_alu instid0(VALU_DEP_3) | instskip(SKIP_1) | instid1(VALU_DEP_2)
	v_cmp_le_u32_e32 vcc_lo, s55, v1
	s_wait_alu 0xfffd
	v_cndmask_b32_e32 v1, v2, v3, vcc_lo
	s_and_not1_b32 vcc_lo, exec_lo, s51
	s_delay_alu instid0(VALU_DEP_1) | instskip(NEXT) | instid1(VALU_DEP_1)
	v_xor_b32_e32 v1, v1, v4
	v_sub_nc_u32_e32 v16, v1, v4
	s_delay_alu instid0(VALU_DEP_1) | instskip(SKIP_1) | instid1(VALU_DEP_2)
	v_mul_lo_u32 v7, v16, s8
	v_ashrrev_i32_e32 v17, 31, v16
	v_sub_nc_u32_e32 v1, v5, v7
	s_delay_alu instid0(VALU_DEP_1)
	v_ashrrev_i32_e32 v2, 31, v1
	s_wait_alu 0xfffe
	s_cbranch_vccnz .LBB36_5
; %bb.4:                                ;   in Loop: Header=BB36_3 Depth=1
	s_mov_b32 s0, 0
.LBB36_5:                               ;   in Loop: Header=BB36_3 Depth=1
	v_mov_b32_e32 v3, 0
	v_mov_b32_e32 v4, 0
	s_wait_alu 0xfffe
	s_and_not1_b32 vcc_lo, exec_lo, s0
	s_wait_alu 0xfffe
	s_cbranch_vccnz .LBB36_26
; %bb.6:                                ;   in Loop: Header=BB36_3 Depth=1
	v_lshlrev_b64_e32 v[3:4], 2, v[5:6]
	v_mul_lo_u32 v10, s41, v16
	v_mul_lo_u32 v11, s40, v17
	v_ashrrev_i32_e32 v8, 31, v7
	v_mad_co_u64_u32 v[5:6], null, s36, v16, s[34:35]
	v_mad_co_u64_u32 v[3:4], null, s40, v16, v[3:4]
	s_delay_alu instid0(VALU_DEP_3)
	v_lshlrev_b64_e32 v[7:8], 2, v[7:8]
	v_mul_lo_u32 v9, s37, v16
	v_mul_lo_u32 v12, s36, v17
	v_add_nc_u32_e32 v18, s16, v15
	s_mov_b32 s63, 0
	v_add3_u32 v4, v10, v4, v11
	v_sub_co_u32 v7, vcc_lo, v3, v7
	s_delay_alu instid0(VALU_DEP_4) | instskip(SKIP_1) | instid1(VALU_DEP_3)
	v_add3_u32 v6, v9, v6, v12
	s_wait_alu 0xfffd
	v_sub_co_ci_u32_e64 v8, null, v4, v8, vcc_lo
	s_delay_alu instid0(VALU_DEP_3)
	v_add_co_u32 v7, vcc_lo, s22, v7
	v_mov_b32_e32 v3, 0
	v_mov_b32_e32 v4, 0
	s_wait_alu 0xfffd
	v_add_co_ci_u32_e64 v8, null, s23, v8, vcc_lo
	s_branch .LBB36_8
.LBB36_7:                               ;   in Loop: Header=BB36_8 Depth=2
	v_add_co_u32 v7, vcc_lo, v7, s42
	s_wait_alu 0xfffd
	v_add_co_ci_u32_e64 v8, null, s43, v8, vcc_lo
	s_add_co_i32 s63, s63, 1
	s_delay_alu instid0(SALU_CYCLE_1)
	s_cmp_eq_u32 s63, s17
	s_cbranch_scc1 .LBB36_26
.LBB36_8:                               ;   Parent Loop BB36_3 Depth=1
                                        ; =>  This Loop Header: Depth=2
                                        ;       Child Loop BB36_17 Depth 3
                                        ;         Child Loop BB36_24 Depth 4
	s_mul_i32 s0, s13, s63
	s_mov_b32 s65, -1
	s_wait_alu 0xfffe
	s_sub_co_i32 s49, s15, s0
	s_mov_b32 s64, 0
	s_wait_alu 0xfffe
	s_cmp_gt_i32 s49, -1
                                        ; implicit-def: $sgpr28
                                        ; implicit-def: $sgpr1
                                        ; implicit-def: $sgpr0
                                        ; implicit-def: $sgpr48
	s_cbranch_scc1 .LBB36_12
; %bb.9:                                ;   in Loop: Header=BB36_8 Depth=2
	s_and_not1_b32 vcc_lo, exec_lo, s65
	s_wait_alu 0xfffe
	s_cbranch_vccz .LBB36_13
.LBB36_10:                              ;   in Loop: Header=BB36_8 Depth=2
	s_and_not1_b32 vcc_lo, exec_lo, s64
	s_mov_b32 s49, 1
	s_wait_alu 0xfffe
	s_cbranch_vccz .LBB36_14
; %bb.11:                               ;   in Loop: Header=BB36_8 Depth=2
	s_and_not1_b32 vcc_lo, exec_lo, s52
	s_wait_alu 0xfffe
	s_cbranch_vccz .LBB36_15
	s_branch .LBB36_7
.LBB36_12:                              ;   in Loop: Header=BB36_8 Depth=2
	s_abs_i32 s28, s49
	s_delay_alu instid0(SALU_CYCLE_1)
	s_mul_u64 s[0:1], s[28:29], s[10:11]
	s_wait_alu 0xfffe
	s_mul_i32 s0, s1, s56
	s_wait_alu 0xfffe
	s_sub_co_i32 s0, s28, s0
	s_ashr_i32 s28, s49, 31
	s_wait_alu 0xfffe
	s_sub_co_i32 s48, s0, s56
	s_cmp_ge_u32 s0, s56
	s_wait_alu 0xfffe
	s_cselect_b32 s64, s48, s0
	s_delay_alu instid0(SALU_CYCLE_1) | instskip(SKIP_2) | instid1(SALU_CYCLE_1)
	s_sub_co_i32 s65, s64, s56
	s_cmp_ge_u32 s64, s56
	s_cselect_b32 s64, s65, s64
	s_xor_b32 s64, s64, s28
	s_delay_alu instid0(SALU_CYCLE_1) | instskip(NEXT) | instid1(SALU_CYCLE_1)
	s_sub_co_i32 s64, s64, s28
	s_cmp_lg_u32 s64, 0
	s_cselect_b32 s64, -1, 0
	s_cbranch_execnz .LBB36_10
.LBB36_13:                              ;   in Loop: Header=BB36_8 Depth=2
	s_abs_i32 s28, s49
	s_delay_alu instid0(SALU_CYCLE_1)
	s_mul_u64 s[0:1], s[28:29], s[10:11]
	s_wait_alu 0xfffe
	s_mul_i32 s0, s1, s56
	s_wait_alu 0xfffe
	s_sub_co_i32 s0, s28, s0
	s_ashr_i32 s28, s49, 31
	s_wait_alu 0xfffe
	s_sub_co_i32 s48, s0, s56
	s_mov_b32 s49, 1
.LBB36_14:                              ;   in Loop: Header=BB36_8 Depth=2
	s_mov_b32 s49, 0
	s_and_not1_b32 vcc_lo, exec_lo, s52
	s_wait_alu 0xfffe
	s_cbranch_vccnz .LBB36_7
.LBB36_15:                              ;   in Loop: Header=BB36_8 Depth=2
	s_xor_b32 s28, s28, s62
	s_add_co_i32 s64, s1, 1
	s_cmp_ge_u32 s0, s56
	v_dual_mov_b32 v10, v8 :: v_dual_mov_b32 v9, v7
	s_cselect_b32 s1, s64, s1
	s_cselect_b32 s0, s48, s0
	s_wait_alu 0xfffe
	s_add_co_i32 s48, s1, 1
	s_cmp_ge_u32 s0, s56
	s_wait_alu 0xfffe
	s_cselect_b32 s0, s48, s1
	s_wait_alu 0xfffe
	s_xor_b32 s0, s0, s28
	s_wait_alu 0xfffe
	s_sub_co_i32 s48, s0, s28
	s_mov_b32 s28, 0
	s_wait_alu 0xfffe
	s_cmp_lt_i32 s48, s4
	s_cselect_b32 s1, s49, 0
	s_ashr_i32 s49, s48, 31
	s_wait_alu 0xfffe
	s_mul_u64 s[48:49], s[48:49], s[30:31]
	s_branch .LBB36_17
.LBB36_16:                              ;   in Loop: Header=BB36_17 Depth=3
	v_add_co_u32 v9, vcc_lo, v9, s44
	s_wait_alu 0xfffd
	v_add_co_ci_u32_e64 v10, null, s45, v10, vcc_lo
	s_add_co_i32 s28, s28, 1
	s_delay_alu instid0(SALU_CYCLE_1)
	s_cmp_eq_u32 s28, s18
	s_cbranch_scc1 .LBB36_7
.LBB36_17:                              ;   Parent Loop BB36_3 Depth=1
                                        ;     Parent Loop BB36_8 Depth=2
                                        ; =>    This Loop Header: Depth=3
                                        ;         Child Loop BB36_24 Depth 4
	s_mul_i32 s0, s14, s28
	s_wait_alu 0xfffe
	v_subrev_nc_u32_e32 v12, s0, v18
	s_delay_alu instid0(VALU_DEP_1) | instskip(SKIP_3) | instid1(VALU_DEP_4)
	v_sub_nc_u32_e32 v13, 0, v12
	v_cmp_gt_i32_e64 s0, 0, v12
	v_cmp_lt_i32_e32 vcc_lo, -1, v12
	v_ashrrev_i32_e32 v11, 31, v12
	v_max_i32_e32 v12, v12, v13
	s_and_saveexec_b32 s64, vcc_lo
	s_cbranch_execnz .LBB36_20
; %bb.18:                               ;   in Loop: Header=BB36_17 Depth=3
	s_or_b32 exec_lo, exec_lo, s64
	v_mov_b32_e32 v13, 1
	s_and_saveexec_b32 s64, s0
	s_cbranch_execnz .LBB36_21
.LBB36_19:                              ;   in Loop: Header=BB36_17 Depth=3
	s_or_b32 exec_lo, exec_lo, s64
	s_delay_alu instid0(SALU_CYCLE_1)
	s_and_not1_b32 vcc_lo, exec_lo, s53
	s_wait_alu 0xfffe
	s_cbranch_vccz .LBB36_22
	s_branch .LBB36_16
.LBB36_20:                              ;   in Loop: Header=BB36_17 Depth=3
	s_delay_alu instid0(VALU_DEP_1) | instskip(SKIP_1) | instid1(VALU_DEP_1)
	v_mul_hi_u32 v13, v12, s12
	s_and_not1_b32 s0, s0, exec_lo
	v_mul_lo_u32 v13, v13, s57
	s_delay_alu instid0(VALU_DEP_1) | instskip(NEXT) | instid1(VALU_DEP_1)
	v_sub_nc_u32_e32 v13, v12, v13
	v_subrev_nc_u32_e32 v14, s57, v13
	v_cmp_le_u32_e32 vcc_lo, s57, v13
	s_wait_alu 0xfffd
	s_delay_alu instid0(VALU_DEP_2) | instskip(NEXT) | instid1(VALU_DEP_1)
	v_cndmask_b32_e32 v13, v13, v14, vcc_lo
	v_subrev_nc_u32_e32 v14, s57, v13
	v_cmp_le_u32_e32 vcc_lo, s57, v13
	s_wait_alu 0xfffd
	s_delay_alu instid0(VALU_DEP_2) | instskip(NEXT) | instid1(VALU_DEP_1)
	v_cndmask_b32_e32 v13, v13, v14, vcc_lo
	v_xor_b32_e32 v13, v13, v11
	s_delay_alu instid0(VALU_DEP_1) | instskip(NEXT) | instid1(VALU_DEP_1)
	v_sub_nc_u32_e32 v13, v13, v11
	v_cmp_ne_u32_e32 vcc_lo, 0, v13
	s_and_b32 s65, vcc_lo, exec_lo
	s_wait_alu 0xfffe
	s_or_b32 s0, s0, s65
	s_or_b32 exec_lo, exec_lo, s64
	v_mov_b32_e32 v13, 1
	s_wait_alu 0xfffe
	s_and_saveexec_b32 s64, s0
	s_cbranch_execz .LBB36_19
.LBB36_21:                              ;   in Loop: Header=BB36_17 Depth=3
	v_mov_b32_e32 v13, 0
	s_or_b32 exec_lo, exec_lo, s64
	s_delay_alu instid0(SALU_CYCLE_1)
	s_and_not1_b32 vcc_lo, exec_lo, s53
	s_wait_alu 0xfffe
	s_cbranch_vccnz .LBB36_16
.LBB36_22:                              ;   in Loop: Header=BB36_17 Depth=3
	v_mul_hi_u32 v14, v12, s12
	v_xor_b32_e32 v11, s5, v11
	s_mov_b32 s64, s7
	s_delay_alu instid0(VALU_DEP_2) | instskip(NEXT) | instid1(VALU_DEP_1)
	v_mul_lo_u32 v19, v14, s57
	v_sub_nc_u32_e32 v12, v12, v19
	s_delay_alu instid0(VALU_DEP_1) | instskip(SKIP_2) | instid1(VALU_DEP_2)
	v_subrev_nc_u32_e32 v20, s57, v12
	v_cmp_le_u32_e32 vcc_lo, s57, v12
	s_wait_alu 0xfffd
	v_dual_cndmask_b32 v12, v12, v20 :: v_dual_add_nc_u32 v19, 1, v14
	s_delay_alu instid0(VALU_DEP_1) | instskip(NEXT) | instid1(VALU_DEP_2)
	v_cndmask_b32_e32 v14, v14, v19, vcc_lo
	v_cmp_le_u32_e32 vcc_lo, s57, v12
	s_delay_alu instid0(VALU_DEP_2) | instskip(SKIP_1) | instid1(VALU_DEP_1)
	v_add_nc_u32_e32 v19, 1, v14
	s_wait_alu 0xfffd
	v_cndmask_b32_e32 v12, v14, v19, vcc_lo
	s_delay_alu instid0(VALU_DEP_1) | instskip(NEXT) | instid1(VALU_DEP_1)
	v_xor_b32_e32 v12, v12, v11
	v_sub_nc_u32_e32 v14, v12, v11
	s_delay_alu instid0(VALU_DEP_1) | instskip(SKIP_2) | instid1(VALU_DEP_2)
	v_ashrrev_i32_e32 v12, 31, v14
	v_add_co_u32 v11, vcc_lo, s48, v14
	s_wait_alu 0xfffd
	v_add_co_ci_u32_e64 v12, null, s49, v12, vcc_lo
	v_cmp_gt_i32_e32 vcc_lo, s30, v14
	s_delay_alu instid0(VALU_DEP_2) | instskip(SKIP_2) | instid1(VALU_DEP_2)
	v_lshlrev_b64_e32 v[11:12], 2, v[11:12]
	s_wait_alu 0xfffd
	v_cndmask_b32_e32 v13, 0, v13, vcc_lo
	v_add_co_u32 v11, vcc_lo, s38, v11
	s_wait_alu 0xfffd
	s_delay_alu instid0(VALU_DEP_3) | instskip(NEXT) | instid1(VALU_DEP_3)
	v_add_co_ci_u32_e64 v12, null, s39, v12, vcc_lo
	v_and_b32_e32 v13, s1, v13
	s_delay_alu instid0(VALU_DEP_3) | instskip(NEXT) | instid1(VALU_DEP_3)
	v_mul_lo_u32 v19, s50, v11
	v_mul_lo_u32 v14, s33, v12
	v_mad_co_u64_u32 v[11:12], null, s33, v11, v[5:6]
	s_delay_alu instid0(VALU_DEP_4) | instskip(NEXT) | instid1(VALU_DEP_1)
	v_and_b32_e32 v13, 1, v13
	v_cmp_eq_u32_e32 vcc_lo, 1, v13
	s_delay_alu instid0(VALU_DEP_3)
	v_add3_u32 v12, v19, v12, v14
	v_dual_mov_b32 v14, v10 :: v_dual_mov_b32 v13, v9
	s_branch .LBB36_24
.LBB36_23:                              ;   in Loop: Header=BB36_24 Depth=4
	s_wait_alu 0xfffe
	s_or_b32 exec_lo, exec_lo, s0
	v_add_co_u32 v11, s0, v11, 4
	s_wait_alu 0xf1ff
	v_add_co_ci_u32_e64 v12, null, 0, v12, s0
	v_add_co_u32 v13, s0, v13, s46
	s_wait_alu 0xf1ff
	v_add_co_ci_u32_e64 v14, null, s47, v14, s0
	s_add_co_i32 s64, s64, -1
	s_delay_alu instid0(SALU_CYCLE_1)
	s_cmp_eq_u32 s64, 0
	s_cbranch_scc1 .LBB36_16
.LBB36_24:                              ;   Parent Loop BB36_3 Depth=1
                                        ;     Parent Loop BB36_8 Depth=2
                                        ;       Parent Loop BB36_17 Depth=3
                                        ; =>      This Inner Loop Header: Depth=4
	s_and_saveexec_b32 s0, vcc_lo
	s_cbranch_execz .LBB36_23
; %bb.25:                               ;   in Loop: Header=BB36_24 Depth=4
	global_load_b32 v19, v[11:12], off
	global_load_b32 v21, v[13:14], off
	s_wait_loadcnt 0x1
	v_cvt_f64_f32_e32 v[19:20], v19
	s_wait_loadcnt 0x0
	v_cvt_f64_f32_e32 v[21:22], v21
	s_delay_alu instid0(VALU_DEP_1)
	v_fma_f64 v[3:4], v[19:20], v[21:22], v[3:4]
	s_branch .LBB36_23
.LBB36_26:                              ;   in Loop: Header=BB36_3 Depth=1
	v_mul_lo_u32 v9, v17, s8
	v_mul_lo_u32 v10, v16, s9
	v_mad_co_u64_u32 v[5:6], null, v16, s8, 0
	v_mad_co_i64_i32 v[7:8], null, v15, s2, 0
	v_lshlrev_b64_e32 v[1:2], 2, v[1:2]
	s_delay_alu instid0(VALU_DEP_3) | instskip(NEXT) | instid1(VALU_DEP_3)
	v_add3_u32 v6, v6, v10, v9
	v_lshlrev_b64_e32 v[7:8], 2, v[7:8]
	s_delay_alu instid0(VALU_DEP_2) | instskip(NEXT) | instid1(VALU_DEP_2)
	v_lshlrev_b64_e32 v[5:6], 2, v[5:6]
	v_add_co_u32 v7, vcc_lo, s20, v7
	s_wait_alu 0xfffd
	s_delay_alu instid0(VALU_DEP_3) | instskip(NEXT) | instid1(VALU_DEP_2)
	v_add_co_ci_u32_e64 v8, null, s21, v8, vcc_lo
	v_add_co_u32 v5, vcc_lo, v7, v5
	s_wait_alu 0xfffd
	s_delay_alu instid0(VALU_DEP_2) | instskip(NEXT) | instid1(VALU_DEP_2)
	v_add_co_ci_u32_e64 v6, null, v8, v6, vcc_lo
	v_add_co_u32 v1, vcc_lo, v5, v1
	s_wait_alu 0xfffd
	s_delay_alu instid0(VALU_DEP_2)
	v_add_co_ci_u32_e64 v2, null, v6, v2, vcc_lo
	s_and_not1_b32 vcc_lo, exec_lo, s59
	s_wait_alu 0xfffe
	s_cbranch_vccnz .LBB36_2
; %bb.27:                               ;   in Loop: Header=BB36_3 Depth=1
	global_load_b32 v5, v[1:2], off
	s_wait_loadcnt 0x0
	v_cvt_f64_f32_e32 v[5:6], v5
	s_delay_alu instid0(VALU_DEP_1) | instskip(NEXT) | instid1(VALU_DEP_1)
	v_mul_f64_e32 v[5:6], s[26:27], v[5:6]
	v_fma_f64 v[3:4], s[24:25], v[3:4], v[5:6]
	s_branch .LBB36_2
.LBB36_28:
	s_endpgm
	.section	.rodata,"a",@progbits
	.p2align	6, 0x0
	.amdhsa_kernel naive_conv_ab_packed_bwd_nhwc_float_double_float_0
		.amdhsa_group_segment_fixed_size 0
		.amdhsa_private_segment_fixed_size 0
		.amdhsa_kernarg_size 480
		.amdhsa_user_sgpr_count 2
		.amdhsa_user_sgpr_dispatch_ptr 0
		.amdhsa_user_sgpr_queue_ptr 0
		.amdhsa_user_sgpr_kernarg_segment_ptr 1
		.amdhsa_user_sgpr_dispatch_id 0
		.amdhsa_user_sgpr_private_segment_size 0
		.amdhsa_wavefront_size32 1
		.amdhsa_uses_dynamic_stack 0
		.amdhsa_enable_private_segment 0
		.amdhsa_system_sgpr_workgroup_id_x 1
		.amdhsa_system_sgpr_workgroup_id_y 0
		.amdhsa_system_sgpr_workgroup_id_z 0
		.amdhsa_system_sgpr_workgroup_info 0
		.amdhsa_system_vgpr_workitem_id 0
		.amdhsa_next_free_vgpr 23
		.amdhsa_next_free_sgpr 66
		.amdhsa_reserve_vcc 1
		.amdhsa_float_round_mode_32 0
		.amdhsa_float_round_mode_16_64 0
		.amdhsa_float_denorm_mode_32 3
		.amdhsa_float_denorm_mode_16_64 3
		.amdhsa_fp16_overflow 0
		.amdhsa_workgroup_processor_mode 1
		.amdhsa_memory_ordered 1
		.amdhsa_forward_progress 1
		.amdhsa_inst_pref_size 20
		.amdhsa_round_robin_scheduling 0
		.amdhsa_exception_fp_ieee_invalid_op 0
		.amdhsa_exception_fp_denorm_src 0
		.amdhsa_exception_fp_ieee_div_zero 0
		.amdhsa_exception_fp_ieee_overflow 0
		.amdhsa_exception_fp_ieee_underflow 0
		.amdhsa_exception_fp_ieee_inexact 0
		.amdhsa_exception_int_div_zero 0
	.end_amdhsa_kernel
	.text
.Lfunc_end36:
	.size	naive_conv_ab_packed_bwd_nhwc_float_double_float_0, .Lfunc_end36-naive_conv_ab_packed_bwd_nhwc_float_double_float_0
                                        ; -- End function
	.set naive_conv_ab_packed_bwd_nhwc_float_double_float_0.num_vgpr, 23
	.set naive_conv_ab_packed_bwd_nhwc_float_double_float_0.num_agpr, 0
	.set naive_conv_ab_packed_bwd_nhwc_float_double_float_0.numbered_sgpr, 66
	.set naive_conv_ab_packed_bwd_nhwc_float_double_float_0.num_named_barrier, 0
	.set naive_conv_ab_packed_bwd_nhwc_float_double_float_0.private_seg_size, 0
	.set naive_conv_ab_packed_bwd_nhwc_float_double_float_0.uses_vcc, 1
	.set naive_conv_ab_packed_bwd_nhwc_float_double_float_0.uses_flat_scratch, 0
	.set naive_conv_ab_packed_bwd_nhwc_float_double_float_0.has_dyn_sized_stack, 0
	.set naive_conv_ab_packed_bwd_nhwc_float_double_float_0.has_recursion, 0
	.set naive_conv_ab_packed_bwd_nhwc_float_double_float_0.has_indirect_call, 0
	.section	.AMDGPU.csdata,"",@progbits
; Kernel info:
; codeLenInByte = 2464
; TotalNumSgprs: 68
; NumVgprs: 23
; ScratchSize: 0
; MemoryBound: 0
; FloatMode: 240
; IeeeMode: 1
; LDSByteSize: 0 bytes/workgroup (compile time only)
; SGPRBlocks: 0
; VGPRBlocks: 2
; NumSGPRsForWavesPerEU: 68
; NumVGPRsForWavesPerEU: 23
; Occupancy: 16
; WaveLimiterHint : 0
; COMPUTE_PGM_RSRC2:SCRATCH_EN: 0
; COMPUTE_PGM_RSRC2:USER_SGPR: 2
; COMPUTE_PGM_RSRC2:TRAP_HANDLER: 0
; COMPUTE_PGM_RSRC2:TGID_X_EN: 1
; COMPUTE_PGM_RSRC2:TGID_Y_EN: 0
; COMPUTE_PGM_RSRC2:TGID_Z_EN: 0
; COMPUTE_PGM_RSRC2:TIDIG_COMP_CNT: 0
	.text
	.protected	naive_conv_ab_nonpacked_bwd_nhwc_float_double_float_0 ; -- Begin function naive_conv_ab_nonpacked_bwd_nhwc_float_double_float_0
	.globl	naive_conv_ab_nonpacked_bwd_nhwc_float_double_float_0
	.p2align	8
	.type	naive_conv_ab_nonpacked_bwd_nhwc_float_double_float_0,@function
naive_conv_ab_nonpacked_bwd_nhwc_float_double_float_0: ; @naive_conv_ab_nonpacked_bwd_nhwc_float_double_float_0
; %bb.0:
	s_load_b512 s[4:19], s[0:1], 0xa0
	s_abs_i32 s21, ttmp9
	s_wait_kmcnt 0x0
	s_abs_i32 s2, s4
	s_delay_alu instid0(SALU_CYCLE_1) | instskip(SKIP_1) | instid1(SALU_CYCLE_2)
	s_cvt_f32_u32 s3, s2
	s_sub_co_i32 s20, 0, s2
	v_rcp_iflag_f32_e32 v1, s3
	s_delay_alu instid0(TRANS32_DEP_1) | instskip(SKIP_2) | instid1(SALU_CYCLE_2)
	v_readfirstlane_b32 s3, v1
	s_mul_f32 s3, s3, 0x4f7ffffe
	s_wait_alu 0xfffe
	s_cvt_u32_f32 s3, s3
	s_wait_alu 0xfffe
	s_delay_alu instid0(SALU_CYCLE_2) | instskip(NEXT) | instid1(SALU_CYCLE_1)
	s_mul_i32 s20, s20, s3
	s_mul_hi_u32 s20, s3, s20
	s_delay_alu instid0(SALU_CYCLE_1) | instskip(SKIP_4) | instid1(SALU_CYCLE_1)
	s_add_co_i32 s3, s3, s20
	s_wait_alu 0xfffe
	s_mul_hi_u32 s3, s21, s3
	s_wait_alu 0xfffe
	s_mul_i32 s20, s3, s2
	s_sub_co_i32 s20, s21, s20
	s_add_co_i32 s21, s3, 1
	s_sub_co_i32 s22, s20, s2
	s_cmp_ge_u32 s20, s2
	s_cselect_b32 s3, s21, s3
	s_cselect_b32 s20, s22, s20
	s_wait_alu 0xfffe
	s_add_co_i32 s21, s3, 1
	s_cmp_ge_u32 s20, s2
	s_mov_b32 s20, exec_lo
	s_cselect_b32 s2, s21, s3
	s_abs_i32 s28, s6
	s_mul_i32 s6, s19, s8
	s_cvt_f32_u32 s3, s28
	s_mul_i32 s19, s6, s5
	s_wait_alu 0xfffe
	s_delay_alu instid0(SALU_CYCLE_1) | instskip(SKIP_1) | instid1(TRANS32_DEP_1)
	v_rcp_iflag_f32_e32 v1, s3
	s_mov_b32 s3, 0
	v_readfirstlane_b32 s5, v1
	v_cmpx_gt_i32_e64 s19, v0
	s_cbranch_execz .LBB37_28
; %bb.1:
	s_mul_f32 s5, s5, 0x4f7ffffe
	s_xor_b32 s29, ttmp9, s4
	s_sub_co_i32 s30, 0, s28
	s_ashr_i32 s29, s29, 31
	s_cvt_u32_f32 s5, s5
	s_xor_b32 s2, s2, s29
	s_wait_alu 0xfffe
	s_mov_b32 s31, s3
	s_sub_co_i32 s29, s2, s29
	s_mul_i32 s30, s30, s5
	s_abs_i32 s2, s29
	s_mul_hi_u32 s30, s5, s30
	s_load_b512 s[36:51], s[0:1], 0x28
	s_add_co_i32 s30, s5, s30
	s_ashr_i32 s5, s29, 31
	s_mul_u64 s[30:31], s[2:3], s[30:31]
	s_mul_i32 s29, s29, s4
	s_mul_i32 s30, s31, s28
	s_sub_co_i32 s4, ttmp9, s29
	s_sub_co_i32 s2, s2, s30
	s_load_b256 s[20:27], s[0:1], 0x0
	s_sub_co_i32 s29, s2, s28
	s_cmp_ge_u32 s2, s28
	s_load_b64 s[60:61], s[0:1], 0x20
	s_cselect_b32 s2, s29, s2
	s_load_b256 s[52:59], s[0:1], 0x68
	s_sub_co_i32 s29, s2, s28
	s_cmp_ge_u32 s2, s28
	s_cselect_b32 s2, s29, s2
	s_wait_alu 0xfffe
	s_xor_b32 s2, s2, s5
	s_wait_alu 0xfffe
	s_sub_co_i32 s62, s2, s5
	s_ashr_i32 s5, s4, 31
	s_ashr_i32 s63, s62, 31
	s_wait_kmcnt 0x0
	s_mul_u64 s[28:29], s[42:43], s[4:5]
	s_mul_u64 s[30:31], s[44:45], s[62:63]
	s_lshl_b64 s[34:35], s[28:29], 2
	s_lshl_b64 s[42:43], s[30:31], 2
	s_cmp_lt_i32 s17, 1
	v_cmp_neq_f64_e64 s73, s[24:25], 1.0
	v_cmp_neq_f64_e64 s74, s[26:27], 0
	s_cselect_b32 s33, -1, 0
	s_add_co_i32 s15, s4, s15
	s_cmp_gt_i32 s18, 0
	s_load_b32 s2, s[0:1], 0xec
	s_cselect_b32 s64, -1, 0
	s_cmp_gt_i32 s7, 0
	s_clause 0x1
	s_load_b64 s[78:79], s[0:1], 0x98
	s_load_b128 s[28:31], s[0:1], 0x88
	s_cselect_b32 s65, -1, 0
	s_abs_i32 s66, s6
	s_abs_i32 s67, s8
	s_cvt_f32_u32 s4, s66
	s_cvt_f32_u32 s5, s67
	s_abs_i32 s68, s11
	s_add_nc_u64 s[0:1], s[20:21], s[42:43]
	v_rcp_iflag_f32_e32 v1, s4
	v_rcp_iflag_f32_e32 v2, s5
	s_abs_i32 s69, s12
	s_cvt_f32_u32 s20, s68
	s_add_nc_u64 s[4:5], s[0:1], s[34:35]
	s_cvt_f32_u32 s0, s69
	s_ashr_i32 s71, s6, 31
	v_rcp_iflag_f32_e32 v3, s20
	s_sub_co_i32 s20, 0, s67
	v_rcp_iflag_f32_e32 v4, s0
	v_readfirstlane_b32 s0, v1
	v_readfirstlane_b32 s1, v2
	s_wait_kmcnt 0x0
	s_and_b32 s70, s2, 0xffff
	s_sub_co_i32 s2, 0, s66
	s_ashr_i32 s72, s8, 31
	s_mul_f32 s0, s0, 0x4f7ffffe
	s_mul_f32 s1, s1, 0x4f7ffffe
	v_readfirstlane_b32 s21, v3
	s_ashr_i32 s11, s11, 31
	s_wait_alu 0xfffe
	s_cvt_u32_f32 s0, s0
	s_cvt_u32_f32 s1, s1
	v_readfirstlane_b32 s34, v4
	s_mul_f32 s21, s21, 0x4f7ffffe
	s_wait_alu 0xfffe
	s_mul_i32 s2, s2, s0
	s_mul_i32 s20, s20, s1
	s_wait_alu 0xfffe
	s_mul_hi_u32 s2, s0, s2
	s_mul_hi_u32 s20, s1, s20
	s_or_b32 s73, s73, s74
	s_wait_alu 0xfffe
	s_add_co_i32 s74, s0, s2
	s_add_co_i32 s75, s1, s20
	s_cvt_u32_f32 s0, s21
	s_mul_f32 s1, s34, 0x4f7ffffe
	s_sub_co_i32 s2, 0, s68
	s_sub_co_i32 s21, 0, s69
	s_wait_alu 0xfffe
	s_mul_i32 s2, s2, s0
	s_cvt_u32_f32 s1, s1
	s_wait_alu 0xfffe
	s_mul_hi_u32 s2, s0, s2
	s_ashr_i32 s12, s12, 31
	s_wait_alu 0xfffe
	s_add_co_i32 s20, s0, s2
	s_mul_i32 s0, s21, s1
	s_mov_b32 s21, s3
	s_wait_alu 0xfffe
	s_mul_hi_u32 s0, s1, s0
	s_lshl_b64 s[34:35], s[46:47], 2
	s_wait_alu 0xfffe
	s_add_co_i32 s76, s1, s0
	s_mul_u64 s[0:1], s[78:79], s[62:63]
	s_lshl_b64 s[42:43], s[54:55], 2
	s_wait_alu 0xfffe
	s_lshl_b64 s[0:1], s[0:1], 2
	s_lshl_b64 s[44:45], s[50:51], 2
	;; [unrolled: 1-line block ×4, first 2 shown]
	s_wait_alu 0xfffe
	s_add_nc_u64 s[50:51], s[60:61], s[0:1]
	s_lshl_b64 s[52:53], s[58:59], 2
	s_lshl_b64 s[30:31], s[30:31], 2
	;; [unrolled: 1-line block ×4, first 2 shown]
	s_mov_b32 s56, 0
	s_branch .LBB37_3
.LBB37_2:                               ;   in Loop: Header=BB37_3 Depth=1
	s_delay_alu instid0(VALU_DEP_1) | instskip(SKIP_1) | instid1(VALU_DEP_1)
	v_cvt_f32_f64_e32 v1, v[1:2]
	v_add_nc_u32_e32 v0, s70, v0
	v_cmp_le_i32_e32 vcc_lo, s19, v0
	s_or_b32 s56, vcc_lo, s56
	global_store_b32 v[3:4], v1, off
	s_and_not1_b32 exec_lo, exec_lo, s56
	s_cbranch_execz .LBB37_28
.LBB37_3:                               ; =>This Loop Header: Depth=1
                                        ;     Child Loop BB37_8 Depth 2
                                        ;       Child Loop BB37_17 Depth 3
                                        ;         Child Loop BB37_24 Depth 4
	v_sub_nc_u32_e32 v1, 0, v0
	s_mov_b32 s0, -1
	s_delay_alu instid0(VALU_DEP_1) | instskip(NEXT) | instid1(VALU_DEP_1)
	v_max_i32_e32 v1, v0, v1
	v_mul_hi_u32 v2, v1, s74
	s_delay_alu instid0(VALU_DEP_1) | instskip(NEXT) | instid1(VALU_DEP_1)
	v_mul_lo_u32 v3, v2, s66
	v_sub_nc_u32_e32 v1, v1, v3
	v_add_nc_u32_e32 v3, 1, v2
	s_delay_alu instid0(VALU_DEP_2) | instskip(SKIP_2) | instid1(VALU_DEP_2)
	v_subrev_nc_u32_e32 v4, s66, v1
	v_cmp_le_u32_e32 vcc_lo, s66, v1
	s_wait_alu 0xfffd
	v_dual_cndmask_b32 v2, v2, v3 :: v_dual_cndmask_b32 v1, v1, v4
	v_ashrrev_i32_e32 v3, 31, v0
	s_delay_alu instid0(VALU_DEP_2) | instskip(NEXT) | instid1(VALU_DEP_3)
	v_add_nc_u32_e32 v4, 1, v2
	v_cmp_le_u32_e32 vcc_lo, s66, v1
	s_delay_alu instid0(VALU_DEP_3) | instskip(SKIP_1) | instid1(VALU_DEP_3)
	v_xor_b32_e32 v3, s71, v3
	s_wait_alu 0xfffd
	v_cndmask_b32_e32 v1, v2, v4, vcc_lo
	s_delay_alu instid0(VALU_DEP_1) | instskip(NEXT) | instid1(VALU_DEP_1)
	v_xor_b32_e32 v1, v1, v3
	v_sub_nc_u32_e32 v15, v1, v3
	s_delay_alu instid0(VALU_DEP_1) | instskip(NEXT) | instid1(VALU_DEP_1)
	v_mul_lo_u32 v1, v15, s6
	v_sub_nc_u32_e32 v3, v0, v1
	s_delay_alu instid0(VALU_DEP_1) | instskip(NEXT) | instid1(VALU_DEP_1)
	v_sub_nc_u32_e32 v1, 0, v3
	v_max_i32_e32 v1, v3, v1
	s_delay_alu instid0(VALU_DEP_1) | instskip(NEXT) | instid1(VALU_DEP_1)
	v_mul_hi_u32 v2, v1, s75
	v_mul_lo_u32 v4, v2, s67
	s_delay_alu instid0(VALU_DEP_1) | instskip(SKIP_1) | instid1(VALU_DEP_2)
	v_sub_nc_u32_e32 v1, v1, v4
	v_add_nc_u32_e32 v4, 1, v2
	v_subrev_nc_u32_e32 v5, s67, v1
	v_cmp_le_u32_e32 vcc_lo, s67, v1
	s_wait_alu 0xfffd
	s_delay_alu instid0(VALU_DEP_2) | instskip(SKIP_1) | instid1(VALU_DEP_2)
	v_dual_cndmask_b32 v2, v2, v4 :: v_dual_cndmask_b32 v1, v1, v5
	v_ashrrev_i32_e32 v4, 31, v3
	v_add_nc_u32_e32 v5, 1, v2
	s_delay_alu instid0(VALU_DEP_3) | instskip(NEXT) | instid1(VALU_DEP_3)
	v_cmp_le_u32_e32 vcc_lo, s67, v1
	v_xor_b32_e32 v6, s72, v4
	s_wait_alu 0xfffd
	s_delay_alu instid0(VALU_DEP_3) | instskip(SKIP_1) | instid1(VALU_DEP_1)
	v_cndmask_b32_e32 v1, v2, v5, vcc_lo
	s_and_not1_b32 vcc_lo, exec_lo, s33
	v_xor_b32_e32 v1, v1, v6
	s_delay_alu instid0(VALU_DEP_1) | instskip(NEXT) | instid1(VALU_DEP_1)
	v_sub_nc_u32_e32 v17, v1, v6
	v_mul_lo_u32 v5, v17, s8
	v_ashrrev_i32_e32 v19, 31, v17
	s_delay_alu instid0(VALU_DEP_2) | instskip(NEXT) | instid1(VALU_DEP_1)
	v_sub_nc_u32_e32 v16, v3, v5
	v_ashrrev_i32_e32 v18, 31, v16
	s_wait_alu 0xfffe
	s_cbranch_vccnz .LBB37_5
; %bb.4:                                ;   in Loop: Header=BB37_3 Depth=1
	s_mov_b32 s0, 0
.LBB37_5:                               ;   in Loop: Header=BB37_3 Depth=1
	v_mov_b32_e32 v1, 0
	v_mov_b32_e32 v2, 0
	s_wait_alu 0xfffe
	s_and_not1_b32 vcc_lo, exec_lo, s0
	s_wait_alu 0xfffe
	s_cbranch_vccnz .LBB37_26
; %bb.6:                                ;   in Loop: Header=BB37_3 Depth=1
	v_mul_lo_u32 v6, s43, v17
	v_mul_lo_u32 v7, s42, v19
	v_mad_co_u64_u32 v[1:2], null, s42, v17, 0
	v_ashrrev_i32_e32 v8, 31, v5
	v_sub_co_u32 v3, vcc_lo, v3, v5
	v_mul_lo_u32 v9, s53, v17
	v_mul_lo_u32 v10, s52, v19
	s_wait_alu 0xfffd
	v_sub_co_ci_u32_e64 v4, null, v4, v8, vcc_lo
	v_add3_u32 v2, v2, v7, v6
	v_mul_lo_u32 v7, s35, v3
	v_add_nc_u32_e32 v20, s16, v15
	s_delay_alu instid0(VALU_DEP_4)
	v_mul_lo_u32 v8, s34, v4
	s_mov_b32 s57, 0
	v_mad_co_u64_u32 v[5:6], null, s34, v3, v[1:2]
	v_mad_co_u64_u32 v[3:4], null, s52, v17, s[50:51]
	v_mov_b32_e32 v1, 0
	v_mov_b32_e32 v2, 0
	s_delay_alu instid0(VALU_DEP_4) | instskip(SKIP_3) | instid1(VALU_DEP_3)
	v_add3_u32 v6, v7, v6, v8
	v_add_co_u32 v5, vcc_lo, s22, v5
	v_add3_u32 v4, v9, v4, v10
	s_wait_alu 0xfffd
	v_add_co_ci_u32_e64 v6, null, s23, v6, vcc_lo
	s_branch .LBB37_8
.LBB37_7:                               ;   in Loop: Header=BB37_8 Depth=2
	v_add_co_u32 v5, vcc_lo, v5, s44
	s_wait_alu 0xfffd
	v_add_co_ci_u32_e64 v6, null, s45, v6, vcc_lo
	s_add_co_i32 s57, s57, 1
	s_delay_alu instid0(SALU_CYCLE_1)
	s_cmp_eq_u32 s57, s17
	s_cbranch_scc1 .LBB37_26
.LBB37_8:                               ;   Parent Loop BB37_3 Depth=1
                                        ; =>  This Loop Header: Depth=2
                                        ;       Child Loop BB37_17 Depth 3
                                        ;         Child Loop BB37_24 Depth 4
	s_mul_i32 s0, s13, s57
	s_mov_b32 s61, -1
	s_wait_alu 0xfffe
	s_sub_co_i32 s59, s15, s0
	s_mov_b32 s60, 0
	s_cmp_gt_i32 s59, -1
                                        ; implicit-def: $sgpr2
                                        ; implicit-def: $sgpr1
                                        ; implicit-def: $sgpr0
                                        ; implicit-def: $sgpr58
	s_cbranch_scc1 .LBB37_12
; %bb.9:                                ;   in Loop: Header=BB37_8 Depth=2
	s_and_not1_b32 vcc_lo, exec_lo, s61
	s_wait_alu 0xfffe
	s_cbranch_vccz .LBB37_13
.LBB37_10:                              ;   in Loop: Header=BB37_8 Depth=2
	s_and_not1_b32 vcc_lo, exec_lo, s60
	s_mov_b32 s59, 1
	s_wait_alu 0xfffe
	s_cbranch_vccz .LBB37_14
; %bb.11:                               ;   in Loop: Header=BB37_8 Depth=2
	s_and_not1_b32 vcc_lo, exec_lo, s64
	s_wait_alu 0xfffe
	s_cbranch_vccz .LBB37_15
	s_branch .LBB37_7
.LBB37_12:                              ;   in Loop: Header=BB37_8 Depth=2
	s_abs_i32 s2, s59
	s_wait_alu 0xfffe
	s_mul_u64 s[0:1], s[2:3], s[20:21]
	s_wait_alu 0xfffe
	s_mul_i32 s0, s1, s68
	s_wait_alu 0xfffe
	s_sub_co_i32 s0, s2, s0
	s_ashr_i32 s2, s59, 31
	s_wait_alu 0xfffe
	s_sub_co_i32 s58, s0, s68
	s_cmp_ge_u32 s0, s68
	s_cselect_b32 s60, s58, s0
	s_delay_alu instid0(SALU_CYCLE_1) | instskip(SKIP_2) | instid1(SALU_CYCLE_1)
	s_sub_co_i32 s61, s60, s68
	s_cmp_ge_u32 s60, s68
	s_cselect_b32 s60, s61, s60
	s_xor_b32 s60, s60, s2
	s_delay_alu instid0(SALU_CYCLE_1) | instskip(NEXT) | instid1(SALU_CYCLE_1)
	s_sub_co_i32 s60, s60, s2
	s_cmp_lg_u32 s60, 0
	s_cselect_b32 s60, -1, 0
	s_cbranch_execnz .LBB37_10
.LBB37_13:                              ;   in Loop: Header=BB37_8 Depth=2
	s_abs_i32 s2, s59
	s_wait_alu 0xfffe
	s_mul_u64 s[0:1], s[2:3], s[20:21]
	s_wait_alu 0xfffe
	s_mul_i32 s0, s1, s68
	s_wait_alu 0xfffe
	s_sub_co_i32 s0, s2, s0
	s_ashr_i32 s2, s59, 31
	s_wait_alu 0xfffe
	s_sub_co_i32 s58, s0, s68
	s_mov_b32 s59, 1
.LBB37_14:                              ;   in Loop: Header=BB37_8 Depth=2
	s_mov_b32 s59, 0
	s_and_not1_b32 vcc_lo, exec_lo, s64
	s_wait_alu 0xfffe
	s_cbranch_vccnz .LBB37_7
.LBB37_15:                              ;   in Loop: Header=BB37_8 Depth=2
	s_xor_b32 s2, s2, s11
	s_add_co_i32 s60, s1, 1
	s_cmp_ge_u32 s0, s68
	v_dual_mov_b32 v10, v6 :: v_dual_mov_b32 v9, v5
	s_cselect_b32 s1, s60, s1
	s_cselect_b32 s0, s58, s0
	s_wait_alu 0xfffe
	s_add_co_i32 s58, s1, 1
	s_cmp_ge_u32 s0, s68
	s_cselect_b32 s0, s58, s1
	s_wait_alu 0xfffe
	s_xor_b32 s0, s0, s2
	s_wait_alu 0xfffe
	s_sub_co_i32 s0, s0, s2
	s_wait_alu 0xfffe
	v_mad_co_u64_u32 v[7:8], null, s30, s0, v[3:4]
	s_cmp_lt_i32 s0, s9
	s_cselect_b32 s1, s59, 0
	s_ashr_i32 s2, s0, 31
	s_mul_i32 s0, s31, s0
	s_wait_alu 0xfffe
	s_mul_i32 s2, s30, s2
	s_wait_alu 0xfffe
	v_add3_u32 v8, s2, s0, v8
	s_mov_b32 s2, 0
	s_branch .LBB37_17
.LBB37_16:                              ;   in Loop: Header=BB37_17 Depth=3
	v_add_co_u32 v9, vcc_lo, v9, s46
	s_wait_alu 0xfffd
	v_add_co_ci_u32_e64 v10, null, s47, v10, vcc_lo
	s_add_co_i32 s2, s2, 1
	s_wait_alu 0xfffe
	s_cmp_eq_u32 s2, s18
	s_cbranch_scc1 .LBB37_7
.LBB37_17:                              ;   Parent Loop BB37_3 Depth=1
                                        ;     Parent Loop BB37_8 Depth=2
                                        ; =>    This Loop Header: Depth=3
                                        ;         Child Loop BB37_24 Depth 4
	s_wait_alu 0xfffe
	s_mul_i32 s0, s14, s2
	s_wait_alu 0xfffe
	v_subrev_nc_u32_e32 v12, s0, v20
	s_delay_alu instid0(VALU_DEP_1) | instskip(SKIP_3) | instid1(VALU_DEP_4)
	v_sub_nc_u32_e32 v13, 0, v12
	v_cmp_gt_i32_e64 s0, 0, v12
	v_cmp_lt_i32_e32 vcc_lo, -1, v12
	v_ashrrev_i32_e32 v11, 31, v12
	v_max_i32_e32 v12, v12, v13
	s_and_saveexec_b32 s58, vcc_lo
	s_cbranch_execnz .LBB37_20
; %bb.18:                               ;   in Loop: Header=BB37_17 Depth=3
	s_or_b32 exec_lo, exec_lo, s58
	v_mov_b32_e32 v13, 1
	s_and_saveexec_b32 s58, s0
	s_cbranch_execnz .LBB37_21
.LBB37_19:                              ;   in Loop: Header=BB37_17 Depth=3
	s_or_b32 exec_lo, exec_lo, s58
	s_delay_alu instid0(SALU_CYCLE_1)
	s_and_not1_b32 vcc_lo, exec_lo, s65
	s_wait_alu 0xfffe
	s_cbranch_vccz .LBB37_22
	s_branch .LBB37_16
.LBB37_20:                              ;   in Loop: Header=BB37_17 Depth=3
	s_delay_alu instid0(VALU_DEP_1) | instskip(SKIP_1) | instid1(VALU_DEP_1)
	v_mul_hi_u32 v13, v12, s76
	s_and_not1_b32 s0, s0, exec_lo
	v_mul_lo_u32 v13, v13, s69
	s_delay_alu instid0(VALU_DEP_1) | instskip(NEXT) | instid1(VALU_DEP_1)
	v_sub_nc_u32_e32 v13, v12, v13
	v_subrev_nc_u32_e32 v14, s69, v13
	v_cmp_le_u32_e32 vcc_lo, s69, v13
	s_wait_alu 0xfffd
	s_delay_alu instid0(VALU_DEP_2) | instskip(NEXT) | instid1(VALU_DEP_1)
	v_cndmask_b32_e32 v13, v13, v14, vcc_lo
	v_subrev_nc_u32_e32 v14, s69, v13
	v_cmp_le_u32_e32 vcc_lo, s69, v13
	s_wait_alu 0xfffd
	s_delay_alu instid0(VALU_DEP_2) | instskip(NEXT) | instid1(VALU_DEP_1)
	v_cndmask_b32_e32 v13, v13, v14, vcc_lo
	v_xor_b32_e32 v13, v13, v11
	s_delay_alu instid0(VALU_DEP_1) | instskip(NEXT) | instid1(VALU_DEP_1)
	v_sub_nc_u32_e32 v13, v13, v11
	v_cmp_ne_u32_e32 vcc_lo, 0, v13
	s_and_b32 s59, vcc_lo, exec_lo
	s_wait_alu 0xfffe
	s_or_b32 s0, s0, s59
	s_or_b32 exec_lo, exec_lo, s58
	v_mov_b32_e32 v13, 1
	s_wait_alu 0xfffe
	s_and_saveexec_b32 s58, s0
	s_cbranch_execz .LBB37_19
.LBB37_21:                              ;   in Loop: Header=BB37_17 Depth=3
	v_mov_b32_e32 v13, 0
	s_or_b32 exec_lo, exec_lo, s58
	s_delay_alu instid0(SALU_CYCLE_1)
	s_and_not1_b32 vcc_lo, exec_lo, s65
	s_wait_alu 0xfffe
	s_cbranch_vccnz .LBB37_16
.LBB37_22:                              ;   in Loop: Header=BB37_17 Depth=3
	v_mul_hi_u32 v14, v12, s76
	v_xor_b32_e32 v11, s12, v11
	s_mov_b32 s58, s7
	s_delay_alu instid0(VALU_DEP_2) | instskip(NEXT) | instid1(VALU_DEP_1)
	v_mul_lo_u32 v21, v14, s69
	v_sub_nc_u32_e32 v12, v12, v21
	v_add_nc_u32_e32 v21, 1, v14
	s_delay_alu instid0(VALU_DEP_2) | instskip(SKIP_2) | instid1(VALU_DEP_3)
	v_subrev_nc_u32_e32 v22, s69, v12
	v_cmp_le_u32_e32 vcc_lo, s69, v12
	s_wait_alu 0xfffd
	v_cndmask_b32_e32 v14, v14, v21, vcc_lo
	s_delay_alu instid0(VALU_DEP_3) | instskip(NEXT) | instid1(VALU_DEP_2)
	v_cndmask_b32_e32 v12, v12, v22, vcc_lo
	v_add_nc_u32_e32 v21, 1, v14
	s_delay_alu instid0(VALU_DEP_2) | instskip(SKIP_1) | instid1(VALU_DEP_2)
	v_cmp_le_u32_e32 vcc_lo, s69, v12
	s_wait_alu 0xfffd
	v_cndmask_b32_e32 v12, v14, v21, vcc_lo
	s_delay_alu instid0(VALU_DEP_1) | instskip(NEXT) | instid1(VALU_DEP_1)
	v_xor_b32_e32 v12, v12, v11
	v_sub_nc_u32_e32 v11, v12, v11
	s_delay_alu instid0(VALU_DEP_1)
	v_cmp_gt_i32_e32 vcc_lo, s10, v11
	v_ashrrev_i32_e32 v14, 31, v11
	v_mul_lo_u32 v21, s29, v11
	v_mad_co_u64_u32 v[11:12], null, s28, v11, v[7:8]
	s_wait_alu 0xfffd
	v_cndmask_b32_e32 v13, 0, v13, vcc_lo
	v_mul_lo_u32 v14, s28, v14
	s_delay_alu instid0(VALU_DEP_2) | instskip(NEXT) | instid1(VALU_DEP_2)
	v_and_b32_e32 v13, s1, v13
	v_add3_u32 v12, v21, v12, v14
	s_delay_alu instid0(VALU_DEP_2) | instskip(NEXT) | instid1(VALU_DEP_1)
	v_and_b32_e32 v13, 1, v13
	v_cmp_eq_u32_e32 vcc_lo, 1, v13
	v_dual_mov_b32 v14, v10 :: v_dual_mov_b32 v13, v9
	s_branch .LBB37_24
.LBB37_23:                              ;   in Loop: Header=BB37_24 Depth=4
	s_wait_alu 0xfffe
	s_or_b32 exec_lo, exec_lo, s0
	v_add_co_u32 v13, s0, v13, s48
	s_wait_alu 0xf1ff
	v_add_co_ci_u32_e64 v14, null, s49, v14, s0
	v_add_co_u32 v11, s0, v11, s54
	s_wait_alu 0xf1ff
	v_add_co_ci_u32_e64 v12, null, s55, v12, s0
	s_add_co_i32 s58, s58, -1
	s_delay_alu instid0(SALU_CYCLE_1)
	s_cmp_eq_u32 s58, 0
	s_cbranch_scc1 .LBB37_16
.LBB37_24:                              ;   Parent Loop BB37_3 Depth=1
                                        ;     Parent Loop BB37_8 Depth=2
                                        ;       Parent Loop BB37_17 Depth=3
                                        ; =>      This Inner Loop Header: Depth=4
	s_and_saveexec_b32 s0, vcc_lo
	s_cbranch_execz .LBB37_23
; %bb.25:                               ;   in Loop: Header=BB37_24 Depth=4
	global_load_b32 v21, v[11:12], off
	global_load_b32 v23, v[13:14], off
	s_wait_loadcnt 0x1
	v_cvt_f64_f32_e32 v[21:22], v21
	s_wait_loadcnt 0x0
	v_cvt_f64_f32_e32 v[23:24], v23
	s_delay_alu instid0(VALU_DEP_1)
	v_fma_f64 v[1:2], v[21:22], v[23:24], v[1:2]
	s_branch .LBB37_23
.LBB37_26:                              ;   in Loop: Header=BB37_3 Depth=1
	v_ashrrev_i32_e32 v5, 31, v15
	v_mul_lo_u32 v7, s41, v15
	v_mad_co_u64_u32 v[3:4], null, s40, v15, 0
	v_mul_lo_u32 v9, v19, s38
	s_delay_alu instid0(VALU_DEP_4)
	v_mul_lo_u32 v8, s40, v5
	v_mul_lo_u32 v10, v17, s39
	v_mad_co_u64_u32 v[5:6], null, v17, s38, 0
	v_mul_lo_u32 v11, v18, s36
	v_mul_lo_u32 v12, v16, s37
	v_add3_u32 v4, v4, v8, v7
	v_mad_co_u64_u32 v[7:8], null, v16, s36, 0
	v_add3_u32 v6, v6, v10, v9
	s_delay_alu instid0(VALU_DEP_3) | instskip(NEXT) | instid1(VALU_DEP_2)
	v_lshlrev_b64_e32 v[3:4], 2, v[3:4]
	v_lshlrev_b64_e32 v[5:6], 2, v[5:6]
	s_delay_alu instid0(VALU_DEP_4) | instskip(NEXT) | instid1(VALU_DEP_3)
	v_add3_u32 v8, v8, v12, v11
	v_add_co_u32 v9, vcc_lo, s4, v3
	s_wait_alu 0xfffd
	s_delay_alu instid0(VALU_DEP_4) | instskip(NEXT) | instid1(VALU_DEP_3)
	v_add_co_ci_u32_e64 v10, null, s5, v4, vcc_lo
	v_lshlrev_b64_e32 v[3:4], 2, v[7:8]
	s_delay_alu instid0(VALU_DEP_3) | instskip(SKIP_1) | instid1(VALU_DEP_3)
	v_add_co_u32 v5, vcc_lo, v9, v5
	s_wait_alu 0xfffd
	v_add_co_ci_u32_e64 v6, null, v10, v6, vcc_lo
	s_delay_alu instid0(VALU_DEP_2) | instskip(SKIP_1) | instid1(VALU_DEP_2)
	v_add_co_u32 v3, vcc_lo, v5, v3
	s_wait_alu 0xfffd
	v_add_co_ci_u32_e64 v4, null, v6, v4, vcc_lo
	s_and_not1_b32 vcc_lo, exec_lo, s73
	s_wait_alu 0xfffe
	s_cbranch_vccnz .LBB37_2
; %bb.27:                               ;   in Loop: Header=BB37_3 Depth=1
	global_load_b32 v5, v[3:4], off
	s_wait_loadcnt 0x0
	v_cvt_f64_f32_e32 v[5:6], v5
	s_delay_alu instid0(VALU_DEP_1) | instskip(NEXT) | instid1(VALU_DEP_1)
	v_mul_f64_e32 v[5:6], s[26:27], v[5:6]
	v_fma_f64 v[1:2], s[24:25], v[1:2], v[5:6]
	s_branch .LBB37_2
.LBB37_28:
	s_endpgm
	.section	.rodata,"a",@progbits
	.p2align	6, 0x0
	.amdhsa_kernel naive_conv_ab_nonpacked_bwd_nhwc_float_double_float_0
		.amdhsa_group_segment_fixed_size 0
		.amdhsa_private_segment_fixed_size 0
		.amdhsa_kernarg_size 480
		.amdhsa_user_sgpr_count 2
		.amdhsa_user_sgpr_dispatch_ptr 0
		.amdhsa_user_sgpr_queue_ptr 0
		.amdhsa_user_sgpr_kernarg_segment_ptr 1
		.amdhsa_user_sgpr_dispatch_id 0
		.amdhsa_user_sgpr_private_segment_size 0
		.amdhsa_wavefront_size32 1
		.amdhsa_uses_dynamic_stack 0
		.amdhsa_enable_private_segment 0
		.amdhsa_system_sgpr_workgroup_id_x 1
		.amdhsa_system_sgpr_workgroup_id_y 0
		.amdhsa_system_sgpr_workgroup_id_z 0
		.amdhsa_system_sgpr_workgroup_info 0
		.amdhsa_system_vgpr_workitem_id 0
		.amdhsa_next_free_vgpr 25
		.amdhsa_next_free_sgpr 80
		.amdhsa_reserve_vcc 1
		.amdhsa_float_round_mode_32 0
		.amdhsa_float_round_mode_16_64 0
		.amdhsa_float_denorm_mode_32 3
		.amdhsa_float_denorm_mode_16_64 3
		.amdhsa_fp16_overflow 0
		.amdhsa_workgroup_processor_mode 1
		.amdhsa_memory_ordered 1
		.amdhsa_forward_progress 1
		.amdhsa_inst_pref_size 20
		.amdhsa_round_robin_scheduling 0
		.amdhsa_exception_fp_ieee_invalid_op 0
		.amdhsa_exception_fp_denorm_src 0
		.amdhsa_exception_fp_ieee_div_zero 0
		.amdhsa_exception_fp_ieee_overflow 0
		.amdhsa_exception_fp_ieee_underflow 0
		.amdhsa_exception_fp_ieee_inexact 0
		.amdhsa_exception_int_div_zero 0
	.end_amdhsa_kernel
	.text
.Lfunc_end37:
	.size	naive_conv_ab_nonpacked_bwd_nhwc_float_double_float_0, .Lfunc_end37-naive_conv_ab_nonpacked_bwd_nhwc_float_double_float_0
                                        ; -- End function
	.set naive_conv_ab_nonpacked_bwd_nhwc_float_double_float_0.num_vgpr, 25
	.set naive_conv_ab_nonpacked_bwd_nhwc_float_double_float_0.num_agpr, 0
	.set naive_conv_ab_nonpacked_bwd_nhwc_float_double_float_0.numbered_sgpr, 80
	.set naive_conv_ab_nonpacked_bwd_nhwc_float_double_float_0.num_named_barrier, 0
	.set naive_conv_ab_nonpacked_bwd_nhwc_float_double_float_0.private_seg_size, 0
	.set naive_conv_ab_nonpacked_bwd_nhwc_float_double_float_0.uses_vcc, 1
	.set naive_conv_ab_nonpacked_bwd_nhwc_float_double_float_0.uses_flat_scratch, 0
	.set naive_conv_ab_nonpacked_bwd_nhwc_float_double_float_0.has_dyn_sized_stack, 0
	.set naive_conv_ab_nonpacked_bwd_nhwc_float_double_float_0.has_recursion, 0
	.set naive_conv_ab_nonpacked_bwd_nhwc_float_double_float_0.has_indirect_call, 0
	.section	.AMDGPU.csdata,"",@progbits
; Kernel info:
; codeLenInByte = 2480
; TotalNumSgprs: 82
; NumVgprs: 25
; ScratchSize: 0
; MemoryBound: 0
; FloatMode: 240
; IeeeMode: 1
; LDSByteSize: 0 bytes/workgroup (compile time only)
; SGPRBlocks: 0
; VGPRBlocks: 3
; NumSGPRsForWavesPerEU: 82
; NumVGPRsForWavesPerEU: 25
; Occupancy: 16
; WaveLimiterHint : 0
; COMPUTE_PGM_RSRC2:SCRATCH_EN: 0
; COMPUTE_PGM_RSRC2:USER_SGPR: 2
; COMPUTE_PGM_RSRC2:TRAP_HANDLER: 0
; COMPUTE_PGM_RSRC2:TGID_X_EN: 1
; COMPUTE_PGM_RSRC2:TGID_Y_EN: 0
; COMPUTE_PGM_RSRC2:TGID_Z_EN: 0
; COMPUTE_PGM_RSRC2:TIDIG_COMP_CNT: 0
	.text
	.protected	naive_conv_ab_packed_bwd_nhwc_float_double_float_1 ; -- Begin function naive_conv_ab_packed_bwd_nhwc_float_double_float_1
	.globl	naive_conv_ab_packed_bwd_nhwc_float_double_float_1
	.p2align	8
	.type	naive_conv_ab_packed_bwd_nhwc_float_double_float_1,@function
naive_conv_ab_packed_bwd_nhwc_float_double_float_1: ; @naive_conv_ab_packed_bwd_nhwc_float_double_float_1
; %bb.0:
	s_load_b512 s[4:19], s[0:1], 0xa0
	s_abs_i32 s21, ttmp9
	s_mov_b32 s29, 0
	s_wait_kmcnt 0x0
	s_abs_i32 s2, s4
	s_delay_alu instid0(SALU_CYCLE_1) | instskip(SKIP_1) | instid1(SALU_CYCLE_2)
	s_cvt_f32_u32 s3, s2
	s_sub_co_i32 s20, 0, s2
	v_rcp_iflag_f32_e32 v1, s3
	s_delay_alu instid0(TRANS32_DEP_1) | instskip(SKIP_2) | instid1(SALU_CYCLE_2)
	v_readfirstlane_b32 s3, v1
	s_mul_f32 s3, s3, 0x4f7ffffe
	s_wait_alu 0xfffe
	s_cvt_u32_f32 s3, s3
	s_wait_alu 0xfffe
	s_delay_alu instid0(SALU_CYCLE_2) | instskip(NEXT) | instid1(SALU_CYCLE_1)
	s_mul_i32 s20, s20, s3
	s_mul_hi_u32 s20, s3, s20
	s_delay_alu instid0(SALU_CYCLE_1) | instskip(SKIP_4) | instid1(SALU_CYCLE_1)
	s_add_co_i32 s3, s3, s20
	s_wait_alu 0xfffe
	s_mul_hi_u32 s3, s21, s3
	s_wait_alu 0xfffe
	s_mul_i32 s20, s3, s2
	s_sub_co_i32 s20, s21, s20
	s_add_co_i32 s21, s3, 1
	s_sub_co_i32 s22, s20, s2
	s_cmp_ge_u32 s20, s2
	s_cselect_b32 s3, s21, s3
	s_cselect_b32 s20, s22, s20
	s_wait_alu 0xfffe
	s_add_co_i32 s21, s3, 1
	s_cmp_ge_u32 s20, s2
	s_cselect_b32 s28, s21, s3
	s_abs_i32 s3, s6
	s_mov_b32 s21, exec_lo
	s_wait_alu 0xfffe
	s_cvt_f32_u32 s2, s3
	s_wait_alu 0xfffe
	s_delay_alu instid0(SALU_CYCLE_2) | instskip(SKIP_3) | instid1(TRANS32_DEP_1)
	v_rcp_iflag_f32_e32 v1, s2
	s_mul_i32 s2, s19, s8
	s_wait_alu 0xfffe
	s_mul_i32 s6, s2, s5
	v_readfirstlane_b32 s20, v1
	v_cmpx_gt_i32_e64 s6, v0
	s_cbranch_execz .LBB38_28
; %bb.1:
	s_mul_f32 s30, s20, 0x4f7ffffe
	s_xor_b32 s31, ttmp9, s4
	s_sub_co_i32 s33, 0, s3
	s_ashr_i32 s34, s31, 31
	s_cvt_u32_f32 s30, s30
	s_xor_b32 s28, s28, s34
	s_mov_b32 s31, s29
	s_sub_co_i32 s34, s28, s34
	s_mul_i32 s33, s33, s30
	s_abs_i32 s28, s34
	s_mul_hi_u32 s33, s30, s33
	s_load_b256 s[20:27], s[0:1], 0x0
	s_add_co_i32 s30, s30, s33
	s_ashr_i32 s37, s34, 31
	s_mul_u64 s[30:31], s[28:29], s[30:31]
	s_mul_i32 s34, s34, s4
	s_mul_i32 s30, s31, s3
	;; [unrolled: 1-line block ×3, first 2 shown]
	s_sub_co_i32 s28, s28, s30
	s_sub_co_i32 s30, ttmp9, s34
	s_sub_co_i32 s31, s28, s3
	s_cmp_ge_u32 s28, s3
	s_mov_b32 s34, s4
	s_cselect_b32 s19, s31, s28
	s_mov_b32 s36, s5
	s_sub_co_i32 s28, s19, s3
	s_cmp_ge_u32 s19, s3
	s_mov_b32 s40, s17
	s_cselect_b32 s3, s28, s19
	s_ashr_i32 s35, s4, 31
	s_wait_alu 0xfffe
	s_xor_b32 s3, s3, s37
	s_wait_kmcnt 0x0
	v_cmp_neq_f64_e64 s28, s[24:25], 1.0
	s_wait_alu 0xfffe
	s_sub_co_i32 s38, s3, s37
	v_cmp_neq_f64_e64 s42, s[26:27], 0
	s_ashr_i32 s39, s38, 31
	s_ashr_i32 s37, s5, 31
	;; [unrolled: 1-line block ×3, first 2 shown]
	s_mul_u64 s[34:35], s[38:39], s[34:35]
	s_ashr_i32 s31, s30, 31
	s_wait_alu 0xfffe
	s_mul_u64 s[36:37], s[2:3], s[36:37]
	s_add_nc_u64 s[34:35], s[34:35], s[30:31]
	s_ashr_i32 s5, s9, 31
	s_mul_u64 s[34:35], s[36:37], s[34:35]
	s_ashr_i32 s31, s10, 31
	s_ashr_i32 s50, s33, 31
	s_lshl_b64 s[36:37], s[34:35], 2
	s_cmp_lt_i32 s17, 1
	s_mov_b32 s4, s9
	s_cselect_b32 s51, -1, 0
	s_add_co_i32 s15, s30, s15
	s_cmp_gt_i32 s18, 0
	s_mov_b32 s30, s10
	s_cselect_b32 s52, -1, 0
	s_cmp_gt_i32 s7, 0
	s_clause 0x1
	s_load_b64 s[34:35], s[0:1], 0x20
	s_load_b32 s10, s[0:1], 0xec
	s_cselect_b32 s53, -1, 0
	s_abs_i32 s54, s2
	s_abs_i32 s55, s8
	s_cvt_f32_u32 s1, s54
	s_cvt_f32_u32 s9, s55
	s_abs_i32 s56, s11
	s_add_nc_u64 s[20:21], s[20:21], s[36:37]
	v_rcp_iflag_f32_e32 v1, s1
	v_rcp_iflag_f32_e32 v2, s9
	s_cvt_f32_u32 s36, s56
	s_abs_i32 s57, s12
	s_ashr_i32 s19, s18, 31
	s_ashr_i32 s9, s8, 31
	;; [unrolled: 1-line block ×4, first 2 shown]
	s_mov_b32 s0, s7
	s_or_b32 s59, s28, s42
	v_readfirstlane_b32 s37, v1
	v_rcp_iflag_f32_e32 v1, s36
	s_cvt_f32_u32 s36, s57
	v_readfirstlane_b32 s43, v2
	s_wait_kmcnt 0x0
	s_and_b32 s58, s10, 0xffff
	s_mul_f32 s10, s37, 0x4f7ffffe
	s_wait_alu 0xfffe
	v_rcp_iflag_f32_e32 v2, s36
	s_sub_co_i32 s36, 0, s54
	s_mul_f32 s28, s43, 0x4f7ffffe
	s_cvt_u32_f32 s10, s10
	s_sub_co_i32 s42, 0, s55
	v_readfirstlane_b32 s37, v1
	s_cvt_u32_f32 s28, s28
	s_wait_alu 0xfffe
	s_mul_i32 s36, s36, s10
	s_ashr_i32 s1, s7, 31
	s_wait_alu 0xfffe
	s_mul_hi_u32 s36, s10, s36
	v_readfirstlane_b32 s43, v2
	s_mul_i32 s42, s42, s28
	s_mul_f32 s37, s37, 0x4f7ffffe
	s_mul_hi_u32 s42, s28, s42
	s_wait_alu 0xfffe
	s_add_co_i32 s60, s10, s36
	s_add_co_i32 s61, s28, s42
	s_cvt_u32_f32 s10, s37
	s_mul_f32 s28, s43, 0x4f7ffffe
	s_sub_co_i32 s36, 0, s56
	s_mul_u64 s[42:43], s[18:19], s[8:9]
	s_wait_alu 0xfffe
	s_mul_i32 s36, s36, s10
	s_cvt_u32_f32 s28, s28
	s_wait_alu 0xfffe
	s_mul_hi_u32 s11, s10, s36
	s_sub_co_i32 s36, 0, s57
	s_mul_u64 s[44:45], s[30:31], s[4:5]
	s_wait_alu 0xfffe
	s_mul_i32 s36, s36, s28
	s_mul_u64 s[46:47], s[42:43], s[40:41]
	s_wait_alu 0xfffe
	s_mul_hi_u32 s36, s28, s36
	s_ashr_i32 s5, s12, 31
	s_wait_alu 0xfffe
	s_add_co_i32 s12, s28, s36
	s_lshl_b64 s[36:37], s[0:1], 2
	s_mul_u64 s[38:39], s[44:45], s[38:39]
	s_mul_u64 s[0:1], s[46:47], s[0:1]
	s_add_co_i32 s10, s10, s11
	s_mov_b32 s11, s29
	s_lshl_b64 s[38:39], s[38:39], 2
	s_wait_alu 0xfffe
	s_lshl_b64 s[40:41], s[0:1], 2
	s_lshl_b64 s[42:43], s[42:43], 2
	;; [unrolled: 1-line block ×4, first 2 shown]
	s_mov_b32 s19, 0
	s_branch .LBB38_3
.LBB38_2:                               ;   in Loop: Header=BB38_3 Depth=1
	s_delay_alu instid0(VALU_DEP_1) | instskip(SKIP_1) | instid1(VALU_DEP_1)
	v_cvt_f32_f64_e32 v3, v[3:4]
	v_add_nc_u32_e32 v0, s58, v0
	v_cmp_le_i32_e32 vcc_lo, s6, v0
	s_or_b32 s19, vcc_lo, s19
	global_store_b32 v[1:2], v3, off
	s_and_not1_b32 exec_lo, exec_lo, s19
	s_cbranch_execz .LBB38_28
.LBB38_3:                               ; =>This Loop Header: Depth=1
                                        ;     Child Loop BB38_8 Depth 2
                                        ;       Child Loop BB38_17 Depth 3
                                        ;         Child Loop BB38_24 Depth 4
	v_sub_nc_u32_e32 v1, 0, v0
	s_mov_b32 s0, -1
	s_delay_alu instid0(VALU_DEP_1) | instskip(NEXT) | instid1(VALU_DEP_1)
	v_max_i32_e32 v1, v0, v1
	v_mul_hi_u32 v2, v1, s60
	s_delay_alu instid0(VALU_DEP_1) | instskip(NEXT) | instid1(VALU_DEP_1)
	v_mul_lo_u32 v3, v2, s54
	v_sub_nc_u32_e32 v1, v1, v3
	v_add_nc_u32_e32 v3, 1, v2
	s_delay_alu instid0(VALU_DEP_2) | instskip(SKIP_2) | instid1(VALU_DEP_2)
	v_subrev_nc_u32_e32 v4, s54, v1
	v_cmp_le_u32_e32 vcc_lo, s54, v1
	s_wait_alu 0xfffd
	v_dual_cndmask_b32 v2, v2, v3 :: v_dual_cndmask_b32 v1, v1, v4
	v_ashrrev_i32_e32 v3, 31, v0
	s_delay_alu instid0(VALU_DEP_2) | instskip(NEXT) | instid1(VALU_DEP_3)
	v_add_nc_u32_e32 v4, 1, v2
	v_cmp_le_u32_e32 vcc_lo, s54, v1
	s_delay_alu instid0(VALU_DEP_3) | instskip(SKIP_1) | instid1(VALU_DEP_3)
	v_xor_b32_e32 v3, s3, v3
	s_wait_alu 0xfffd
	v_cndmask_b32_e32 v1, v2, v4, vcc_lo
	s_delay_alu instid0(VALU_DEP_1) | instskip(NEXT) | instid1(VALU_DEP_1)
	v_xor_b32_e32 v1, v1, v3
	v_sub_nc_u32_e32 v15, v1, v3
	s_delay_alu instid0(VALU_DEP_1) | instskip(NEXT) | instid1(VALU_DEP_1)
	v_mul_lo_u32 v1, v15, s2
	v_sub_nc_u32_e32 v5, v0, v1
	s_delay_alu instid0(VALU_DEP_1) | instskip(SKIP_1) | instid1(VALU_DEP_2)
	v_sub_nc_u32_e32 v1, 0, v5
	v_ashrrev_i32_e32 v6, 31, v5
	v_max_i32_e32 v1, v5, v1
	s_delay_alu instid0(VALU_DEP_1) | instskip(NEXT) | instid1(VALU_DEP_1)
	v_mul_hi_u32 v2, v1, s61
	v_mul_lo_u32 v3, v2, s55
	s_delay_alu instid0(VALU_DEP_1) | instskip(SKIP_1) | instid1(VALU_DEP_2)
	v_sub_nc_u32_e32 v1, v1, v3
	v_add_nc_u32_e32 v3, 1, v2
	v_subrev_nc_u32_e32 v4, s55, v1
	v_cmp_le_u32_e32 vcc_lo, s55, v1
	s_wait_alu 0xfffd
	s_delay_alu instid0(VALU_DEP_2) | instskip(SKIP_1) | instid1(VALU_DEP_2)
	v_dual_cndmask_b32 v2, v2, v3 :: v_dual_cndmask_b32 v1, v1, v4
	v_xor_b32_e32 v4, s9, v6
	v_add_nc_u32_e32 v3, 1, v2
	s_delay_alu instid0(VALU_DEP_3) | instskip(SKIP_1) | instid1(VALU_DEP_2)
	v_cmp_le_u32_e32 vcc_lo, s55, v1
	s_wait_alu 0xfffd
	v_cndmask_b32_e32 v1, v2, v3, vcc_lo
	s_and_not1_b32 vcc_lo, exec_lo, s51
	s_delay_alu instid0(VALU_DEP_1) | instskip(NEXT) | instid1(VALU_DEP_1)
	v_xor_b32_e32 v1, v1, v4
	v_sub_nc_u32_e32 v16, v1, v4
	s_delay_alu instid0(VALU_DEP_1) | instskip(SKIP_1) | instid1(VALU_DEP_2)
	v_mul_lo_u32 v7, v16, s8
	v_ashrrev_i32_e32 v17, 31, v16
	v_sub_nc_u32_e32 v1, v5, v7
	s_delay_alu instid0(VALU_DEP_1)
	v_ashrrev_i32_e32 v2, 31, v1
	s_wait_alu 0xfffe
	s_cbranch_vccnz .LBB38_5
; %bb.4:                                ;   in Loop: Header=BB38_3 Depth=1
	s_mov_b32 s0, 0
.LBB38_5:                               ;   in Loop: Header=BB38_3 Depth=1
	v_mov_b32_e32 v3, 0
	v_mov_b32_e32 v4, 0
	s_wait_alu 0xfffe
	s_and_not1_b32 vcc_lo, exec_lo, s0
	s_wait_alu 0xfffe
	s_cbranch_vccnz .LBB38_26
; %bb.6:                                ;   in Loop: Header=BB38_3 Depth=1
	v_lshlrev_b64_e32 v[3:4], 2, v[5:6]
	v_mul_lo_u32 v10, s41, v16
	v_mul_lo_u32 v11, s40, v17
	v_ashrrev_i32_e32 v8, 31, v7
	v_mad_co_u64_u32 v[5:6], null, s36, v16, s[34:35]
	v_mad_co_u64_u32 v[3:4], null, s40, v16, v[3:4]
	s_delay_alu instid0(VALU_DEP_3)
	v_lshlrev_b64_e32 v[7:8], 2, v[7:8]
	v_mul_lo_u32 v9, s37, v16
	v_mul_lo_u32 v12, s36, v17
	v_add_nc_u32_e32 v18, s16, v15
	s_mov_b32 s63, 0
	v_add3_u32 v4, v10, v4, v11
	v_sub_co_u32 v7, vcc_lo, v3, v7
	s_delay_alu instid0(VALU_DEP_4) | instskip(SKIP_1) | instid1(VALU_DEP_3)
	v_add3_u32 v6, v9, v6, v12
	s_wait_alu 0xfffd
	v_sub_co_ci_u32_e64 v8, null, v4, v8, vcc_lo
	s_delay_alu instid0(VALU_DEP_3)
	v_add_co_u32 v7, vcc_lo, s22, v7
	v_mov_b32_e32 v3, 0
	v_mov_b32_e32 v4, 0
	s_wait_alu 0xfffd
	v_add_co_ci_u32_e64 v8, null, s23, v8, vcc_lo
	s_branch .LBB38_8
.LBB38_7:                               ;   in Loop: Header=BB38_8 Depth=2
	v_add_co_u32 v7, vcc_lo, v7, s42
	s_wait_alu 0xfffd
	v_add_co_ci_u32_e64 v8, null, s43, v8, vcc_lo
	s_add_co_i32 s63, s63, 1
	s_delay_alu instid0(SALU_CYCLE_1)
	s_cmp_eq_u32 s63, s17
	s_cbranch_scc1 .LBB38_26
.LBB38_8:                               ;   Parent Loop BB38_3 Depth=1
                                        ; =>  This Loop Header: Depth=2
                                        ;       Child Loop BB38_17 Depth 3
                                        ;         Child Loop BB38_24 Depth 4
	s_mul_i32 s0, s13, s63
	s_mov_b32 s65, -1
	s_wait_alu 0xfffe
	s_sub_co_i32 s49, s15, s0
	s_mov_b32 s64, 0
	s_wait_alu 0xfffe
	s_cmp_gt_i32 s49, -1
                                        ; implicit-def: $sgpr28
                                        ; implicit-def: $sgpr1
                                        ; implicit-def: $sgpr0
                                        ; implicit-def: $sgpr48
	s_cbranch_scc1 .LBB38_12
; %bb.9:                                ;   in Loop: Header=BB38_8 Depth=2
	s_and_not1_b32 vcc_lo, exec_lo, s65
	s_wait_alu 0xfffe
	s_cbranch_vccz .LBB38_13
.LBB38_10:                              ;   in Loop: Header=BB38_8 Depth=2
	s_and_not1_b32 vcc_lo, exec_lo, s64
	s_mov_b32 s49, 1
	s_wait_alu 0xfffe
	s_cbranch_vccz .LBB38_14
; %bb.11:                               ;   in Loop: Header=BB38_8 Depth=2
	s_and_not1_b32 vcc_lo, exec_lo, s52
	s_wait_alu 0xfffe
	s_cbranch_vccz .LBB38_15
	s_branch .LBB38_7
.LBB38_12:                              ;   in Loop: Header=BB38_8 Depth=2
	s_abs_i32 s28, s49
	s_delay_alu instid0(SALU_CYCLE_1)
	s_mul_u64 s[0:1], s[28:29], s[10:11]
	s_wait_alu 0xfffe
	s_mul_i32 s0, s1, s56
	s_wait_alu 0xfffe
	s_sub_co_i32 s0, s28, s0
	s_ashr_i32 s28, s49, 31
	s_wait_alu 0xfffe
	s_sub_co_i32 s48, s0, s56
	s_cmp_ge_u32 s0, s56
	s_wait_alu 0xfffe
	s_cselect_b32 s64, s48, s0
	s_delay_alu instid0(SALU_CYCLE_1) | instskip(SKIP_2) | instid1(SALU_CYCLE_1)
	s_sub_co_i32 s65, s64, s56
	s_cmp_ge_u32 s64, s56
	s_cselect_b32 s64, s65, s64
	s_xor_b32 s64, s64, s28
	s_delay_alu instid0(SALU_CYCLE_1) | instskip(NEXT) | instid1(SALU_CYCLE_1)
	s_sub_co_i32 s64, s64, s28
	s_cmp_lg_u32 s64, 0
	s_cselect_b32 s64, -1, 0
	s_cbranch_execnz .LBB38_10
.LBB38_13:                              ;   in Loop: Header=BB38_8 Depth=2
	s_abs_i32 s28, s49
	s_delay_alu instid0(SALU_CYCLE_1)
	s_mul_u64 s[0:1], s[28:29], s[10:11]
	s_wait_alu 0xfffe
	s_mul_i32 s0, s1, s56
	s_wait_alu 0xfffe
	s_sub_co_i32 s0, s28, s0
	s_ashr_i32 s28, s49, 31
	s_wait_alu 0xfffe
	s_sub_co_i32 s48, s0, s56
	s_mov_b32 s49, 1
.LBB38_14:                              ;   in Loop: Header=BB38_8 Depth=2
	s_mov_b32 s49, 0
	s_and_not1_b32 vcc_lo, exec_lo, s52
	s_wait_alu 0xfffe
	s_cbranch_vccnz .LBB38_7
.LBB38_15:                              ;   in Loop: Header=BB38_8 Depth=2
	s_xor_b32 s28, s28, s62
	s_add_co_i32 s64, s1, 1
	s_cmp_ge_u32 s0, s56
	v_dual_mov_b32 v10, v8 :: v_dual_mov_b32 v9, v7
	s_cselect_b32 s1, s64, s1
	s_cselect_b32 s0, s48, s0
	s_wait_alu 0xfffe
	s_add_co_i32 s48, s1, 1
	s_cmp_ge_u32 s0, s56
	s_wait_alu 0xfffe
	s_cselect_b32 s0, s48, s1
	s_wait_alu 0xfffe
	s_xor_b32 s0, s0, s28
	s_wait_alu 0xfffe
	s_sub_co_i32 s48, s0, s28
	s_mov_b32 s28, 0
	s_wait_alu 0xfffe
	s_cmp_lt_i32 s48, s4
	s_cselect_b32 s1, s49, 0
	s_ashr_i32 s49, s48, 31
	s_wait_alu 0xfffe
	s_mul_u64 s[48:49], s[48:49], s[30:31]
	s_branch .LBB38_17
.LBB38_16:                              ;   in Loop: Header=BB38_17 Depth=3
	v_add_co_u32 v9, vcc_lo, v9, s44
	s_wait_alu 0xfffd
	v_add_co_ci_u32_e64 v10, null, s45, v10, vcc_lo
	s_add_co_i32 s28, s28, 1
	s_delay_alu instid0(SALU_CYCLE_1)
	s_cmp_eq_u32 s28, s18
	s_cbranch_scc1 .LBB38_7
.LBB38_17:                              ;   Parent Loop BB38_3 Depth=1
                                        ;     Parent Loop BB38_8 Depth=2
                                        ; =>    This Loop Header: Depth=3
                                        ;         Child Loop BB38_24 Depth 4
	s_mul_i32 s0, s14, s28
	s_wait_alu 0xfffe
	v_subrev_nc_u32_e32 v12, s0, v18
	s_delay_alu instid0(VALU_DEP_1) | instskip(SKIP_3) | instid1(VALU_DEP_4)
	v_sub_nc_u32_e32 v13, 0, v12
	v_cmp_gt_i32_e64 s0, 0, v12
	v_cmp_lt_i32_e32 vcc_lo, -1, v12
	v_ashrrev_i32_e32 v11, 31, v12
	v_max_i32_e32 v12, v12, v13
	s_and_saveexec_b32 s64, vcc_lo
	s_cbranch_execnz .LBB38_20
; %bb.18:                               ;   in Loop: Header=BB38_17 Depth=3
	s_or_b32 exec_lo, exec_lo, s64
	v_mov_b32_e32 v13, 1
	s_and_saveexec_b32 s64, s0
	s_cbranch_execnz .LBB38_21
.LBB38_19:                              ;   in Loop: Header=BB38_17 Depth=3
	s_or_b32 exec_lo, exec_lo, s64
	s_delay_alu instid0(SALU_CYCLE_1)
	s_and_not1_b32 vcc_lo, exec_lo, s53
	s_wait_alu 0xfffe
	s_cbranch_vccz .LBB38_22
	s_branch .LBB38_16
.LBB38_20:                              ;   in Loop: Header=BB38_17 Depth=3
	s_delay_alu instid0(VALU_DEP_1) | instskip(SKIP_1) | instid1(VALU_DEP_1)
	v_mul_hi_u32 v13, v12, s12
	s_and_not1_b32 s0, s0, exec_lo
	v_mul_lo_u32 v13, v13, s57
	s_delay_alu instid0(VALU_DEP_1) | instskip(NEXT) | instid1(VALU_DEP_1)
	v_sub_nc_u32_e32 v13, v12, v13
	v_subrev_nc_u32_e32 v14, s57, v13
	v_cmp_le_u32_e32 vcc_lo, s57, v13
	s_wait_alu 0xfffd
	s_delay_alu instid0(VALU_DEP_2) | instskip(NEXT) | instid1(VALU_DEP_1)
	v_cndmask_b32_e32 v13, v13, v14, vcc_lo
	v_subrev_nc_u32_e32 v14, s57, v13
	v_cmp_le_u32_e32 vcc_lo, s57, v13
	s_wait_alu 0xfffd
	s_delay_alu instid0(VALU_DEP_2) | instskip(NEXT) | instid1(VALU_DEP_1)
	v_cndmask_b32_e32 v13, v13, v14, vcc_lo
	v_xor_b32_e32 v13, v13, v11
	s_delay_alu instid0(VALU_DEP_1) | instskip(NEXT) | instid1(VALU_DEP_1)
	v_sub_nc_u32_e32 v13, v13, v11
	v_cmp_ne_u32_e32 vcc_lo, 0, v13
	s_and_b32 s65, vcc_lo, exec_lo
	s_wait_alu 0xfffe
	s_or_b32 s0, s0, s65
	s_or_b32 exec_lo, exec_lo, s64
	v_mov_b32_e32 v13, 1
	s_wait_alu 0xfffe
	s_and_saveexec_b32 s64, s0
	s_cbranch_execz .LBB38_19
.LBB38_21:                              ;   in Loop: Header=BB38_17 Depth=3
	v_mov_b32_e32 v13, 0
	s_or_b32 exec_lo, exec_lo, s64
	s_delay_alu instid0(SALU_CYCLE_1)
	s_and_not1_b32 vcc_lo, exec_lo, s53
	s_wait_alu 0xfffe
	s_cbranch_vccnz .LBB38_16
.LBB38_22:                              ;   in Loop: Header=BB38_17 Depth=3
	v_mul_hi_u32 v14, v12, s12
	v_xor_b32_e32 v11, s5, v11
	s_mov_b32 s64, s7
	s_delay_alu instid0(VALU_DEP_2) | instskip(NEXT) | instid1(VALU_DEP_1)
	v_mul_lo_u32 v19, v14, s57
	v_sub_nc_u32_e32 v12, v12, v19
	s_delay_alu instid0(VALU_DEP_1) | instskip(SKIP_2) | instid1(VALU_DEP_2)
	v_subrev_nc_u32_e32 v20, s57, v12
	v_cmp_le_u32_e32 vcc_lo, s57, v12
	s_wait_alu 0xfffd
	v_dual_cndmask_b32 v12, v12, v20 :: v_dual_add_nc_u32 v19, 1, v14
	s_delay_alu instid0(VALU_DEP_1) | instskip(NEXT) | instid1(VALU_DEP_2)
	v_cndmask_b32_e32 v14, v14, v19, vcc_lo
	v_cmp_le_u32_e32 vcc_lo, s57, v12
	s_delay_alu instid0(VALU_DEP_2) | instskip(SKIP_1) | instid1(VALU_DEP_1)
	v_add_nc_u32_e32 v19, 1, v14
	s_wait_alu 0xfffd
	v_cndmask_b32_e32 v12, v14, v19, vcc_lo
	s_delay_alu instid0(VALU_DEP_1) | instskip(NEXT) | instid1(VALU_DEP_1)
	v_xor_b32_e32 v12, v12, v11
	v_sub_nc_u32_e32 v14, v12, v11
	s_delay_alu instid0(VALU_DEP_1) | instskip(SKIP_2) | instid1(VALU_DEP_2)
	v_ashrrev_i32_e32 v12, 31, v14
	v_add_co_u32 v11, vcc_lo, s48, v14
	s_wait_alu 0xfffd
	v_add_co_ci_u32_e64 v12, null, s49, v12, vcc_lo
	v_cmp_gt_i32_e32 vcc_lo, s30, v14
	s_delay_alu instid0(VALU_DEP_2) | instskip(SKIP_2) | instid1(VALU_DEP_2)
	v_lshlrev_b64_e32 v[11:12], 2, v[11:12]
	s_wait_alu 0xfffd
	v_cndmask_b32_e32 v13, 0, v13, vcc_lo
	v_add_co_u32 v11, vcc_lo, s38, v11
	s_wait_alu 0xfffd
	s_delay_alu instid0(VALU_DEP_3) | instskip(NEXT) | instid1(VALU_DEP_3)
	v_add_co_ci_u32_e64 v12, null, s39, v12, vcc_lo
	v_and_b32_e32 v13, s1, v13
	s_delay_alu instid0(VALU_DEP_3) | instskip(NEXT) | instid1(VALU_DEP_3)
	v_mul_lo_u32 v19, s50, v11
	v_mul_lo_u32 v14, s33, v12
	v_mad_co_u64_u32 v[11:12], null, s33, v11, v[5:6]
	s_delay_alu instid0(VALU_DEP_4) | instskip(NEXT) | instid1(VALU_DEP_1)
	v_and_b32_e32 v13, 1, v13
	v_cmp_eq_u32_e32 vcc_lo, 1, v13
	s_delay_alu instid0(VALU_DEP_3)
	v_add3_u32 v12, v19, v12, v14
	v_dual_mov_b32 v14, v10 :: v_dual_mov_b32 v13, v9
	s_branch .LBB38_24
.LBB38_23:                              ;   in Loop: Header=BB38_24 Depth=4
	s_wait_alu 0xfffe
	s_or_b32 exec_lo, exec_lo, s0
	v_add_co_u32 v11, s0, v11, 4
	s_wait_alu 0xf1ff
	v_add_co_ci_u32_e64 v12, null, 0, v12, s0
	v_add_co_u32 v13, s0, v13, s46
	s_wait_alu 0xf1ff
	v_add_co_ci_u32_e64 v14, null, s47, v14, s0
	s_add_co_i32 s64, s64, -1
	s_delay_alu instid0(SALU_CYCLE_1)
	s_cmp_eq_u32 s64, 0
	s_cbranch_scc1 .LBB38_16
.LBB38_24:                              ;   Parent Loop BB38_3 Depth=1
                                        ;     Parent Loop BB38_8 Depth=2
                                        ;       Parent Loop BB38_17 Depth=3
                                        ; =>      This Inner Loop Header: Depth=4
	s_and_saveexec_b32 s0, vcc_lo
	s_cbranch_execz .LBB38_23
; %bb.25:                               ;   in Loop: Header=BB38_24 Depth=4
	global_load_b32 v19, v[11:12], off
	global_load_b32 v20, v[13:14], off
	s_wait_loadcnt 0x1
	v_and_b32_e32 v19, 0xffffe000, v19
	s_wait_loadcnt 0x0
	v_and_b32_e32 v21, 0xffffe000, v20
	s_delay_alu instid0(VALU_DEP_2) | instskip(NEXT) | instid1(VALU_DEP_2)
	v_cvt_f64_f32_e32 v[19:20], v19
	v_cvt_f64_f32_e32 v[21:22], v21
	s_delay_alu instid0(VALU_DEP_1)
	v_fma_f64 v[3:4], v[19:20], v[21:22], v[3:4]
	s_branch .LBB38_23
.LBB38_26:                              ;   in Loop: Header=BB38_3 Depth=1
	v_mul_lo_u32 v9, v17, s8
	v_mul_lo_u32 v10, v16, s9
	v_mad_co_u64_u32 v[5:6], null, v16, s8, 0
	v_mad_co_i64_i32 v[7:8], null, v15, s2, 0
	v_lshlrev_b64_e32 v[1:2], 2, v[1:2]
	s_delay_alu instid0(VALU_DEP_3) | instskip(NEXT) | instid1(VALU_DEP_3)
	v_add3_u32 v6, v6, v10, v9
	v_lshlrev_b64_e32 v[7:8], 2, v[7:8]
	s_delay_alu instid0(VALU_DEP_2) | instskip(NEXT) | instid1(VALU_DEP_2)
	v_lshlrev_b64_e32 v[5:6], 2, v[5:6]
	v_add_co_u32 v7, vcc_lo, s20, v7
	s_wait_alu 0xfffd
	s_delay_alu instid0(VALU_DEP_3) | instskip(NEXT) | instid1(VALU_DEP_2)
	v_add_co_ci_u32_e64 v8, null, s21, v8, vcc_lo
	v_add_co_u32 v5, vcc_lo, v7, v5
	s_wait_alu 0xfffd
	s_delay_alu instid0(VALU_DEP_2) | instskip(NEXT) | instid1(VALU_DEP_2)
	v_add_co_ci_u32_e64 v6, null, v8, v6, vcc_lo
	v_add_co_u32 v1, vcc_lo, v5, v1
	s_wait_alu 0xfffd
	s_delay_alu instid0(VALU_DEP_2)
	v_add_co_ci_u32_e64 v2, null, v6, v2, vcc_lo
	s_and_not1_b32 vcc_lo, exec_lo, s59
	s_wait_alu 0xfffe
	s_cbranch_vccnz .LBB38_2
; %bb.27:                               ;   in Loop: Header=BB38_3 Depth=1
	global_load_b32 v5, v[1:2], off
	s_wait_loadcnt 0x0
	v_cvt_f64_f32_e32 v[5:6], v5
	s_delay_alu instid0(VALU_DEP_1) | instskip(NEXT) | instid1(VALU_DEP_1)
	v_mul_f64_e32 v[5:6], s[26:27], v[5:6]
	v_fma_f64 v[3:4], s[24:25], v[3:4], v[5:6]
	s_branch .LBB38_2
.LBB38_28:
	s_endpgm
	.section	.rodata,"a",@progbits
	.p2align	6, 0x0
	.amdhsa_kernel naive_conv_ab_packed_bwd_nhwc_float_double_float_1
		.amdhsa_group_segment_fixed_size 0
		.amdhsa_private_segment_fixed_size 0
		.amdhsa_kernarg_size 480
		.amdhsa_user_sgpr_count 2
		.amdhsa_user_sgpr_dispatch_ptr 0
		.amdhsa_user_sgpr_queue_ptr 0
		.amdhsa_user_sgpr_kernarg_segment_ptr 1
		.amdhsa_user_sgpr_dispatch_id 0
		.amdhsa_user_sgpr_private_segment_size 0
		.amdhsa_wavefront_size32 1
		.amdhsa_uses_dynamic_stack 0
		.amdhsa_enable_private_segment 0
		.amdhsa_system_sgpr_workgroup_id_x 1
		.amdhsa_system_sgpr_workgroup_id_y 0
		.amdhsa_system_sgpr_workgroup_id_z 0
		.amdhsa_system_sgpr_workgroup_info 0
		.amdhsa_system_vgpr_workitem_id 0
		.amdhsa_next_free_vgpr 23
		.amdhsa_next_free_sgpr 66
		.amdhsa_reserve_vcc 1
		.amdhsa_float_round_mode_32 0
		.amdhsa_float_round_mode_16_64 0
		.amdhsa_float_denorm_mode_32 3
		.amdhsa_float_denorm_mode_16_64 3
		.amdhsa_fp16_overflow 0
		.amdhsa_workgroup_processor_mode 1
		.amdhsa_memory_ordered 1
		.amdhsa_forward_progress 1
		.amdhsa_inst_pref_size 20
		.amdhsa_round_robin_scheduling 0
		.amdhsa_exception_fp_ieee_invalid_op 0
		.amdhsa_exception_fp_denorm_src 0
		.amdhsa_exception_fp_ieee_div_zero 0
		.amdhsa_exception_fp_ieee_overflow 0
		.amdhsa_exception_fp_ieee_underflow 0
		.amdhsa_exception_fp_ieee_inexact 0
		.amdhsa_exception_int_div_zero 0
	.end_amdhsa_kernel
	.text
.Lfunc_end38:
	.size	naive_conv_ab_packed_bwd_nhwc_float_double_float_1, .Lfunc_end38-naive_conv_ab_packed_bwd_nhwc_float_double_float_1
                                        ; -- End function
	.set naive_conv_ab_packed_bwd_nhwc_float_double_float_1.num_vgpr, 23
	.set naive_conv_ab_packed_bwd_nhwc_float_double_float_1.num_agpr, 0
	.set naive_conv_ab_packed_bwd_nhwc_float_double_float_1.numbered_sgpr, 66
	.set naive_conv_ab_packed_bwd_nhwc_float_double_float_1.num_named_barrier, 0
	.set naive_conv_ab_packed_bwd_nhwc_float_double_float_1.private_seg_size, 0
	.set naive_conv_ab_packed_bwd_nhwc_float_double_float_1.uses_vcc, 1
	.set naive_conv_ab_packed_bwd_nhwc_float_double_float_1.uses_flat_scratch, 0
	.set naive_conv_ab_packed_bwd_nhwc_float_double_float_1.has_dyn_sized_stack, 0
	.set naive_conv_ab_packed_bwd_nhwc_float_double_float_1.has_recursion, 0
	.set naive_conv_ab_packed_bwd_nhwc_float_double_float_1.has_indirect_call, 0
	.section	.AMDGPU.csdata,"",@progbits
; Kernel info:
; codeLenInByte = 2484
; TotalNumSgprs: 68
; NumVgprs: 23
; ScratchSize: 0
; MemoryBound: 0
; FloatMode: 240
; IeeeMode: 1
; LDSByteSize: 0 bytes/workgroup (compile time only)
; SGPRBlocks: 0
; VGPRBlocks: 2
; NumSGPRsForWavesPerEU: 68
; NumVGPRsForWavesPerEU: 23
; Occupancy: 16
; WaveLimiterHint : 0
; COMPUTE_PGM_RSRC2:SCRATCH_EN: 0
; COMPUTE_PGM_RSRC2:USER_SGPR: 2
; COMPUTE_PGM_RSRC2:TRAP_HANDLER: 0
; COMPUTE_PGM_RSRC2:TGID_X_EN: 1
; COMPUTE_PGM_RSRC2:TGID_Y_EN: 0
; COMPUTE_PGM_RSRC2:TGID_Z_EN: 0
; COMPUTE_PGM_RSRC2:TIDIG_COMP_CNT: 0
	.text
	.protected	naive_conv_ab_nonpacked_bwd_nhwc_float_double_float_1 ; -- Begin function naive_conv_ab_nonpacked_bwd_nhwc_float_double_float_1
	.globl	naive_conv_ab_nonpacked_bwd_nhwc_float_double_float_1
	.p2align	8
	.type	naive_conv_ab_nonpacked_bwd_nhwc_float_double_float_1,@function
naive_conv_ab_nonpacked_bwd_nhwc_float_double_float_1: ; @naive_conv_ab_nonpacked_bwd_nhwc_float_double_float_1
; %bb.0:
	s_load_b512 s[4:19], s[0:1], 0xa0
	s_abs_i32 s21, ttmp9
	s_wait_kmcnt 0x0
	s_abs_i32 s2, s4
	s_delay_alu instid0(SALU_CYCLE_1) | instskip(SKIP_1) | instid1(SALU_CYCLE_2)
	s_cvt_f32_u32 s3, s2
	s_sub_co_i32 s20, 0, s2
	v_rcp_iflag_f32_e32 v1, s3
	s_delay_alu instid0(TRANS32_DEP_1) | instskip(SKIP_2) | instid1(SALU_CYCLE_2)
	v_readfirstlane_b32 s3, v1
	s_mul_f32 s3, s3, 0x4f7ffffe
	s_wait_alu 0xfffe
	s_cvt_u32_f32 s3, s3
	s_wait_alu 0xfffe
	s_delay_alu instid0(SALU_CYCLE_2) | instskip(NEXT) | instid1(SALU_CYCLE_1)
	s_mul_i32 s20, s20, s3
	s_mul_hi_u32 s20, s3, s20
	s_delay_alu instid0(SALU_CYCLE_1) | instskip(SKIP_4) | instid1(SALU_CYCLE_1)
	s_add_co_i32 s3, s3, s20
	s_wait_alu 0xfffe
	s_mul_hi_u32 s3, s21, s3
	s_wait_alu 0xfffe
	s_mul_i32 s20, s3, s2
	s_sub_co_i32 s20, s21, s20
	s_add_co_i32 s21, s3, 1
	s_sub_co_i32 s22, s20, s2
	s_cmp_ge_u32 s20, s2
	s_cselect_b32 s3, s21, s3
	s_cselect_b32 s20, s22, s20
	s_wait_alu 0xfffe
	s_add_co_i32 s21, s3, 1
	s_cmp_ge_u32 s20, s2
	s_mov_b32 s20, exec_lo
	s_cselect_b32 s2, s21, s3
	s_abs_i32 s28, s6
	s_mul_i32 s6, s19, s8
	s_cvt_f32_u32 s3, s28
	s_mul_i32 s19, s6, s5
	s_wait_alu 0xfffe
	s_delay_alu instid0(SALU_CYCLE_1) | instskip(SKIP_1) | instid1(TRANS32_DEP_1)
	v_rcp_iflag_f32_e32 v1, s3
	s_mov_b32 s3, 0
	v_readfirstlane_b32 s5, v1
	v_cmpx_gt_i32_e64 s19, v0
	s_cbranch_execz .LBB39_28
; %bb.1:
	s_mul_f32 s5, s5, 0x4f7ffffe
	s_xor_b32 s29, ttmp9, s4
	s_sub_co_i32 s30, 0, s28
	s_ashr_i32 s29, s29, 31
	s_cvt_u32_f32 s5, s5
	s_xor_b32 s2, s2, s29
	s_wait_alu 0xfffe
	s_mov_b32 s31, s3
	s_sub_co_i32 s29, s2, s29
	s_mul_i32 s30, s30, s5
	s_abs_i32 s2, s29
	s_mul_hi_u32 s30, s5, s30
	s_load_b512 s[36:51], s[0:1], 0x28
	s_add_co_i32 s30, s5, s30
	s_ashr_i32 s5, s29, 31
	s_mul_u64 s[30:31], s[2:3], s[30:31]
	s_mul_i32 s29, s29, s4
	s_mul_i32 s30, s31, s28
	s_sub_co_i32 s4, ttmp9, s29
	s_sub_co_i32 s2, s2, s30
	s_load_b256 s[20:27], s[0:1], 0x0
	s_sub_co_i32 s29, s2, s28
	s_cmp_ge_u32 s2, s28
	s_load_b64 s[60:61], s[0:1], 0x20
	s_cselect_b32 s2, s29, s2
	s_load_b256 s[52:59], s[0:1], 0x68
	s_sub_co_i32 s29, s2, s28
	s_cmp_ge_u32 s2, s28
	s_cselect_b32 s2, s29, s2
	s_wait_alu 0xfffe
	s_xor_b32 s2, s2, s5
	s_wait_alu 0xfffe
	s_sub_co_i32 s62, s2, s5
	s_ashr_i32 s5, s4, 31
	s_ashr_i32 s63, s62, 31
	s_wait_kmcnt 0x0
	s_mul_u64 s[28:29], s[42:43], s[4:5]
	s_mul_u64 s[30:31], s[44:45], s[62:63]
	s_lshl_b64 s[34:35], s[28:29], 2
	s_lshl_b64 s[42:43], s[30:31], 2
	s_cmp_lt_i32 s17, 1
	v_cmp_neq_f64_e64 s73, s[24:25], 1.0
	v_cmp_neq_f64_e64 s74, s[26:27], 0
	s_cselect_b32 s33, -1, 0
	s_add_co_i32 s15, s4, s15
	s_cmp_gt_i32 s18, 0
	s_load_b32 s2, s[0:1], 0xec
	s_cselect_b32 s64, -1, 0
	s_cmp_gt_i32 s7, 0
	s_clause 0x1
	s_load_b64 s[78:79], s[0:1], 0x98
	s_load_b128 s[28:31], s[0:1], 0x88
	s_cselect_b32 s65, -1, 0
	s_abs_i32 s66, s6
	s_abs_i32 s67, s8
	s_cvt_f32_u32 s4, s66
	s_cvt_f32_u32 s5, s67
	s_abs_i32 s68, s11
	s_add_nc_u64 s[0:1], s[20:21], s[42:43]
	v_rcp_iflag_f32_e32 v1, s4
	v_rcp_iflag_f32_e32 v2, s5
	s_abs_i32 s69, s12
	s_cvt_f32_u32 s20, s68
	s_add_nc_u64 s[4:5], s[0:1], s[34:35]
	s_cvt_f32_u32 s0, s69
	s_ashr_i32 s71, s6, 31
	v_rcp_iflag_f32_e32 v3, s20
	s_sub_co_i32 s20, 0, s67
	v_rcp_iflag_f32_e32 v4, s0
	v_readfirstlane_b32 s0, v1
	v_readfirstlane_b32 s1, v2
	s_wait_kmcnt 0x0
	s_and_b32 s70, s2, 0xffff
	s_sub_co_i32 s2, 0, s66
	s_ashr_i32 s72, s8, 31
	s_mul_f32 s0, s0, 0x4f7ffffe
	s_mul_f32 s1, s1, 0x4f7ffffe
	v_readfirstlane_b32 s21, v3
	s_ashr_i32 s11, s11, 31
	s_wait_alu 0xfffe
	s_cvt_u32_f32 s0, s0
	s_cvt_u32_f32 s1, s1
	v_readfirstlane_b32 s34, v4
	s_mul_f32 s21, s21, 0x4f7ffffe
	s_wait_alu 0xfffe
	s_mul_i32 s2, s2, s0
	s_mul_i32 s20, s20, s1
	s_wait_alu 0xfffe
	s_mul_hi_u32 s2, s0, s2
	s_mul_hi_u32 s20, s1, s20
	s_or_b32 s73, s73, s74
	s_wait_alu 0xfffe
	s_add_co_i32 s74, s0, s2
	s_add_co_i32 s75, s1, s20
	s_cvt_u32_f32 s0, s21
	s_mul_f32 s1, s34, 0x4f7ffffe
	s_sub_co_i32 s2, 0, s68
	s_sub_co_i32 s21, 0, s69
	s_wait_alu 0xfffe
	s_mul_i32 s2, s2, s0
	s_cvt_u32_f32 s1, s1
	s_wait_alu 0xfffe
	s_mul_hi_u32 s2, s0, s2
	s_ashr_i32 s12, s12, 31
	s_wait_alu 0xfffe
	s_add_co_i32 s20, s0, s2
	s_mul_i32 s0, s21, s1
	s_mov_b32 s21, s3
	s_wait_alu 0xfffe
	s_mul_hi_u32 s0, s1, s0
	s_lshl_b64 s[34:35], s[46:47], 2
	s_wait_alu 0xfffe
	s_add_co_i32 s76, s1, s0
	s_mul_u64 s[0:1], s[78:79], s[62:63]
	s_lshl_b64 s[42:43], s[54:55], 2
	s_wait_alu 0xfffe
	s_lshl_b64 s[0:1], s[0:1], 2
	s_lshl_b64 s[44:45], s[50:51], 2
	;; [unrolled: 1-line block ×4, first 2 shown]
	s_wait_alu 0xfffe
	s_add_nc_u64 s[50:51], s[60:61], s[0:1]
	s_lshl_b64 s[52:53], s[58:59], 2
	s_lshl_b64 s[30:31], s[30:31], 2
	;; [unrolled: 1-line block ×4, first 2 shown]
	s_mov_b32 s56, 0
	s_branch .LBB39_3
.LBB39_2:                               ;   in Loop: Header=BB39_3 Depth=1
	s_delay_alu instid0(VALU_DEP_1) | instskip(SKIP_1) | instid1(VALU_DEP_1)
	v_cvt_f32_f64_e32 v1, v[1:2]
	v_add_nc_u32_e32 v0, s70, v0
	v_cmp_le_i32_e32 vcc_lo, s19, v0
	s_or_b32 s56, vcc_lo, s56
	global_store_b32 v[3:4], v1, off
	s_and_not1_b32 exec_lo, exec_lo, s56
	s_cbranch_execz .LBB39_28
.LBB39_3:                               ; =>This Loop Header: Depth=1
                                        ;     Child Loop BB39_8 Depth 2
                                        ;       Child Loop BB39_17 Depth 3
                                        ;         Child Loop BB39_24 Depth 4
	v_sub_nc_u32_e32 v1, 0, v0
	s_mov_b32 s0, -1
	s_delay_alu instid0(VALU_DEP_1) | instskip(NEXT) | instid1(VALU_DEP_1)
	v_max_i32_e32 v1, v0, v1
	v_mul_hi_u32 v2, v1, s74
	s_delay_alu instid0(VALU_DEP_1) | instskip(NEXT) | instid1(VALU_DEP_1)
	v_mul_lo_u32 v3, v2, s66
	v_sub_nc_u32_e32 v1, v1, v3
	v_add_nc_u32_e32 v3, 1, v2
	s_delay_alu instid0(VALU_DEP_2) | instskip(SKIP_2) | instid1(VALU_DEP_2)
	v_subrev_nc_u32_e32 v4, s66, v1
	v_cmp_le_u32_e32 vcc_lo, s66, v1
	s_wait_alu 0xfffd
	v_dual_cndmask_b32 v2, v2, v3 :: v_dual_cndmask_b32 v1, v1, v4
	v_ashrrev_i32_e32 v3, 31, v0
	s_delay_alu instid0(VALU_DEP_2) | instskip(NEXT) | instid1(VALU_DEP_3)
	v_add_nc_u32_e32 v4, 1, v2
	v_cmp_le_u32_e32 vcc_lo, s66, v1
	s_delay_alu instid0(VALU_DEP_3) | instskip(SKIP_1) | instid1(VALU_DEP_3)
	v_xor_b32_e32 v3, s71, v3
	s_wait_alu 0xfffd
	v_cndmask_b32_e32 v1, v2, v4, vcc_lo
	s_delay_alu instid0(VALU_DEP_1) | instskip(NEXT) | instid1(VALU_DEP_1)
	v_xor_b32_e32 v1, v1, v3
	v_sub_nc_u32_e32 v15, v1, v3
	s_delay_alu instid0(VALU_DEP_1) | instskip(NEXT) | instid1(VALU_DEP_1)
	v_mul_lo_u32 v1, v15, s6
	v_sub_nc_u32_e32 v3, v0, v1
	s_delay_alu instid0(VALU_DEP_1) | instskip(NEXT) | instid1(VALU_DEP_1)
	v_sub_nc_u32_e32 v1, 0, v3
	v_max_i32_e32 v1, v3, v1
	s_delay_alu instid0(VALU_DEP_1) | instskip(NEXT) | instid1(VALU_DEP_1)
	v_mul_hi_u32 v2, v1, s75
	v_mul_lo_u32 v4, v2, s67
	s_delay_alu instid0(VALU_DEP_1) | instskip(SKIP_1) | instid1(VALU_DEP_2)
	v_sub_nc_u32_e32 v1, v1, v4
	v_add_nc_u32_e32 v4, 1, v2
	v_subrev_nc_u32_e32 v5, s67, v1
	v_cmp_le_u32_e32 vcc_lo, s67, v1
	s_wait_alu 0xfffd
	s_delay_alu instid0(VALU_DEP_2) | instskip(SKIP_1) | instid1(VALU_DEP_2)
	v_dual_cndmask_b32 v2, v2, v4 :: v_dual_cndmask_b32 v1, v1, v5
	v_ashrrev_i32_e32 v4, 31, v3
	v_add_nc_u32_e32 v5, 1, v2
	s_delay_alu instid0(VALU_DEP_3) | instskip(NEXT) | instid1(VALU_DEP_3)
	v_cmp_le_u32_e32 vcc_lo, s67, v1
	v_xor_b32_e32 v6, s72, v4
	s_wait_alu 0xfffd
	s_delay_alu instid0(VALU_DEP_3) | instskip(SKIP_1) | instid1(VALU_DEP_1)
	v_cndmask_b32_e32 v1, v2, v5, vcc_lo
	s_and_not1_b32 vcc_lo, exec_lo, s33
	v_xor_b32_e32 v1, v1, v6
	s_delay_alu instid0(VALU_DEP_1) | instskip(NEXT) | instid1(VALU_DEP_1)
	v_sub_nc_u32_e32 v17, v1, v6
	v_mul_lo_u32 v5, v17, s8
	v_ashrrev_i32_e32 v19, 31, v17
	s_delay_alu instid0(VALU_DEP_2) | instskip(NEXT) | instid1(VALU_DEP_1)
	v_sub_nc_u32_e32 v16, v3, v5
	v_ashrrev_i32_e32 v18, 31, v16
	s_wait_alu 0xfffe
	s_cbranch_vccnz .LBB39_5
; %bb.4:                                ;   in Loop: Header=BB39_3 Depth=1
	s_mov_b32 s0, 0
.LBB39_5:                               ;   in Loop: Header=BB39_3 Depth=1
	v_mov_b32_e32 v1, 0
	v_mov_b32_e32 v2, 0
	s_wait_alu 0xfffe
	s_and_not1_b32 vcc_lo, exec_lo, s0
	s_wait_alu 0xfffe
	s_cbranch_vccnz .LBB39_26
; %bb.6:                                ;   in Loop: Header=BB39_3 Depth=1
	v_mul_lo_u32 v6, s43, v17
	v_mul_lo_u32 v7, s42, v19
	v_mad_co_u64_u32 v[1:2], null, s42, v17, 0
	v_ashrrev_i32_e32 v8, 31, v5
	v_sub_co_u32 v3, vcc_lo, v3, v5
	v_mul_lo_u32 v9, s53, v17
	v_mul_lo_u32 v10, s52, v19
	s_wait_alu 0xfffd
	v_sub_co_ci_u32_e64 v4, null, v4, v8, vcc_lo
	v_add3_u32 v2, v2, v7, v6
	v_mul_lo_u32 v7, s35, v3
	v_add_nc_u32_e32 v20, s16, v15
	s_delay_alu instid0(VALU_DEP_4)
	v_mul_lo_u32 v8, s34, v4
	s_mov_b32 s57, 0
	v_mad_co_u64_u32 v[5:6], null, s34, v3, v[1:2]
	v_mad_co_u64_u32 v[3:4], null, s52, v17, s[50:51]
	v_mov_b32_e32 v1, 0
	v_mov_b32_e32 v2, 0
	s_delay_alu instid0(VALU_DEP_4) | instskip(SKIP_3) | instid1(VALU_DEP_3)
	v_add3_u32 v6, v7, v6, v8
	v_add_co_u32 v5, vcc_lo, s22, v5
	v_add3_u32 v4, v9, v4, v10
	s_wait_alu 0xfffd
	v_add_co_ci_u32_e64 v6, null, s23, v6, vcc_lo
	s_branch .LBB39_8
.LBB39_7:                               ;   in Loop: Header=BB39_8 Depth=2
	v_add_co_u32 v5, vcc_lo, v5, s44
	s_wait_alu 0xfffd
	v_add_co_ci_u32_e64 v6, null, s45, v6, vcc_lo
	s_add_co_i32 s57, s57, 1
	s_delay_alu instid0(SALU_CYCLE_1)
	s_cmp_eq_u32 s57, s17
	s_cbranch_scc1 .LBB39_26
.LBB39_8:                               ;   Parent Loop BB39_3 Depth=1
                                        ; =>  This Loop Header: Depth=2
                                        ;       Child Loop BB39_17 Depth 3
                                        ;         Child Loop BB39_24 Depth 4
	s_mul_i32 s0, s13, s57
	s_mov_b32 s61, -1
	s_wait_alu 0xfffe
	s_sub_co_i32 s59, s15, s0
	s_mov_b32 s60, 0
	s_cmp_gt_i32 s59, -1
                                        ; implicit-def: $sgpr2
                                        ; implicit-def: $sgpr1
                                        ; implicit-def: $sgpr0
                                        ; implicit-def: $sgpr58
	s_cbranch_scc1 .LBB39_12
; %bb.9:                                ;   in Loop: Header=BB39_8 Depth=2
	s_and_not1_b32 vcc_lo, exec_lo, s61
	s_wait_alu 0xfffe
	s_cbranch_vccz .LBB39_13
.LBB39_10:                              ;   in Loop: Header=BB39_8 Depth=2
	s_and_not1_b32 vcc_lo, exec_lo, s60
	s_mov_b32 s59, 1
	s_wait_alu 0xfffe
	s_cbranch_vccz .LBB39_14
; %bb.11:                               ;   in Loop: Header=BB39_8 Depth=2
	s_and_not1_b32 vcc_lo, exec_lo, s64
	s_wait_alu 0xfffe
	s_cbranch_vccz .LBB39_15
	s_branch .LBB39_7
.LBB39_12:                              ;   in Loop: Header=BB39_8 Depth=2
	s_abs_i32 s2, s59
	s_wait_alu 0xfffe
	s_mul_u64 s[0:1], s[2:3], s[20:21]
	s_wait_alu 0xfffe
	s_mul_i32 s0, s1, s68
	s_wait_alu 0xfffe
	s_sub_co_i32 s0, s2, s0
	s_ashr_i32 s2, s59, 31
	s_wait_alu 0xfffe
	s_sub_co_i32 s58, s0, s68
	s_cmp_ge_u32 s0, s68
	s_cselect_b32 s60, s58, s0
	s_delay_alu instid0(SALU_CYCLE_1) | instskip(SKIP_2) | instid1(SALU_CYCLE_1)
	s_sub_co_i32 s61, s60, s68
	s_cmp_ge_u32 s60, s68
	s_cselect_b32 s60, s61, s60
	s_xor_b32 s60, s60, s2
	s_delay_alu instid0(SALU_CYCLE_1) | instskip(NEXT) | instid1(SALU_CYCLE_1)
	s_sub_co_i32 s60, s60, s2
	s_cmp_lg_u32 s60, 0
	s_cselect_b32 s60, -1, 0
	s_cbranch_execnz .LBB39_10
.LBB39_13:                              ;   in Loop: Header=BB39_8 Depth=2
	s_abs_i32 s2, s59
	s_wait_alu 0xfffe
	s_mul_u64 s[0:1], s[2:3], s[20:21]
	s_wait_alu 0xfffe
	s_mul_i32 s0, s1, s68
	s_wait_alu 0xfffe
	s_sub_co_i32 s0, s2, s0
	s_ashr_i32 s2, s59, 31
	s_wait_alu 0xfffe
	s_sub_co_i32 s58, s0, s68
	s_mov_b32 s59, 1
.LBB39_14:                              ;   in Loop: Header=BB39_8 Depth=2
	s_mov_b32 s59, 0
	s_and_not1_b32 vcc_lo, exec_lo, s64
	s_wait_alu 0xfffe
	s_cbranch_vccnz .LBB39_7
.LBB39_15:                              ;   in Loop: Header=BB39_8 Depth=2
	s_xor_b32 s2, s2, s11
	s_add_co_i32 s60, s1, 1
	s_cmp_ge_u32 s0, s68
	v_dual_mov_b32 v10, v6 :: v_dual_mov_b32 v9, v5
	s_cselect_b32 s1, s60, s1
	s_cselect_b32 s0, s58, s0
	s_wait_alu 0xfffe
	s_add_co_i32 s58, s1, 1
	s_cmp_ge_u32 s0, s68
	s_cselect_b32 s0, s58, s1
	s_wait_alu 0xfffe
	s_xor_b32 s0, s0, s2
	s_wait_alu 0xfffe
	s_sub_co_i32 s0, s0, s2
	s_wait_alu 0xfffe
	v_mad_co_u64_u32 v[7:8], null, s30, s0, v[3:4]
	s_cmp_lt_i32 s0, s9
	s_cselect_b32 s1, s59, 0
	s_ashr_i32 s2, s0, 31
	s_mul_i32 s0, s31, s0
	s_wait_alu 0xfffe
	s_mul_i32 s2, s30, s2
	s_wait_alu 0xfffe
	v_add3_u32 v8, s2, s0, v8
	s_mov_b32 s2, 0
	s_branch .LBB39_17
.LBB39_16:                              ;   in Loop: Header=BB39_17 Depth=3
	v_add_co_u32 v9, vcc_lo, v9, s46
	s_wait_alu 0xfffd
	v_add_co_ci_u32_e64 v10, null, s47, v10, vcc_lo
	s_add_co_i32 s2, s2, 1
	s_wait_alu 0xfffe
	s_cmp_eq_u32 s2, s18
	s_cbranch_scc1 .LBB39_7
.LBB39_17:                              ;   Parent Loop BB39_3 Depth=1
                                        ;     Parent Loop BB39_8 Depth=2
                                        ; =>    This Loop Header: Depth=3
                                        ;         Child Loop BB39_24 Depth 4
	s_wait_alu 0xfffe
	s_mul_i32 s0, s14, s2
	s_wait_alu 0xfffe
	v_subrev_nc_u32_e32 v12, s0, v20
	s_delay_alu instid0(VALU_DEP_1) | instskip(SKIP_3) | instid1(VALU_DEP_4)
	v_sub_nc_u32_e32 v13, 0, v12
	v_cmp_gt_i32_e64 s0, 0, v12
	v_cmp_lt_i32_e32 vcc_lo, -1, v12
	v_ashrrev_i32_e32 v11, 31, v12
	v_max_i32_e32 v12, v12, v13
	s_and_saveexec_b32 s58, vcc_lo
	s_cbranch_execnz .LBB39_20
; %bb.18:                               ;   in Loop: Header=BB39_17 Depth=3
	s_or_b32 exec_lo, exec_lo, s58
	v_mov_b32_e32 v13, 1
	s_and_saveexec_b32 s58, s0
	s_cbranch_execnz .LBB39_21
.LBB39_19:                              ;   in Loop: Header=BB39_17 Depth=3
	s_or_b32 exec_lo, exec_lo, s58
	s_delay_alu instid0(SALU_CYCLE_1)
	s_and_not1_b32 vcc_lo, exec_lo, s65
	s_wait_alu 0xfffe
	s_cbranch_vccz .LBB39_22
	s_branch .LBB39_16
.LBB39_20:                              ;   in Loop: Header=BB39_17 Depth=3
	s_delay_alu instid0(VALU_DEP_1) | instskip(SKIP_1) | instid1(VALU_DEP_1)
	v_mul_hi_u32 v13, v12, s76
	s_and_not1_b32 s0, s0, exec_lo
	v_mul_lo_u32 v13, v13, s69
	s_delay_alu instid0(VALU_DEP_1) | instskip(NEXT) | instid1(VALU_DEP_1)
	v_sub_nc_u32_e32 v13, v12, v13
	v_subrev_nc_u32_e32 v14, s69, v13
	v_cmp_le_u32_e32 vcc_lo, s69, v13
	s_wait_alu 0xfffd
	s_delay_alu instid0(VALU_DEP_2) | instskip(NEXT) | instid1(VALU_DEP_1)
	v_cndmask_b32_e32 v13, v13, v14, vcc_lo
	v_subrev_nc_u32_e32 v14, s69, v13
	v_cmp_le_u32_e32 vcc_lo, s69, v13
	s_wait_alu 0xfffd
	s_delay_alu instid0(VALU_DEP_2) | instskip(NEXT) | instid1(VALU_DEP_1)
	v_cndmask_b32_e32 v13, v13, v14, vcc_lo
	v_xor_b32_e32 v13, v13, v11
	s_delay_alu instid0(VALU_DEP_1) | instskip(NEXT) | instid1(VALU_DEP_1)
	v_sub_nc_u32_e32 v13, v13, v11
	v_cmp_ne_u32_e32 vcc_lo, 0, v13
	s_and_b32 s59, vcc_lo, exec_lo
	s_wait_alu 0xfffe
	s_or_b32 s0, s0, s59
	s_or_b32 exec_lo, exec_lo, s58
	v_mov_b32_e32 v13, 1
	s_wait_alu 0xfffe
	s_and_saveexec_b32 s58, s0
	s_cbranch_execz .LBB39_19
.LBB39_21:                              ;   in Loop: Header=BB39_17 Depth=3
	v_mov_b32_e32 v13, 0
	s_or_b32 exec_lo, exec_lo, s58
	s_delay_alu instid0(SALU_CYCLE_1)
	s_and_not1_b32 vcc_lo, exec_lo, s65
	s_wait_alu 0xfffe
	s_cbranch_vccnz .LBB39_16
.LBB39_22:                              ;   in Loop: Header=BB39_17 Depth=3
	v_mul_hi_u32 v14, v12, s76
	v_xor_b32_e32 v11, s12, v11
	s_mov_b32 s58, s7
	s_delay_alu instid0(VALU_DEP_2) | instskip(NEXT) | instid1(VALU_DEP_1)
	v_mul_lo_u32 v21, v14, s69
	v_sub_nc_u32_e32 v12, v12, v21
	v_add_nc_u32_e32 v21, 1, v14
	s_delay_alu instid0(VALU_DEP_2) | instskip(SKIP_2) | instid1(VALU_DEP_3)
	v_subrev_nc_u32_e32 v22, s69, v12
	v_cmp_le_u32_e32 vcc_lo, s69, v12
	s_wait_alu 0xfffd
	v_cndmask_b32_e32 v14, v14, v21, vcc_lo
	s_delay_alu instid0(VALU_DEP_3) | instskip(NEXT) | instid1(VALU_DEP_2)
	v_cndmask_b32_e32 v12, v12, v22, vcc_lo
	v_add_nc_u32_e32 v21, 1, v14
	s_delay_alu instid0(VALU_DEP_2) | instskip(SKIP_1) | instid1(VALU_DEP_2)
	v_cmp_le_u32_e32 vcc_lo, s69, v12
	s_wait_alu 0xfffd
	v_cndmask_b32_e32 v12, v14, v21, vcc_lo
	s_delay_alu instid0(VALU_DEP_1) | instskip(NEXT) | instid1(VALU_DEP_1)
	v_xor_b32_e32 v12, v12, v11
	v_sub_nc_u32_e32 v11, v12, v11
	s_delay_alu instid0(VALU_DEP_1)
	v_cmp_gt_i32_e32 vcc_lo, s10, v11
	v_ashrrev_i32_e32 v14, 31, v11
	v_mul_lo_u32 v21, s29, v11
	v_mad_co_u64_u32 v[11:12], null, s28, v11, v[7:8]
	s_wait_alu 0xfffd
	v_cndmask_b32_e32 v13, 0, v13, vcc_lo
	v_mul_lo_u32 v14, s28, v14
	s_delay_alu instid0(VALU_DEP_2) | instskip(NEXT) | instid1(VALU_DEP_2)
	v_and_b32_e32 v13, s1, v13
	v_add3_u32 v12, v21, v12, v14
	s_delay_alu instid0(VALU_DEP_2) | instskip(NEXT) | instid1(VALU_DEP_1)
	v_and_b32_e32 v13, 1, v13
	v_cmp_eq_u32_e32 vcc_lo, 1, v13
	v_dual_mov_b32 v14, v10 :: v_dual_mov_b32 v13, v9
	s_branch .LBB39_24
.LBB39_23:                              ;   in Loop: Header=BB39_24 Depth=4
	s_wait_alu 0xfffe
	s_or_b32 exec_lo, exec_lo, s0
	v_add_co_u32 v13, s0, v13, s48
	s_wait_alu 0xf1ff
	v_add_co_ci_u32_e64 v14, null, s49, v14, s0
	v_add_co_u32 v11, s0, v11, s54
	s_wait_alu 0xf1ff
	v_add_co_ci_u32_e64 v12, null, s55, v12, s0
	s_add_co_i32 s58, s58, -1
	s_delay_alu instid0(SALU_CYCLE_1)
	s_cmp_eq_u32 s58, 0
	s_cbranch_scc1 .LBB39_16
.LBB39_24:                              ;   Parent Loop BB39_3 Depth=1
                                        ;     Parent Loop BB39_8 Depth=2
                                        ;       Parent Loop BB39_17 Depth=3
                                        ; =>      This Inner Loop Header: Depth=4
	s_and_saveexec_b32 s0, vcc_lo
	s_cbranch_execz .LBB39_23
; %bb.25:                               ;   in Loop: Header=BB39_24 Depth=4
	global_load_b32 v21, v[11:12], off
	global_load_b32 v22, v[13:14], off
	s_wait_loadcnt 0x1
	v_and_b32_e32 v21, 0xffffe000, v21
	s_wait_loadcnt 0x0
	v_and_b32_e32 v23, 0xffffe000, v22
	s_delay_alu instid0(VALU_DEP_2) | instskip(NEXT) | instid1(VALU_DEP_2)
	v_cvt_f64_f32_e32 v[21:22], v21
	v_cvt_f64_f32_e32 v[23:24], v23
	s_delay_alu instid0(VALU_DEP_1)
	v_fma_f64 v[1:2], v[21:22], v[23:24], v[1:2]
	s_branch .LBB39_23
.LBB39_26:                              ;   in Loop: Header=BB39_3 Depth=1
	v_ashrrev_i32_e32 v5, 31, v15
	v_mul_lo_u32 v7, s41, v15
	v_mad_co_u64_u32 v[3:4], null, s40, v15, 0
	v_mul_lo_u32 v9, v19, s38
	s_delay_alu instid0(VALU_DEP_4)
	v_mul_lo_u32 v8, s40, v5
	v_mul_lo_u32 v10, v17, s39
	v_mad_co_u64_u32 v[5:6], null, v17, s38, 0
	v_mul_lo_u32 v11, v18, s36
	v_mul_lo_u32 v12, v16, s37
	v_add3_u32 v4, v4, v8, v7
	v_mad_co_u64_u32 v[7:8], null, v16, s36, 0
	v_add3_u32 v6, v6, v10, v9
	s_delay_alu instid0(VALU_DEP_3) | instskip(NEXT) | instid1(VALU_DEP_2)
	v_lshlrev_b64_e32 v[3:4], 2, v[3:4]
	v_lshlrev_b64_e32 v[5:6], 2, v[5:6]
	s_delay_alu instid0(VALU_DEP_4) | instskip(NEXT) | instid1(VALU_DEP_3)
	v_add3_u32 v8, v8, v12, v11
	v_add_co_u32 v9, vcc_lo, s4, v3
	s_wait_alu 0xfffd
	s_delay_alu instid0(VALU_DEP_4) | instskip(NEXT) | instid1(VALU_DEP_3)
	v_add_co_ci_u32_e64 v10, null, s5, v4, vcc_lo
	v_lshlrev_b64_e32 v[3:4], 2, v[7:8]
	s_delay_alu instid0(VALU_DEP_3) | instskip(SKIP_1) | instid1(VALU_DEP_3)
	v_add_co_u32 v5, vcc_lo, v9, v5
	s_wait_alu 0xfffd
	v_add_co_ci_u32_e64 v6, null, v10, v6, vcc_lo
	s_delay_alu instid0(VALU_DEP_2) | instskip(SKIP_1) | instid1(VALU_DEP_2)
	v_add_co_u32 v3, vcc_lo, v5, v3
	s_wait_alu 0xfffd
	v_add_co_ci_u32_e64 v4, null, v6, v4, vcc_lo
	s_and_not1_b32 vcc_lo, exec_lo, s73
	s_wait_alu 0xfffe
	s_cbranch_vccnz .LBB39_2
; %bb.27:                               ;   in Loop: Header=BB39_3 Depth=1
	global_load_b32 v5, v[3:4], off
	s_wait_loadcnt 0x0
	v_cvt_f64_f32_e32 v[5:6], v5
	s_delay_alu instid0(VALU_DEP_1) | instskip(NEXT) | instid1(VALU_DEP_1)
	v_mul_f64_e32 v[5:6], s[26:27], v[5:6]
	v_fma_f64 v[1:2], s[24:25], v[1:2], v[5:6]
	s_branch .LBB39_2
.LBB39_28:
	s_endpgm
	.section	.rodata,"a",@progbits
	.p2align	6, 0x0
	.amdhsa_kernel naive_conv_ab_nonpacked_bwd_nhwc_float_double_float_1
		.amdhsa_group_segment_fixed_size 0
		.amdhsa_private_segment_fixed_size 0
		.amdhsa_kernarg_size 480
		.amdhsa_user_sgpr_count 2
		.amdhsa_user_sgpr_dispatch_ptr 0
		.amdhsa_user_sgpr_queue_ptr 0
		.amdhsa_user_sgpr_kernarg_segment_ptr 1
		.amdhsa_user_sgpr_dispatch_id 0
		.amdhsa_user_sgpr_private_segment_size 0
		.amdhsa_wavefront_size32 1
		.amdhsa_uses_dynamic_stack 0
		.amdhsa_enable_private_segment 0
		.amdhsa_system_sgpr_workgroup_id_x 1
		.amdhsa_system_sgpr_workgroup_id_y 0
		.amdhsa_system_sgpr_workgroup_id_z 0
		.amdhsa_system_sgpr_workgroup_info 0
		.amdhsa_system_vgpr_workitem_id 0
		.amdhsa_next_free_vgpr 25
		.amdhsa_next_free_sgpr 80
		.amdhsa_reserve_vcc 1
		.amdhsa_float_round_mode_32 0
		.amdhsa_float_round_mode_16_64 0
		.amdhsa_float_denorm_mode_32 3
		.amdhsa_float_denorm_mode_16_64 3
		.amdhsa_fp16_overflow 0
		.amdhsa_workgroup_processor_mode 1
		.amdhsa_memory_ordered 1
		.amdhsa_forward_progress 1
		.amdhsa_inst_pref_size 20
		.amdhsa_round_robin_scheduling 0
		.amdhsa_exception_fp_ieee_invalid_op 0
		.amdhsa_exception_fp_denorm_src 0
		.amdhsa_exception_fp_ieee_div_zero 0
		.amdhsa_exception_fp_ieee_overflow 0
		.amdhsa_exception_fp_ieee_underflow 0
		.amdhsa_exception_fp_ieee_inexact 0
		.amdhsa_exception_int_div_zero 0
	.end_amdhsa_kernel
	.text
.Lfunc_end39:
	.size	naive_conv_ab_nonpacked_bwd_nhwc_float_double_float_1, .Lfunc_end39-naive_conv_ab_nonpacked_bwd_nhwc_float_double_float_1
                                        ; -- End function
	.set naive_conv_ab_nonpacked_bwd_nhwc_float_double_float_1.num_vgpr, 25
	.set naive_conv_ab_nonpacked_bwd_nhwc_float_double_float_1.num_agpr, 0
	.set naive_conv_ab_nonpacked_bwd_nhwc_float_double_float_1.numbered_sgpr, 80
	.set naive_conv_ab_nonpacked_bwd_nhwc_float_double_float_1.num_named_barrier, 0
	.set naive_conv_ab_nonpacked_bwd_nhwc_float_double_float_1.private_seg_size, 0
	.set naive_conv_ab_nonpacked_bwd_nhwc_float_double_float_1.uses_vcc, 1
	.set naive_conv_ab_nonpacked_bwd_nhwc_float_double_float_1.uses_flat_scratch, 0
	.set naive_conv_ab_nonpacked_bwd_nhwc_float_double_float_1.has_dyn_sized_stack, 0
	.set naive_conv_ab_nonpacked_bwd_nhwc_float_double_float_1.has_recursion, 0
	.set naive_conv_ab_nonpacked_bwd_nhwc_float_double_float_1.has_indirect_call, 0
	.section	.AMDGPU.csdata,"",@progbits
; Kernel info:
; codeLenInByte = 2500
; TotalNumSgprs: 82
; NumVgprs: 25
; ScratchSize: 0
; MemoryBound: 0
; FloatMode: 240
; IeeeMode: 1
; LDSByteSize: 0 bytes/workgroup (compile time only)
; SGPRBlocks: 0
; VGPRBlocks: 3
; NumSGPRsForWavesPerEU: 82
; NumVGPRsForWavesPerEU: 25
; Occupancy: 16
; WaveLimiterHint : 0
; COMPUTE_PGM_RSRC2:SCRATCH_EN: 0
; COMPUTE_PGM_RSRC2:USER_SGPR: 2
; COMPUTE_PGM_RSRC2:TRAP_HANDLER: 0
; COMPUTE_PGM_RSRC2:TGID_X_EN: 1
; COMPUTE_PGM_RSRC2:TGID_Y_EN: 0
; COMPUTE_PGM_RSRC2:TGID_Z_EN: 0
; COMPUTE_PGM_RSRC2:TIDIG_COMP_CNT: 0
	.text
	.protected	naive_conv_ab_packed_bwd_nhwc_half_double_half_0 ; -- Begin function naive_conv_ab_packed_bwd_nhwc_half_double_half_0
	.globl	naive_conv_ab_packed_bwd_nhwc_half_double_half_0
	.p2align	8
	.type	naive_conv_ab_packed_bwd_nhwc_half_double_half_0,@function
naive_conv_ab_packed_bwd_nhwc_half_double_half_0: ; @naive_conv_ab_packed_bwd_nhwc_half_double_half_0
; %bb.0:
	s_load_b512 s[4:19], s[0:1], 0xa0
	s_abs_i32 s21, ttmp9
	s_mov_b32 s29, 0
	s_wait_kmcnt 0x0
	s_abs_i32 s2, s4
	s_delay_alu instid0(SALU_CYCLE_1) | instskip(SKIP_1) | instid1(SALU_CYCLE_2)
	s_cvt_f32_u32 s3, s2
	s_sub_co_i32 s20, 0, s2
	v_rcp_iflag_f32_e32 v1, s3
	s_delay_alu instid0(TRANS32_DEP_1) | instskip(SKIP_2) | instid1(SALU_CYCLE_2)
	v_readfirstlane_b32 s3, v1
	s_mul_f32 s3, s3, 0x4f7ffffe
	s_wait_alu 0xfffe
	s_cvt_u32_f32 s3, s3
	s_wait_alu 0xfffe
	s_delay_alu instid0(SALU_CYCLE_2) | instskip(NEXT) | instid1(SALU_CYCLE_1)
	s_mul_i32 s20, s20, s3
	s_mul_hi_u32 s20, s3, s20
	s_delay_alu instid0(SALU_CYCLE_1) | instskip(SKIP_4) | instid1(SALU_CYCLE_1)
	s_add_co_i32 s3, s3, s20
	s_wait_alu 0xfffe
	s_mul_hi_u32 s3, s21, s3
	s_wait_alu 0xfffe
	s_mul_i32 s20, s3, s2
	s_sub_co_i32 s20, s21, s20
	s_add_co_i32 s21, s3, 1
	s_sub_co_i32 s22, s20, s2
	s_cmp_ge_u32 s20, s2
	s_cselect_b32 s3, s21, s3
	s_cselect_b32 s20, s22, s20
	s_wait_alu 0xfffe
	s_add_co_i32 s21, s3, 1
	s_cmp_ge_u32 s20, s2
	s_cselect_b32 s28, s21, s3
	s_abs_i32 s3, s6
	s_mov_b32 s21, exec_lo
	s_wait_alu 0xfffe
	s_cvt_f32_u32 s2, s3
	s_wait_alu 0xfffe
	s_delay_alu instid0(SALU_CYCLE_2) | instskip(SKIP_3) | instid1(TRANS32_DEP_1)
	v_rcp_iflag_f32_e32 v1, s2
	s_mul_i32 s2, s19, s8
	s_wait_alu 0xfffe
	s_mul_i32 s6, s2, s5
	v_readfirstlane_b32 s20, v1
	v_cmpx_gt_i32_e64 s6, v0
	s_cbranch_execz .LBB40_30
; %bb.1:
	s_mul_f32 s30, s20, 0x4f7ffffe
	s_xor_b32 s31, ttmp9, s4
	s_sub_co_i32 s33, 0, s3
	s_ashr_i32 s34, s31, 31
	s_cvt_u32_f32 s30, s30
	s_xor_b32 s28, s28, s34
	s_mov_b32 s31, s29
	s_sub_co_i32 s34, s28, s34
	s_mul_i32 s33, s33, s30
	s_abs_i32 s28, s34
	s_mul_hi_u32 s33, s30, s33
	s_load_b256 s[20:27], s[0:1], 0x0
	s_add_co_i32 s30, s30, s33
	s_ashr_i32 s37, s34, 31
	s_mul_u64 s[30:31], s[28:29], s[30:31]
	s_mul_i32 s34, s34, s4
	s_mul_i32 s30, s31, s3
	;; [unrolled: 1-line block ×3, first 2 shown]
	s_sub_co_i32 s28, s28, s30
	s_sub_co_i32 s30, ttmp9, s34
	s_sub_co_i32 s31, s28, s3
	s_cmp_ge_u32 s28, s3
	s_mov_b32 s34, s4
	s_cselect_b32 s19, s31, s28
	s_mov_b32 s36, s5
	s_sub_co_i32 s28, s19, s3
	s_cmp_ge_u32 s19, s3
	s_mov_b32 s40, s17
	s_cselect_b32 s3, s28, s19
	s_ashr_i32 s35, s4, 31
	s_wait_alu 0xfffe
	s_xor_b32 s3, s3, s37
	s_wait_kmcnt 0x0
	v_cmp_neq_f64_e64 s28, s[24:25], 1.0
	s_wait_alu 0xfffe
	s_sub_co_i32 s38, s3, s37
	v_cmp_neq_f64_e64 s42, s[26:27], 0
	s_ashr_i32 s39, s38, 31
	s_ashr_i32 s37, s5, 31
	;; [unrolled: 1-line block ×3, first 2 shown]
	s_mul_u64 s[34:35], s[38:39], s[34:35]
	s_ashr_i32 s31, s30, 31
	s_wait_alu 0xfffe
	s_mul_u64 s[36:37], s[2:3], s[36:37]
	s_add_nc_u64 s[34:35], s[34:35], s[30:31]
	s_ashr_i32 s5, s9, 31
	s_mul_u64 s[34:35], s[36:37], s[34:35]
	s_ashr_i32 s31, s10, 31
	s_ashr_i32 s50, s33, 31
	s_lshl_b64 s[36:37], s[34:35], 1
	s_cmp_lt_i32 s17, 1
	s_mov_b32 s4, s9
	s_cselect_b32 s51, -1, 0
	s_add_co_i32 s15, s30, s15
	s_cmp_gt_i32 s18, 0
	s_mov_b32 s30, s10
	s_cselect_b32 s52, -1, 0
	s_cmp_gt_i32 s7, 0
	s_clause 0x1
	s_load_b64 s[34:35], s[0:1], 0x20
	s_load_b32 s10, s[0:1], 0xec
	s_cselect_b32 s53, -1, 0
	s_abs_i32 s54, s2
	s_abs_i32 s55, s8
	s_cvt_f32_u32 s1, s54
	s_cvt_f32_u32 s9, s55
	s_abs_i32 s56, s11
	s_add_nc_u64 s[20:21], s[20:21], s[36:37]
	v_rcp_iflag_f32_e32 v1, s1
	v_rcp_iflag_f32_e32 v2, s9
	s_cvt_f32_u32 s36, s56
	s_abs_i32 s57, s12
	s_ashr_i32 s19, s18, 31
	s_ashr_i32 s9, s8, 31
	;; [unrolled: 1-line block ×4, first 2 shown]
	s_mov_b32 s0, s7
	s_or_b32 s59, s28, s42
	v_readfirstlane_b32 s37, v1
	v_rcp_iflag_f32_e32 v1, s36
	s_cvt_f32_u32 s36, s57
	v_readfirstlane_b32 s43, v2
	s_wait_kmcnt 0x0
	s_and_b32 s58, s10, 0xffff
	s_mul_f32 s10, s37, 0x4f7ffffe
	s_wait_alu 0xfffe
	v_rcp_iflag_f32_e32 v2, s36
	s_sub_co_i32 s36, 0, s54
	s_mul_f32 s28, s43, 0x4f7ffffe
	s_cvt_u32_f32 s10, s10
	s_sub_co_i32 s42, 0, s55
	v_readfirstlane_b32 s37, v1
	s_cvt_u32_f32 s28, s28
	s_wait_alu 0xfffe
	s_mul_i32 s36, s36, s10
	s_ashr_i32 s1, s7, 31
	s_wait_alu 0xfffe
	s_mul_hi_u32 s36, s10, s36
	v_readfirstlane_b32 s43, v2
	s_mul_i32 s42, s42, s28
	s_mul_f32 s37, s37, 0x4f7ffffe
	s_mul_hi_u32 s42, s28, s42
	s_wait_alu 0xfffe
	s_add_co_i32 s60, s10, s36
	s_add_co_i32 s61, s28, s42
	s_cvt_u32_f32 s10, s37
	s_mul_f32 s28, s43, 0x4f7ffffe
	s_sub_co_i32 s36, 0, s56
	s_mul_u64 s[42:43], s[18:19], s[8:9]
	s_wait_alu 0xfffe
	s_mul_i32 s36, s36, s10
	s_cvt_u32_f32 s28, s28
	s_wait_alu 0xfffe
	s_mul_hi_u32 s11, s10, s36
	s_sub_co_i32 s36, 0, s57
	s_mul_u64 s[44:45], s[30:31], s[4:5]
	s_wait_alu 0xfffe
	s_mul_i32 s36, s36, s28
	s_mul_u64 s[46:47], s[42:43], s[40:41]
	s_wait_alu 0xfffe
	s_mul_hi_u32 s36, s28, s36
	v_mov_b32_e32 v15, 0x7e00
	s_ashr_i32 s5, s12, 31
	s_wait_alu 0xfffe
	s_add_co_i32 s12, s28, s36
	s_lshl_b64 s[36:37], s[0:1], 1
	s_mul_u64 s[38:39], s[44:45], s[38:39]
	s_mul_u64 s[0:1], s[46:47], s[0:1]
	s_add_co_i32 s10, s10, s11
	s_mov_b32 s11, s29
	s_lshl_b64 s[38:39], s[38:39], 1
	s_wait_alu 0xfffe
	s_lshl_b64 s[40:41], s[0:1], 1
	s_lshl_b64 s[42:43], s[42:43], 1
	;; [unrolled: 1-line block ×4, first 2 shown]
	s_mov_b32 s19, 0
	s_branch .LBB40_3
.LBB40_2:                               ;   in Loop: Header=BB40_3 Depth=1
	v_add_nc_u32_e32 v0, s58, v0
	s_delay_alu instid0(VALU_DEP_1) | instskip(SKIP_1) | instid1(SALU_CYCLE_1)
	v_cmp_le_i32_e32 vcc_lo, s6, v0
	s_or_b32 s19, vcc_lo, s19
	s_and_not1_b32 exec_lo, exec_lo, s19
	s_cbranch_execz .LBB40_30
.LBB40_3:                               ; =>This Loop Header: Depth=1
                                        ;     Child Loop BB40_8 Depth 2
                                        ;       Child Loop BB40_17 Depth 3
                                        ;         Child Loop BB40_24 Depth 4
	v_sub_nc_u32_e32 v1, 0, v0
	s_mov_b32 s0, -1
	s_delay_alu instid0(VALU_DEP_1) | instskip(NEXT) | instid1(VALU_DEP_1)
	v_max_i32_e32 v1, v0, v1
	v_mul_hi_u32 v2, v1, s60
	s_delay_alu instid0(VALU_DEP_1) | instskip(NEXT) | instid1(VALU_DEP_1)
	v_mul_lo_u32 v3, v2, s54
	v_sub_nc_u32_e32 v1, v1, v3
	v_add_nc_u32_e32 v3, 1, v2
	s_delay_alu instid0(VALU_DEP_2) | instskip(SKIP_2) | instid1(VALU_DEP_2)
	v_subrev_nc_u32_e32 v4, s54, v1
	v_cmp_le_u32_e32 vcc_lo, s54, v1
	s_wait_alu 0xfffd
	v_dual_cndmask_b32 v2, v2, v3 :: v_dual_cndmask_b32 v1, v1, v4
	v_ashrrev_i32_e32 v3, 31, v0
	s_delay_alu instid0(VALU_DEP_2) | instskip(NEXT) | instid1(VALU_DEP_3)
	v_add_nc_u32_e32 v4, 1, v2
	v_cmp_le_u32_e32 vcc_lo, s54, v1
	s_delay_alu instid0(VALU_DEP_3) | instskip(SKIP_1) | instid1(VALU_DEP_3)
	v_xor_b32_e32 v3, s3, v3
	s_wait_alu 0xfffd
	v_cndmask_b32_e32 v1, v2, v4, vcc_lo
	s_delay_alu instid0(VALU_DEP_1) | instskip(NEXT) | instid1(VALU_DEP_1)
	v_xor_b32_e32 v1, v1, v3
	v_sub_nc_u32_e32 v16, v1, v3
	s_delay_alu instid0(VALU_DEP_1) | instskip(NEXT) | instid1(VALU_DEP_1)
	v_mul_lo_u32 v1, v16, s2
	v_sub_nc_u32_e32 v5, v0, v1
	s_delay_alu instid0(VALU_DEP_1) | instskip(SKIP_1) | instid1(VALU_DEP_2)
	v_sub_nc_u32_e32 v1, 0, v5
	v_ashrrev_i32_e32 v6, 31, v5
	v_max_i32_e32 v1, v5, v1
	s_delay_alu instid0(VALU_DEP_1) | instskip(NEXT) | instid1(VALU_DEP_1)
	v_mul_hi_u32 v2, v1, s61
	v_mul_lo_u32 v3, v2, s55
	s_delay_alu instid0(VALU_DEP_1) | instskip(SKIP_1) | instid1(VALU_DEP_2)
	v_sub_nc_u32_e32 v1, v1, v3
	v_add_nc_u32_e32 v3, 1, v2
	v_subrev_nc_u32_e32 v4, s55, v1
	v_cmp_le_u32_e32 vcc_lo, s55, v1
	s_wait_alu 0xfffd
	s_delay_alu instid0(VALU_DEP_2) | instskip(SKIP_1) | instid1(VALU_DEP_2)
	v_dual_cndmask_b32 v2, v2, v3 :: v_dual_cndmask_b32 v1, v1, v4
	v_xor_b32_e32 v4, s9, v6
	v_add_nc_u32_e32 v3, 1, v2
	s_delay_alu instid0(VALU_DEP_3) | instskip(SKIP_1) | instid1(VALU_DEP_2)
	v_cmp_le_u32_e32 vcc_lo, s55, v1
	s_wait_alu 0xfffd
	v_cndmask_b32_e32 v1, v2, v3, vcc_lo
	s_and_not1_b32 vcc_lo, exec_lo, s51
	s_delay_alu instid0(VALU_DEP_1) | instskip(NEXT) | instid1(VALU_DEP_1)
	v_xor_b32_e32 v1, v1, v4
	v_sub_nc_u32_e32 v17, v1, v4
	s_delay_alu instid0(VALU_DEP_1) | instskip(SKIP_1) | instid1(VALU_DEP_2)
	v_mul_lo_u32 v7, v17, s8
	v_ashrrev_i32_e32 v18, 31, v17
	v_sub_nc_u32_e32 v3, v5, v7
	s_delay_alu instid0(VALU_DEP_1)
	v_ashrrev_i32_e32 v4, 31, v3
	s_wait_alu 0xfffe
	s_cbranch_vccnz .LBB40_5
; %bb.4:                                ;   in Loop: Header=BB40_3 Depth=1
	s_mov_b32 s0, 0
.LBB40_5:                               ;   in Loop: Header=BB40_3 Depth=1
	v_mov_b32_e32 v1, 0
	v_mov_b32_e32 v2, 0
	s_wait_alu 0xfffe
	s_and_not1_b32 vcc_lo, exec_lo, s0
	s_wait_alu 0xfffe
	s_cbranch_vccnz .LBB40_26
; %bb.6:                                ;   in Loop: Header=BB40_3 Depth=1
	v_lshlrev_b64_e32 v[1:2], 1, v[5:6]
	v_mul_lo_u32 v10, s41, v17
	v_mul_lo_u32 v11, s40, v18
	v_ashrrev_i32_e32 v8, 31, v7
	v_mad_co_u64_u32 v[5:6], null, s36, v17, s[34:35]
	v_mad_co_u64_u32 v[1:2], null, s40, v17, v[1:2]
	s_delay_alu instid0(VALU_DEP_3)
	v_lshlrev_b64_e32 v[7:8], 1, v[7:8]
	v_mul_lo_u32 v9, s37, v17
	v_mul_lo_u32 v12, s36, v18
	v_add_nc_u32_e32 v19, s16, v16
	s_mov_b32 s63, 0
	v_add3_u32 v2, v10, v2, v11
	v_sub_co_u32 v7, vcc_lo, v1, v7
	s_delay_alu instid0(VALU_DEP_4) | instskip(SKIP_1) | instid1(VALU_DEP_3)
	v_add3_u32 v6, v9, v6, v12
	s_wait_alu 0xfffd
	v_sub_co_ci_u32_e64 v8, null, v2, v8, vcc_lo
	s_delay_alu instid0(VALU_DEP_3)
	v_add_co_u32 v7, vcc_lo, s22, v7
	v_mov_b32_e32 v1, 0
	v_mov_b32_e32 v2, 0
	s_wait_alu 0xfffd
	v_add_co_ci_u32_e64 v8, null, s23, v8, vcc_lo
	s_branch .LBB40_8
.LBB40_7:                               ;   in Loop: Header=BB40_8 Depth=2
	v_add_co_u32 v7, vcc_lo, v7, s42
	s_wait_alu 0xfffd
	v_add_co_ci_u32_e64 v8, null, s43, v8, vcc_lo
	s_add_co_i32 s63, s63, 1
	s_delay_alu instid0(SALU_CYCLE_1)
	s_cmp_eq_u32 s63, s17
	s_cbranch_scc1 .LBB40_26
.LBB40_8:                               ;   Parent Loop BB40_3 Depth=1
                                        ; =>  This Loop Header: Depth=2
                                        ;       Child Loop BB40_17 Depth 3
                                        ;         Child Loop BB40_24 Depth 4
	s_mul_i32 s0, s13, s63
	s_mov_b32 s65, -1
	s_wait_alu 0xfffe
	s_sub_co_i32 s49, s15, s0
	s_mov_b32 s64, 0
	s_wait_alu 0xfffe
	s_cmp_gt_i32 s49, -1
                                        ; implicit-def: $sgpr28
                                        ; implicit-def: $sgpr1
                                        ; implicit-def: $sgpr0
                                        ; implicit-def: $sgpr48
	s_cbranch_scc1 .LBB40_12
; %bb.9:                                ;   in Loop: Header=BB40_8 Depth=2
	s_and_not1_b32 vcc_lo, exec_lo, s65
	s_wait_alu 0xfffe
	s_cbranch_vccz .LBB40_13
.LBB40_10:                              ;   in Loop: Header=BB40_8 Depth=2
	s_and_not1_b32 vcc_lo, exec_lo, s64
	s_mov_b32 s49, 1
	s_wait_alu 0xfffe
	s_cbranch_vccz .LBB40_14
; %bb.11:                               ;   in Loop: Header=BB40_8 Depth=2
	s_and_not1_b32 vcc_lo, exec_lo, s52
	s_wait_alu 0xfffe
	s_cbranch_vccz .LBB40_15
	s_branch .LBB40_7
.LBB40_12:                              ;   in Loop: Header=BB40_8 Depth=2
	s_abs_i32 s28, s49
	s_delay_alu instid0(SALU_CYCLE_1)
	s_mul_u64 s[0:1], s[28:29], s[10:11]
	s_wait_alu 0xfffe
	s_mul_i32 s0, s1, s56
	s_wait_alu 0xfffe
	s_sub_co_i32 s0, s28, s0
	s_ashr_i32 s28, s49, 31
	s_wait_alu 0xfffe
	s_sub_co_i32 s48, s0, s56
	s_cmp_ge_u32 s0, s56
	s_wait_alu 0xfffe
	s_cselect_b32 s64, s48, s0
	s_delay_alu instid0(SALU_CYCLE_1) | instskip(SKIP_2) | instid1(SALU_CYCLE_1)
	s_sub_co_i32 s65, s64, s56
	s_cmp_ge_u32 s64, s56
	s_cselect_b32 s64, s65, s64
	s_xor_b32 s64, s64, s28
	s_delay_alu instid0(SALU_CYCLE_1) | instskip(NEXT) | instid1(SALU_CYCLE_1)
	s_sub_co_i32 s64, s64, s28
	s_cmp_lg_u32 s64, 0
	s_cselect_b32 s64, -1, 0
	s_cbranch_execnz .LBB40_10
.LBB40_13:                              ;   in Loop: Header=BB40_8 Depth=2
	s_abs_i32 s28, s49
	s_delay_alu instid0(SALU_CYCLE_1)
	s_mul_u64 s[0:1], s[28:29], s[10:11]
	s_wait_alu 0xfffe
	s_mul_i32 s0, s1, s56
	s_wait_alu 0xfffe
	s_sub_co_i32 s0, s28, s0
	s_ashr_i32 s28, s49, 31
	s_wait_alu 0xfffe
	s_sub_co_i32 s48, s0, s56
	s_mov_b32 s49, 1
.LBB40_14:                              ;   in Loop: Header=BB40_8 Depth=2
	s_mov_b32 s49, 0
	s_and_not1_b32 vcc_lo, exec_lo, s52
	s_wait_alu 0xfffe
	s_cbranch_vccnz .LBB40_7
.LBB40_15:                              ;   in Loop: Header=BB40_8 Depth=2
	s_xor_b32 s28, s28, s62
	s_add_co_i32 s64, s1, 1
	s_cmp_ge_u32 s0, s56
	v_dual_mov_b32 v10, v8 :: v_dual_mov_b32 v9, v7
	s_cselect_b32 s1, s64, s1
	s_cselect_b32 s0, s48, s0
	s_wait_alu 0xfffe
	s_add_co_i32 s48, s1, 1
	s_cmp_ge_u32 s0, s56
	s_wait_alu 0xfffe
	s_cselect_b32 s0, s48, s1
	s_wait_alu 0xfffe
	s_xor_b32 s0, s0, s28
	s_wait_alu 0xfffe
	s_sub_co_i32 s48, s0, s28
	s_mov_b32 s28, 0
	s_wait_alu 0xfffe
	s_cmp_lt_i32 s48, s4
	s_cselect_b32 s1, s49, 0
	s_ashr_i32 s49, s48, 31
	s_wait_alu 0xfffe
	s_mul_u64 s[48:49], s[48:49], s[30:31]
	s_branch .LBB40_17
.LBB40_16:                              ;   in Loop: Header=BB40_17 Depth=3
	v_add_co_u32 v9, vcc_lo, v9, s44
	s_wait_alu 0xfffd
	v_add_co_ci_u32_e64 v10, null, s45, v10, vcc_lo
	s_add_co_i32 s28, s28, 1
	s_delay_alu instid0(SALU_CYCLE_1)
	s_cmp_eq_u32 s28, s18
	s_cbranch_scc1 .LBB40_7
.LBB40_17:                              ;   Parent Loop BB40_3 Depth=1
                                        ;     Parent Loop BB40_8 Depth=2
                                        ; =>    This Loop Header: Depth=3
                                        ;         Child Loop BB40_24 Depth 4
	s_mul_i32 s0, s14, s28
	s_wait_alu 0xfffe
	v_subrev_nc_u32_e32 v12, s0, v19
	s_delay_alu instid0(VALU_DEP_1) | instskip(SKIP_3) | instid1(VALU_DEP_4)
	v_sub_nc_u32_e32 v13, 0, v12
	v_cmp_gt_i32_e64 s0, 0, v12
	v_cmp_lt_i32_e32 vcc_lo, -1, v12
	v_ashrrev_i32_e32 v11, 31, v12
	v_max_i32_e32 v12, v12, v13
	s_and_saveexec_b32 s64, vcc_lo
	s_cbranch_execnz .LBB40_20
; %bb.18:                               ;   in Loop: Header=BB40_17 Depth=3
	s_or_b32 exec_lo, exec_lo, s64
	v_mov_b32_e32 v13, 1
	s_and_saveexec_b32 s64, s0
	s_cbranch_execnz .LBB40_21
.LBB40_19:                              ;   in Loop: Header=BB40_17 Depth=3
	s_or_b32 exec_lo, exec_lo, s64
	s_delay_alu instid0(SALU_CYCLE_1)
	s_and_not1_b32 vcc_lo, exec_lo, s53
	s_wait_alu 0xfffe
	s_cbranch_vccz .LBB40_22
	s_branch .LBB40_16
.LBB40_20:                              ;   in Loop: Header=BB40_17 Depth=3
	s_delay_alu instid0(VALU_DEP_1) | instskip(SKIP_1) | instid1(VALU_DEP_1)
	v_mul_hi_u32 v13, v12, s12
	s_and_not1_b32 s0, s0, exec_lo
	v_mul_lo_u32 v13, v13, s57
	s_delay_alu instid0(VALU_DEP_1) | instskip(NEXT) | instid1(VALU_DEP_1)
	v_sub_nc_u32_e32 v13, v12, v13
	v_subrev_nc_u32_e32 v14, s57, v13
	v_cmp_le_u32_e32 vcc_lo, s57, v13
	s_wait_alu 0xfffd
	s_delay_alu instid0(VALU_DEP_2) | instskip(NEXT) | instid1(VALU_DEP_1)
	v_cndmask_b32_e32 v13, v13, v14, vcc_lo
	v_subrev_nc_u32_e32 v14, s57, v13
	v_cmp_le_u32_e32 vcc_lo, s57, v13
	s_wait_alu 0xfffd
	s_delay_alu instid0(VALU_DEP_2) | instskip(NEXT) | instid1(VALU_DEP_1)
	v_cndmask_b32_e32 v13, v13, v14, vcc_lo
	v_xor_b32_e32 v13, v13, v11
	s_delay_alu instid0(VALU_DEP_1) | instskip(NEXT) | instid1(VALU_DEP_1)
	v_sub_nc_u32_e32 v13, v13, v11
	v_cmp_ne_u32_e32 vcc_lo, 0, v13
	s_and_b32 s65, vcc_lo, exec_lo
	s_wait_alu 0xfffe
	s_or_b32 s0, s0, s65
	s_or_b32 exec_lo, exec_lo, s64
	v_mov_b32_e32 v13, 1
	s_wait_alu 0xfffe
	s_and_saveexec_b32 s64, s0
	s_cbranch_execz .LBB40_19
.LBB40_21:                              ;   in Loop: Header=BB40_17 Depth=3
	v_mov_b32_e32 v13, 0
	s_or_b32 exec_lo, exec_lo, s64
	s_delay_alu instid0(SALU_CYCLE_1)
	s_and_not1_b32 vcc_lo, exec_lo, s53
	s_wait_alu 0xfffe
	s_cbranch_vccnz .LBB40_16
.LBB40_22:                              ;   in Loop: Header=BB40_17 Depth=3
	v_mul_hi_u32 v14, v12, s12
	v_xor_b32_e32 v11, s5, v11
	s_mov_b32 s64, s7
	s_delay_alu instid0(VALU_DEP_2) | instskip(NEXT) | instid1(VALU_DEP_1)
	v_mul_lo_u32 v20, v14, s57
	v_sub_nc_u32_e32 v12, v12, v20
	v_add_nc_u32_e32 v20, 1, v14
	s_delay_alu instid0(VALU_DEP_2) | instskip(SKIP_2) | instid1(VALU_DEP_3)
	v_subrev_nc_u32_e32 v21, s57, v12
	v_cmp_le_u32_e32 vcc_lo, s57, v12
	s_wait_alu 0xfffd
	v_cndmask_b32_e32 v14, v14, v20, vcc_lo
	s_delay_alu instid0(VALU_DEP_3) | instskip(NEXT) | instid1(VALU_DEP_2)
	v_cndmask_b32_e32 v12, v12, v21, vcc_lo
	v_add_nc_u32_e32 v20, 1, v14
	s_delay_alu instid0(VALU_DEP_2) | instskip(SKIP_1) | instid1(VALU_DEP_2)
	v_cmp_le_u32_e32 vcc_lo, s57, v12
	s_wait_alu 0xfffd
	v_cndmask_b32_e32 v12, v14, v20, vcc_lo
	s_delay_alu instid0(VALU_DEP_1) | instskip(NEXT) | instid1(VALU_DEP_1)
	v_xor_b32_e32 v12, v12, v11
	v_sub_nc_u32_e32 v14, v12, v11
	s_delay_alu instid0(VALU_DEP_1) | instskip(SKIP_2) | instid1(VALU_DEP_2)
	v_ashrrev_i32_e32 v12, 31, v14
	v_add_co_u32 v11, vcc_lo, s48, v14
	s_wait_alu 0xfffd
	v_add_co_ci_u32_e64 v12, null, s49, v12, vcc_lo
	v_cmp_gt_i32_e32 vcc_lo, s30, v14
	s_delay_alu instid0(VALU_DEP_2) | instskip(SKIP_2) | instid1(VALU_DEP_2)
	v_lshlrev_b64_e32 v[11:12], 1, v[11:12]
	s_wait_alu 0xfffd
	v_cndmask_b32_e32 v13, 0, v13, vcc_lo
	v_add_co_u32 v11, vcc_lo, s38, v11
	s_wait_alu 0xfffd
	s_delay_alu instid0(VALU_DEP_3) | instskip(NEXT) | instid1(VALU_DEP_3)
	v_add_co_ci_u32_e64 v12, null, s39, v12, vcc_lo
	v_and_b32_e32 v13, s1, v13
	s_delay_alu instid0(VALU_DEP_3) | instskip(NEXT) | instid1(VALU_DEP_3)
	v_mul_lo_u32 v20, s50, v11
	v_mul_lo_u32 v14, s33, v12
	v_mad_co_u64_u32 v[11:12], null, s33, v11, v[5:6]
	s_delay_alu instid0(VALU_DEP_4) | instskip(NEXT) | instid1(VALU_DEP_1)
	v_and_b32_e32 v13, 1, v13
	v_cmp_eq_u32_e32 vcc_lo, 1, v13
	s_delay_alu instid0(VALU_DEP_3)
	v_add3_u32 v12, v20, v12, v14
	v_dual_mov_b32 v14, v10 :: v_dual_mov_b32 v13, v9
	s_branch .LBB40_24
.LBB40_23:                              ;   in Loop: Header=BB40_24 Depth=4
	s_wait_alu 0xfffe
	s_or_b32 exec_lo, exec_lo, s0
	v_add_co_u32 v11, s0, v11, 2
	s_wait_alu 0xf1ff
	v_add_co_ci_u32_e64 v12, null, 0, v12, s0
	v_add_co_u32 v13, s0, v13, s46
	s_wait_alu 0xf1ff
	v_add_co_ci_u32_e64 v14, null, s47, v14, s0
	s_add_co_i32 s64, s64, -1
	s_delay_alu instid0(SALU_CYCLE_1)
	s_cmp_eq_u32 s64, 0
	s_cbranch_scc1 .LBB40_16
.LBB40_24:                              ;   Parent Loop BB40_3 Depth=1
                                        ;     Parent Loop BB40_8 Depth=2
                                        ;       Parent Loop BB40_17 Depth=3
                                        ; =>      This Inner Loop Header: Depth=4
	s_and_saveexec_b32 s0, vcc_lo
	s_cbranch_execz .LBB40_23
; %bb.25:                               ;   in Loop: Header=BB40_24 Depth=4
	global_load_u16 v20, v[11:12], off
	global_load_u16 v21, v[13:14], off
	s_wait_loadcnt 0x1
	v_cvt_f32_f16_e32 v20, v20
	s_wait_loadcnt 0x0
	v_cvt_f32_f16_e32 v22, v21
	s_delay_alu instid0(VALU_DEP_2) | instskip(NEXT) | instid1(VALU_DEP_2)
	v_cvt_f64_f32_e32 v[20:21], v20
	v_cvt_f64_f32_e32 v[22:23], v22
	s_delay_alu instid0(VALU_DEP_1)
	v_fma_f64 v[1:2], v[20:21], v[22:23], v[1:2]
	s_branch .LBB40_23
.LBB40_26:                              ;   in Loop: Header=BB40_3 Depth=1
	v_mad_co_i64_i32 v[3:4], null, v16, s2, v[3:4]
	v_mul_lo_u32 v5, v17, s9
	v_mul_lo_u32 v6, v18, s8
	s_and_b32 vcc_lo, exec_lo, s59
	s_mov_b32 s0, -1
	s_delay_alu instid0(VALU_DEP_3) | instskip(NEXT) | instid1(VALU_DEP_1)
	v_mad_co_u64_u32 v[3:4], null, v17, s8, v[3:4]
	v_add3_u32 v4, v6, v4, v5
	s_delay_alu instid0(VALU_DEP_1)
	v_lshlrev_b64_e32 v[3:4], 1, v[3:4]
	s_wait_alu 0xfffe
	s_cbranch_vccz .LBB40_28
; %bb.27:                               ;   in Loop: Header=BB40_3 Depth=1
	s_delay_alu instid0(VALU_DEP_1) | instskip(SKIP_1) | instid1(VALU_DEP_2)
	v_add_co_u32 v5, vcc_lo, s20, v3
	s_wait_alu 0xfffd
	v_add_co_ci_u32_e64 v6, null, s21, v4, vcc_lo
	s_mov_b32 s0, 0
	global_load_u16 v7, v[5:6], off
	s_wait_loadcnt 0x0
	v_cvt_f32_f16_e32 v7, v7
	s_delay_alu instid0(VALU_DEP_1) | instskip(NEXT) | instid1(VALU_DEP_1)
	v_cvt_f64_f32_e32 v[7:8], v7
	v_mul_f64_e32 v[7:8], s[26:27], v[7:8]
	s_delay_alu instid0(VALU_DEP_1) | instskip(NEXT) | instid1(VALU_DEP_1)
	v_fma_f64 v[7:8], s[24:25], v[1:2], v[7:8]
	v_and_or_b32 v7, 0x1ff, v8, v7
	v_lshrrev_b32_e32 v9, 8, v8
	v_bfe_u32 v10, v8, 20, 11
	v_lshrrev_b32_e32 v8, 16, v8
	s_delay_alu instid0(VALU_DEP_4) | instskip(NEXT) | instid1(VALU_DEP_3)
	v_cmp_ne_u32_e32 vcc_lo, 0, v7
	v_sub_nc_u32_e32 v11, 0x3f1, v10
	s_wait_alu 0xfffd
	v_cndmask_b32_e64 v7, 0, 1, vcc_lo
	s_delay_alu instid0(VALU_DEP_1) | instskip(NEXT) | instid1(VALU_DEP_3)
	v_and_or_b32 v7, 0xffe, v9, v7
	v_med3_i32 v9, v11, 0, 13
	s_delay_alu instid0(VALU_DEP_2) | instskip(NEXT) | instid1(VALU_DEP_1)
	v_or_b32_e32 v11, 0x1000, v7
	v_lshrrev_b32_e32 v12, v9, v11
	s_delay_alu instid0(VALU_DEP_1) | instskip(NEXT) | instid1(VALU_DEP_1)
	v_lshlrev_b32_e32 v9, v9, v12
	v_cmp_ne_u32_e32 vcc_lo, v9, v11
	s_wait_alu 0xfffd
	v_cndmask_b32_e64 v9, 0, 1, vcc_lo
	s_delay_alu instid0(VALU_DEP_1) | instskip(SKIP_1) | instid1(VALU_DEP_1)
	v_or_b32_e32 v9, v12, v9
	v_add_nc_u32_e32 v10, 0xfffffc10, v10
	v_lshl_or_b32 v11, v10, 12, v7
	v_cmp_gt_i32_e32 vcc_lo, 1, v10
	s_wait_alu 0xfffd
	s_delay_alu instid0(VALU_DEP_2) | instskip(NEXT) | instid1(VALU_DEP_1)
	v_cndmask_b32_e32 v9, v11, v9, vcc_lo
	v_and_b32_e32 v11, 7, v9
	v_lshrrev_b32_e32 v9, 2, v9
	s_delay_alu instid0(VALU_DEP_2)
	v_cmp_lt_i32_e32 vcc_lo, 5, v11
	s_wait_alu 0xfffd
	v_cndmask_b32_e64 v12, 0, 1, vcc_lo
	v_cmp_eq_u32_e32 vcc_lo, 3, v11
	s_wait_alu 0xfffd
	v_cndmask_b32_e64 v11, 0, 1, vcc_lo
	v_cmp_ne_u32_e32 vcc_lo, 0, v7
	s_delay_alu instid0(VALU_DEP_2) | instskip(SKIP_3) | instid1(VALU_DEP_3)
	v_or_b32_e32 v11, v11, v12
	s_wait_alu 0xfffd
	v_cndmask_b32_e32 v7, 0x7c00, v15, vcc_lo
	v_cmp_gt_i32_e32 vcc_lo, 31, v10
	v_add_nc_u32_e32 v9, v9, v11
	s_wait_alu 0xfffd
	s_delay_alu instid0(VALU_DEP_1) | instskip(SKIP_2) | instid1(VALU_DEP_2)
	v_cndmask_b32_e32 v9, 0x7c00, v9, vcc_lo
	v_cmp_eq_u32_e32 vcc_lo, 0x40f, v10
	s_wait_alu 0xfffd
	v_cndmask_b32_e32 v7, v9, v7, vcc_lo
	s_delay_alu instid0(VALU_DEP_1)
	v_and_or_b32 v7, 0x8000, v8, v7
	global_store_b16 v[5:6], v7, off
.LBB40_28:                              ;   in Loop: Header=BB40_3 Depth=1
	s_wait_alu 0xfffe
	s_and_not1_b32 vcc_lo, exec_lo, s0
	s_wait_alu 0xfffe
	s_cbranch_vccnz .LBB40_2
; %bb.29:                               ;   in Loop: Header=BB40_3 Depth=1
	v_and_or_b32 v1, 0x1ff, v2, v1
	v_lshrrev_b32_e32 v5, 8, v2
	v_bfe_u32 v6, v2, 20, 11
	v_lshrrev_b32_e32 v2, 16, v2
	s_delay_alu instid0(VALU_DEP_4) | instskip(NEXT) | instid1(VALU_DEP_3)
	v_cmp_ne_u32_e32 vcc_lo, 0, v1
	v_sub_nc_u32_e32 v7, 0x3f1, v6
	s_wait_alu 0xfffd
	v_cndmask_b32_e64 v1, 0, 1, vcc_lo
	s_delay_alu instid0(VALU_DEP_1) | instskip(NEXT) | instid1(VALU_DEP_3)
	v_and_or_b32 v1, 0xffe, v5, v1
	v_med3_i32 v5, v7, 0, 13
	s_delay_alu instid0(VALU_DEP_2) | instskip(NEXT) | instid1(VALU_DEP_1)
	v_or_b32_e32 v7, 0x1000, v1
	v_lshrrev_b32_e32 v8, v5, v7
	s_delay_alu instid0(VALU_DEP_1) | instskip(NEXT) | instid1(VALU_DEP_1)
	v_lshlrev_b32_e32 v5, v5, v8
	v_cmp_ne_u32_e32 vcc_lo, v5, v7
	s_wait_alu 0xfffd
	v_cndmask_b32_e64 v5, 0, 1, vcc_lo
	s_delay_alu instid0(VALU_DEP_1) | instskip(SKIP_1) | instid1(VALU_DEP_1)
	v_or_b32_e32 v5, v8, v5
	v_add_nc_u32_e32 v6, 0xfffffc10, v6
	v_lshl_or_b32 v7, v6, 12, v1
	v_cmp_gt_i32_e32 vcc_lo, 1, v6
	s_wait_alu 0xfffd
	s_delay_alu instid0(VALU_DEP_2) | instskip(NEXT) | instid1(VALU_DEP_1)
	v_cndmask_b32_e32 v5, v7, v5, vcc_lo
	v_and_b32_e32 v7, 7, v5
	v_lshrrev_b32_e32 v5, 2, v5
	s_delay_alu instid0(VALU_DEP_2)
	v_cmp_lt_i32_e32 vcc_lo, 5, v7
	s_wait_alu 0xfffd
	v_cndmask_b32_e64 v8, 0, 1, vcc_lo
	v_cmp_eq_u32_e32 vcc_lo, 3, v7
	s_wait_alu 0xfffd
	v_cndmask_b32_e64 v7, 0, 1, vcc_lo
	v_cmp_ne_u32_e32 vcc_lo, 0, v1
	s_delay_alu instid0(VALU_DEP_2) | instskip(SKIP_3) | instid1(VALU_DEP_3)
	v_or_b32_e32 v7, v7, v8
	s_wait_alu 0xfffd
	v_cndmask_b32_e32 v1, 0x7c00, v15, vcc_lo
	v_cmp_gt_i32_e32 vcc_lo, 31, v6
	v_add_nc_u32_e32 v5, v5, v7
	s_wait_alu 0xfffd
	s_delay_alu instid0(VALU_DEP_1) | instskip(SKIP_2) | instid1(VALU_DEP_2)
	v_cndmask_b32_e32 v5, 0x7c00, v5, vcc_lo
	v_cmp_eq_u32_e32 vcc_lo, 0x40f, v6
	s_wait_alu 0xfffd
	v_cndmask_b32_e32 v1, v5, v1, vcc_lo
	s_delay_alu instid0(VALU_DEP_1)
	v_and_or_b32 v5, 0x8000, v2, v1
	v_add_co_u32 v1, vcc_lo, s20, v3
	s_wait_alu 0xfffd
	v_add_co_ci_u32_e64 v2, null, s21, v4, vcc_lo
	global_store_b16 v[1:2], v5, off
	s_branch .LBB40_2
.LBB40_30:
	s_endpgm
	.section	.rodata,"a",@progbits
	.p2align	6, 0x0
	.amdhsa_kernel naive_conv_ab_packed_bwd_nhwc_half_double_half_0
		.amdhsa_group_segment_fixed_size 0
		.amdhsa_private_segment_fixed_size 0
		.amdhsa_kernarg_size 480
		.amdhsa_user_sgpr_count 2
		.amdhsa_user_sgpr_dispatch_ptr 0
		.amdhsa_user_sgpr_queue_ptr 0
		.amdhsa_user_sgpr_kernarg_segment_ptr 1
		.amdhsa_user_sgpr_dispatch_id 0
		.amdhsa_user_sgpr_private_segment_size 0
		.amdhsa_wavefront_size32 1
		.amdhsa_uses_dynamic_stack 0
		.amdhsa_enable_private_segment 0
		.amdhsa_system_sgpr_workgroup_id_x 1
		.amdhsa_system_sgpr_workgroup_id_y 0
		.amdhsa_system_sgpr_workgroup_id_z 0
		.amdhsa_system_sgpr_workgroup_info 0
		.amdhsa_system_vgpr_workitem_id 0
		.amdhsa_next_free_vgpr 24
		.amdhsa_next_free_sgpr 66
		.amdhsa_reserve_vcc 1
		.amdhsa_float_round_mode_32 0
		.amdhsa_float_round_mode_16_64 0
		.amdhsa_float_denorm_mode_32 3
		.amdhsa_float_denorm_mode_16_64 3
		.amdhsa_fp16_overflow 0
		.amdhsa_workgroup_processor_mode 1
		.amdhsa_memory_ordered 1
		.amdhsa_forward_progress 1
		.amdhsa_inst_pref_size 24
		.amdhsa_round_robin_scheduling 0
		.amdhsa_exception_fp_ieee_invalid_op 0
		.amdhsa_exception_fp_denorm_src 0
		.amdhsa_exception_fp_ieee_div_zero 0
		.amdhsa_exception_fp_ieee_overflow 0
		.amdhsa_exception_fp_ieee_underflow 0
		.amdhsa_exception_fp_ieee_inexact 0
		.amdhsa_exception_int_div_zero 0
	.end_amdhsa_kernel
	.text
.Lfunc_end40:
	.size	naive_conv_ab_packed_bwd_nhwc_half_double_half_0, .Lfunc_end40-naive_conv_ab_packed_bwd_nhwc_half_double_half_0
                                        ; -- End function
	.set naive_conv_ab_packed_bwd_nhwc_half_double_half_0.num_vgpr, 24
	.set naive_conv_ab_packed_bwd_nhwc_half_double_half_0.num_agpr, 0
	.set naive_conv_ab_packed_bwd_nhwc_half_double_half_0.numbered_sgpr, 66
	.set naive_conv_ab_packed_bwd_nhwc_half_double_half_0.num_named_barrier, 0
	.set naive_conv_ab_packed_bwd_nhwc_half_double_half_0.private_seg_size, 0
	.set naive_conv_ab_packed_bwd_nhwc_half_double_half_0.uses_vcc, 1
	.set naive_conv_ab_packed_bwd_nhwc_half_double_half_0.uses_flat_scratch, 0
	.set naive_conv_ab_packed_bwd_nhwc_half_double_half_0.has_dyn_sized_stack, 0
	.set naive_conv_ab_packed_bwd_nhwc_half_double_half_0.has_recursion, 0
	.set naive_conv_ab_packed_bwd_nhwc_half_double_half_0.has_indirect_call, 0
	.section	.AMDGPU.csdata,"",@progbits
; Kernel info:
; codeLenInByte = 3056
; TotalNumSgprs: 68
; NumVgprs: 24
; ScratchSize: 0
; MemoryBound: 0
; FloatMode: 240
; IeeeMode: 1
; LDSByteSize: 0 bytes/workgroup (compile time only)
; SGPRBlocks: 0
; VGPRBlocks: 2
; NumSGPRsForWavesPerEU: 68
; NumVGPRsForWavesPerEU: 24
; Occupancy: 16
; WaveLimiterHint : 0
; COMPUTE_PGM_RSRC2:SCRATCH_EN: 0
; COMPUTE_PGM_RSRC2:USER_SGPR: 2
; COMPUTE_PGM_RSRC2:TRAP_HANDLER: 0
; COMPUTE_PGM_RSRC2:TGID_X_EN: 1
; COMPUTE_PGM_RSRC2:TGID_Y_EN: 0
; COMPUTE_PGM_RSRC2:TGID_Z_EN: 0
; COMPUTE_PGM_RSRC2:TIDIG_COMP_CNT: 0
	.text
	.protected	naive_conv_ab_nonpacked_bwd_nhwc_half_double_half_0 ; -- Begin function naive_conv_ab_nonpacked_bwd_nhwc_half_double_half_0
	.globl	naive_conv_ab_nonpacked_bwd_nhwc_half_double_half_0
	.p2align	8
	.type	naive_conv_ab_nonpacked_bwd_nhwc_half_double_half_0,@function
naive_conv_ab_nonpacked_bwd_nhwc_half_double_half_0: ; @naive_conv_ab_nonpacked_bwd_nhwc_half_double_half_0
; %bb.0:
	s_load_b512 s[4:19], s[0:1], 0xa0
	s_abs_i32 s21, ttmp9
	s_wait_kmcnt 0x0
	s_abs_i32 s2, s4
	s_delay_alu instid0(SALU_CYCLE_1) | instskip(SKIP_1) | instid1(SALU_CYCLE_2)
	s_cvt_f32_u32 s3, s2
	s_sub_co_i32 s20, 0, s2
	v_rcp_iflag_f32_e32 v1, s3
	s_delay_alu instid0(TRANS32_DEP_1) | instskip(SKIP_2) | instid1(SALU_CYCLE_2)
	v_readfirstlane_b32 s3, v1
	s_mul_f32 s3, s3, 0x4f7ffffe
	s_wait_alu 0xfffe
	s_cvt_u32_f32 s3, s3
	s_wait_alu 0xfffe
	s_delay_alu instid0(SALU_CYCLE_2) | instskip(NEXT) | instid1(SALU_CYCLE_1)
	s_mul_i32 s20, s20, s3
	s_mul_hi_u32 s20, s3, s20
	s_delay_alu instid0(SALU_CYCLE_1) | instskip(SKIP_4) | instid1(SALU_CYCLE_1)
	s_add_co_i32 s3, s3, s20
	s_wait_alu 0xfffe
	s_mul_hi_u32 s3, s21, s3
	s_wait_alu 0xfffe
	s_mul_i32 s20, s3, s2
	s_sub_co_i32 s20, s21, s20
	s_add_co_i32 s21, s3, 1
	s_sub_co_i32 s22, s20, s2
	s_cmp_ge_u32 s20, s2
	s_cselect_b32 s3, s21, s3
	s_cselect_b32 s20, s22, s20
	s_wait_alu 0xfffe
	s_add_co_i32 s21, s3, 1
	s_cmp_ge_u32 s20, s2
	s_mov_b32 s20, exec_lo
	s_cselect_b32 s2, s21, s3
	s_abs_i32 s28, s6
	s_mul_i32 s6, s19, s8
	s_cvt_f32_u32 s3, s28
	s_mul_i32 s19, s6, s5
	s_wait_alu 0xfffe
	s_delay_alu instid0(SALU_CYCLE_1) | instskip(SKIP_1) | instid1(TRANS32_DEP_1)
	v_rcp_iflag_f32_e32 v1, s3
	s_mov_b32 s3, 0
	v_readfirstlane_b32 s5, v1
	v_cmpx_gt_i32_e64 s19, v0
	s_cbranch_execz .LBB41_30
; %bb.1:
	s_mul_f32 s5, s5, 0x4f7ffffe
	s_xor_b32 s29, ttmp9, s4
	s_sub_co_i32 s30, 0, s28
	s_ashr_i32 s29, s29, 31
	s_cvt_u32_f32 s5, s5
	s_xor_b32 s2, s2, s29
	s_wait_alu 0xfffe
	s_mov_b32 s31, s3
	s_sub_co_i32 s29, s2, s29
	s_mul_i32 s30, s30, s5
	s_abs_i32 s2, s29
	s_mul_hi_u32 s30, s5, s30
	s_load_b512 s[36:51], s[0:1], 0x28
	s_add_co_i32 s30, s5, s30
	s_ashr_i32 s5, s29, 31
	s_mul_u64 s[30:31], s[2:3], s[30:31]
	s_mul_i32 s29, s29, s4
	s_mul_i32 s30, s31, s28
	s_sub_co_i32 s4, ttmp9, s29
	s_sub_co_i32 s2, s2, s30
	s_load_b256 s[20:27], s[0:1], 0x0
	s_sub_co_i32 s29, s2, s28
	s_cmp_ge_u32 s2, s28
	s_load_b64 s[60:61], s[0:1], 0x20
	s_cselect_b32 s2, s29, s2
	s_load_b256 s[52:59], s[0:1], 0x68
	s_sub_co_i32 s29, s2, s28
	s_cmp_ge_u32 s2, s28
	v_mov_b32_e32 v15, 0x7e00
	s_cselect_b32 s2, s29, s2
	s_wait_alu 0xfffe
	s_xor_b32 s2, s2, s5
	s_wait_alu 0xfffe
	s_sub_co_i32 s62, s2, s5
	s_ashr_i32 s5, s4, 31
	s_ashr_i32 s63, s62, 31
	s_wait_kmcnt 0x0
	s_mul_u64 s[28:29], s[42:43], s[4:5]
	s_mul_u64 s[30:31], s[44:45], s[62:63]
	s_lshl_b64 s[34:35], s[28:29], 1
	s_lshl_b64 s[42:43], s[30:31], 1
	s_cmp_lt_i32 s17, 1
	v_cmp_neq_f64_e64 s73, s[24:25], 1.0
	v_cmp_neq_f64_e64 s74, s[26:27], 0
	s_cselect_b32 s33, -1, 0
	s_add_co_i32 s15, s4, s15
	s_cmp_gt_i32 s18, 0
	s_load_b32 s2, s[0:1], 0xec
	s_cselect_b32 s64, -1, 0
	s_cmp_gt_i32 s7, 0
	s_clause 0x1
	s_load_b64 s[78:79], s[0:1], 0x98
	s_load_b128 s[28:31], s[0:1], 0x88
	s_cselect_b32 s65, -1, 0
	s_abs_i32 s66, s6
	s_abs_i32 s67, s8
	s_cvt_f32_u32 s4, s66
	s_cvt_f32_u32 s5, s67
	s_abs_i32 s68, s11
	s_add_nc_u64 s[0:1], s[20:21], s[42:43]
	v_rcp_iflag_f32_e32 v1, s4
	v_rcp_iflag_f32_e32 v2, s5
	s_abs_i32 s69, s12
	s_cvt_f32_u32 s20, s68
	s_add_nc_u64 s[4:5], s[0:1], s[34:35]
	s_cvt_f32_u32 s0, s69
	s_ashr_i32 s71, s6, 31
	v_rcp_iflag_f32_e32 v3, s20
	s_sub_co_i32 s20, 0, s67
	v_rcp_iflag_f32_e32 v4, s0
	v_readfirstlane_b32 s0, v1
	v_readfirstlane_b32 s1, v2
	s_wait_kmcnt 0x0
	s_and_b32 s70, s2, 0xffff
	s_sub_co_i32 s2, 0, s66
	s_ashr_i32 s72, s8, 31
	s_mul_f32 s0, s0, 0x4f7ffffe
	s_mul_f32 s1, s1, 0x4f7ffffe
	v_readfirstlane_b32 s21, v3
	s_ashr_i32 s11, s11, 31
	s_wait_alu 0xfffe
	s_cvt_u32_f32 s0, s0
	s_cvt_u32_f32 s1, s1
	v_readfirstlane_b32 s34, v4
	s_mul_f32 s21, s21, 0x4f7ffffe
	s_wait_alu 0xfffe
	s_mul_i32 s2, s2, s0
	s_mul_i32 s20, s20, s1
	s_wait_alu 0xfffe
	s_mul_hi_u32 s2, s0, s2
	s_mul_hi_u32 s20, s1, s20
	s_or_b32 s73, s73, s74
	s_wait_alu 0xfffe
	s_add_co_i32 s74, s0, s2
	s_add_co_i32 s75, s1, s20
	s_cvt_u32_f32 s0, s21
	s_mul_f32 s1, s34, 0x4f7ffffe
	s_sub_co_i32 s2, 0, s68
	s_sub_co_i32 s21, 0, s69
	s_wait_alu 0xfffe
	s_mul_i32 s2, s2, s0
	s_cvt_u32_f32 s1, s1
	s_wait_alu 0xfffe
	s_mul_hi_u32 s2, s0, s2
	s_ashr_i32 s12, s12, 31
	s_wait_alu 0xfffe
	s_add_co_i32 s20, s0, s2
	s_mul_i32 s0, s21, s1
	s_mov_b32 s21, s3
	s_wait_alu 0xfffe
	s_mul_hi_u32 s0, s1, s0
	s_lshl_b64 s[34:35], s[46:47], 1
	s_wait_alu 0xfffe
	s_add_co_i32 s76, s1, s0
	s_mul_u64 s[0:1], s[78:79], s[62:63]
	s_lshl_b64 s[42:43], s[54:55], 1
	s_wait_alu 0xfffe
	s_lshl_b64 s[0:1], s[0:1], 1
	s_lshl_b64 s[44:45], s[50:51], 1
	;; [unrolled: 1-line block ×4, first 2 shown]
	s_wait_alu 0xfffe
	s_add_nc_u64 s[50:51], s[60:61], s[0:1]
	s_lshl_b64 s[52:53], s[58:59], 1
	s_lshl_b64 s[30:31], s[30:31], 1
	;; [unrolled: 1-line block ×4, first 2 shown]
	s_mov_b32 s56, 0
	s_branch .LBB41_3
.LBB41_2:                               ;   in Loop: Header=BB41_3 Depth=1
	v_add_nc_u32_e32 v0, s70, v0
	s_delay_alu instid0(VALU_DEP_1) | instskip(SKIP_1) | instid1(SALU_CYCLE_1)
	v_cmp_le_i32_e32 vcc_lo, s19, v0
	s_or_b32 s56, vcc_lo, s56
	s_and_not1_b32 exec_lo, exec_lo, s56
	s_cbranch_execz .LBB41_30
.LBB41_3:                               ; =>This Loop Header: Depth=1
                                        ;     Child Loop BB41_8 Depth 2
                                        ;       Child Loop BB41_17 Depth 3
                                        ;         Child Loop BB41_24 Depth 4
	v_sub_nc_u32_e32 v1, 0, v0
	s_mov_b32 s0, -1
	s_delay_alu instid0(VALU_DEP_1) | instskip(NEXT) | instid1(VALU_DEP_1)
	v_max_i32_e32 v1, v0, v1
	v_mul_hi_u32 v2, v1, s74
	s_delay_alu instid0(VALU_DEP_1) | instskip(NEXT) | instid1(VALU_DEP_1)
	v_mul_lo_u32 v3, v2, s66
	v_sub_nc_u32_e32 v1, v1, v3
	v_add_nc_u32_e32 v3, 1, v2
	s_delay_alu instid0(VALU_DEP_2) | instskip(SKIP_2) | instid1(VALU_DEP_2)
	v_subrev_nc_u32_e32 v4, s66, v1
	v_cmp_le_u32_e32 vcc_lo, s66, v1
	s_wait_alu 0xfffd
	v_dual_cndmask_b32 v2, v2, v3 :: v_dual_cndmask_b32 v1, v1, v4
	v_ashrrev_i32_e32 v3, 31, v0
	s_delay_alu instid0(VALU_DEP_2) | instskip(NEXT) | instid1(VALU_DEP_3)
	v_add_nc_u32_e32 v4, 1, v2
	v_cmp_le_u32_e32 vcc_lo, s66, v1
	s_delay_alu instid0(VALU_DEP_3) | instskip(SKIP_1) | instid1(VALU_DEP_3)
	v_xor_b32_e32 v3, s71, v3
	s_wait_alu 0xfffd
	v_cndmask_b32_e32 v1, v2, v4, vcc_lo
	s_delay_alu instid0(VALU_DEP_1) | instskip(NEXT) | instid1(VALU_DEP_1)
	v_xor_b32_e32 v1, v1, v3
	v_sub_nc_u32_e32 v16, v1, v3
	s_delay_alu instid0(VALU_DEP_1) | instskip(NEXT) | instid1(VALU_DEP_1)
	v_mul_lo_u32 v1, v16, s6
	v_sub_nc_u32_e32 v3, v0, v1
	s_delay_alu instid0(VALU_DEP_1) | instskip(NEXT) | instid1(VALU_DEP_1)
	v_sub_nc_u32_e32 v1, 0, v3
	v_max_i32_e32 v1, v3, v1
	s_delay_alu instid0(VALU_DEP_1) | instskip(NEXT) | instid1(VALU_DEP_1)
	v_mul_hi_u32 v2, v1, s75
	v_mul_lo_u32 v4, v2, s67
	s_delay_alu instid0(VALU_DEP_1) | instskip(SKIP_1) | instid1(VALU_DEP_2)
	v_sub_nc_u32_e32 v1, v1, v4
	v_add_nc_u32_e32 v4, 1, v2
	v_subrev_nc_u32_e32 v5, s67, v1
	v_cmp_le_u32_e32 vcc_lo, s67, v1
	s_wait_alu 0xfffd
	s_delay_alu instid0(VALU_DEP_2) | instskip(SKIP_1) | instid1(VALU_DEP_2)
	v_dual_cndmask_b32 v2, v2, v4 :: v_dual_cndmask_b32 v1, v1, v5
	v_ashrrev_i32_e32 v4, 31, v3
	v_add_nc_u32_e32 v5, 1, v2
	s_delay_alu instid0(VALU_DEP_3) | instskip(NEXT) | instid1(VALU_DEP_3)
	v_cmp_le_u32_e32 vcc_lo, s67, v1
	v_xor_b32_e32 v6, s72, v4
	s_wait_alu 0xfffd
	s_delay_alu instid0(VALU_DEP_3) | instskip(SKIP_1) | instid1(VALU_DEP_1)
	v_cndmask_b32_e32 v1, v2, v5, vcc_lo
	s_and_not1_b32 vcc_lo, exec_lo, s33
	v_xor_b32_e32 v1, v1, v6
	s_delay_alu instid0(VALU_DEP_1) | instskip(NEXT) | instid1(VALU_DEP_1)
	v_sub_nc_u32_e32 v17, v1, v6
	v_mul_lo_u32 v5, v17, s8
	v_ashrrev_i32_e32 v18, 31, v17
	s_delay_alu instid0(VALU_DEP_2) | instskip(NEXT) | instid1(VALU_DEP_1)
	v_sub_nc_u32_e32 v19, v3, v5
	v_ashrrev_i32_e32 v20, 31, v19
	s_wait_alu 0xfffe
	s_cbranch_vccnz .LBB41_5
; %bb.4:                                ;   in Loop: Header=BB41_3 Depth=1
	s_mov_b32 s0, 0
.LBB41_5:                               ;   in Loop: Header=BB41_3 Depth=1
	v_mov_b32_e32 v1, 0
	v_mov_b32_e32 v2, 0
	s_wait_alu 0xfffe
	s_and_not1_b32 vcc_lo, exec_lo, s0
	s_wait_alu 0xfffe
	s_cbranch_vccnz .LBB41_26
; %bb.6:                                ;   in Loop: Header=BB41_3 Depth=1
	v_mul_lo_u32 v6, s43, v17
	v_mul_lo_u32 v7, s42, v18
	v_mad_co_u64_u32 v[1:2], null, s42, v17, 0
	v_ashrrev_i32_e32 v8, 31, v5
	v_sub_co_u32 v3, vcc_lo, v3, v5
	v_mul_lo_u32 v9, s53, v17
	v_mul_lo_u32 v10, s52, v18
	s_wait_alu 0xfffd
	v_sub_co_ci_u32_e64 v4, null, v4, v8, vcc_lo
	v_add3_u32 v2, v2, v7, v6
	v_mul_lo_u32 v7, s35, v3
	v_add_nc_u32_e32 v21, s16, v16
	s_delay_alu instid0(VALU_DEP_4)
	v_mul_lo_u32 v8, s34, v4
	s_mov_b32 s57, 0
	v_mad_co_u64_u32 v[5:6], null, s34, v3, v[1:2]
	v_mad_co_u64_u32 v[3:4], null, s52, v17, s[50:51]
	v_mov_b32_e32 v1, 0
	v_mov_b32_e32 v2, 0
	s_delay_alu instid0(VALU_DEP_4) | instskip(SKIP_3) | instid1(VALU_DEP_3)
	v_add3_u32 v6, v7, v6, v8
	v_add_co_u32 v5, vcc_lo, s22, v5
	v_add3_u32 v4, v9, v4, v10
	s_wait_alu 0xfffd
	v_add_co_ci_u32_e64 v6, null, s23, v6, vcc_lo
	s_branch .LBB41_8
.LBB41_7:                               ;   in Loop: Header=BB41_8 Depth=2
	v_add_co_u32 v5, vcc_lo, v5, s44
	s_wait_alu 0xfffd
	v_add_co_ci_u32_e64 v6, null, s45, v6, vcc_lo
	s_add_co_i32 s57, s57, 1
	s_delay_alu instid0(SALU_CYCLE_1)
	s_cmp_eq_u32 s57, s17
	s_cbranch_scc1 .LBB41_26
.LBB41_8:                               ;   Parent Loop BB41_3 Depth=1
                                        ; =>  This Loop Header: Depth=2
                                        ;       Child Loop BB41_17 Depth 3
                                        ;         Child Loop BB41_24 Depth 4
	s_mul_i32 s0, s13, s57
	s_mov_b32 s61, -1
	s_wait_alu 0xfffe
	s_sub_co_i32 s59, s15, s0
	s_mov_b32 s60, 0
	s_cmp_gt_i32 s59, -1
                                        ; implicit-def: $sgpr2
                                        ; implicit-def: $sgpr1
                                        ; implicit-def: $sgpr0
                                        ; implicit-def: $sgpr58
	s_cbranch_scc1 .LBB41_12
; %bb.9:                                ;   in Loop: Header=BB41_8 Depth=2
	s_and_not1_b32 vcc_lo, exec_lo, s61
	s_wait_alu 0xfffe
	s_cbranch_vccz .LBB41_13
.LBB41_10:                              ;   in Loop: Header=BB41_8 Depth=2
	s_and_not1_b32 vcc_lo, exec_lo, s60
	s_mov_b32 s59, 1
	s_wait_alu 0xfffe
	s_cbranch_vccz .LBB41_14
; %bb.11:                               ;   in Loop: Header=BB41_8 Depth=2
	s_and_not1_b32 vcc_lo, exec_lo, s64
	s_wait_alu 0xfffe
	s_cbranch_vccz .LBB41_15
	s_branch .LBB41_7
.LBB41_12:                              ;   in Loop: Header=BB41_8 Depth=2
	s_abs_i32 s2, s59
	s_wait_alu 0xfffe
	s_mul_u64 s[0:1], s[2:3], s[20:21]
	s_wait_alu 0xfffe
	s_mul_i32 s0, s1, s68
	s_wait_alu 0xfffe
	s_sub_co_i32 s0, s2, s0
	s_ashr_i32 s2, s59, 31
	s_wait_alu 0xfffe
	s_sub_co_i32 s58, s0, s68
	s_cmp_ge_u32 s0, s68
	s_cselect_b32 s60, s58, s0
	s_delay_alu instid0(SALU_CYCLE_1) | instskip(SKIP_2) | instid1(SALU_CYCLE_1)
	s_sub_co_i32 s61, s60, s68
	s_cmp_ge_u32 s60, s68
	s_cselect_b32 s60, s61, s60
	s_xor_b32 s60, s60, s2
	s_delay_alu instid0(SALU_CYCLE_1) | instskip(NEXT) | instid1(SALU_CYCLE_1)
	s_sub_co_i32 s60, s60, s2
	s_cmp_lg_u32 s60, 0
	s_cselect_b32 s60, -1, 0
	s_cbranch_execnz .LBB41_10
.LBB41_13:                              ;   in Loop: Header=BB41_8 Depth=2
	s_abs_i32 s2, s59
	s_wait_alu 0xfffe
	s_mul_u64 s[0:1], s[2:3], s[20:21]
	s_wait_alu 0xfffe
	s_mul_i32 s0, s1, s68
	s_wait_alu 0xfffe
	s_sub_co_i32 s0, s2, s0
	s_ashr_i32 s2, s59, 31
	s_wait_alu 0xfffe
	s_sub_co_i32 s58, s0, s68
	s_mov_b32 s59, 1
.LBB41_14:                              ;   in Loop: Header=BB41_8 Depth=2
	s_mov_b32 s59, 0
	s_and_not1_b32 vcc_lo, exec_lo, s64
	s_wait_alu 0xfffe
	s_cbranch_vccnz .LBB41_7
.LBB41_15:                              ;   in Loop: Header=BB41_8 Depth=2
	s_xor_b32 s2, s2, s11
	s_add_co_i32 s60, s1, 1
	s_cmp_ge_u32 s0, s68
	v_dual_mov_b32 v10, v6 :: v_dual_mov_b32 v9, v5
	s_cselect_b32 s1, s60, s1
	s_cselect_b32 s0, s58, s0
	s_wait_alu 0xfffe
	s_add_co_i32 s58, s1, 1
	s_cmp_ge_u32 s0, s68
	s_cselect_b32 s0, s58, s1
	s_wait_alu 0xfffe
	s_xor_b32 s0, s0, s2
	s_wait_alu 0xfffe
	s_sub_co_i32 s0, s0, s2
	s_wait_alu 0xfffe
	v_mad_co_u64_u32 v[7:8], null, s30, s0, v[3:4]
	s_cmp_lt_i32 s0, s9
	s_cselect_b32 s1, s59, 0
	s_ashr_i32 s2, s0, 31
	s_mul_i32 s0, s31, s0
	s_wait_alu 0xfffe
	s_mul_i32 s2, s30, s2
	s_wait_alu 0xfffe
	v_add3_u32 v8, s2, s0, v8
	s_mov_b32 s2, 0
	s_branch .LBB41_17
.LBB41_16:                              ;   in Loop: Header=BB41_17 Depth=3
	v_add_co_u32 v9, vcc_lo, v9, s46
	s_wait_alu 0xfffd
	v_add_co_ci_u32_e64 v10, null, s47, v10, vcc_lo
	s_add_co_i32 s2, s2, 1
	s_wait_alu 0xfffe
	s_cmp_eq_u32 s2, s18
	s_cbranch_scc1 .LBB41_7
.LBB41_17:                              ;   Parent Loop BB41_3 Depth=1
                                        ;     Parent Loop BB41_8 Depth=2
                                        ; =>    This Loop Header: Depth=3
                                        ;         Child Loop BB41_24 Depth 4
	s_wait_alu 0xfffe
	s_mul_i32 s0, s14, s2
	s_wait_alu 0xfffe
	v_subrev_nc_u32_e32 v12, s0, v21
	s_delay_alu instid0(VALU_DEP_1) | instskip(SKIP_3) | instid1(VALU_DEP_4)
	v_sub_nc_u32_e32 v13, 0, v12
	v_cmp_gt_i32_e64 s0, 0, v12
	v_cmp_lt_i32_e32 vcc_lo, -1, v12
	v_ashrrev_i32_e32 v11, 31, v12
	v_max_i32_e32 v12, v12, v13
	s_and_saveexec_b32 s58, vcc_lo
	s_cbranch_execnz .LBB41_20
; %bb.18:                               ;   in Loop: Header=BB41_17 Depth=3
	s_or_b32 exec_lo, exec_lo, s58
	v_mov_b32_e32 v13, 1
	s_and_saveexec_b32 s58, s0
	s_cbranch_execnz .LBB41_21
.LBB41_19:                              ;   in Loop: Header=BB41_17 Depth=3
	s_or_b32 exec_lo, exec_lo, s58
	s_delay_alu instid0(SALU_CYCLE_1)
	s_and_not1_b32 vcc_lo, exec_lo, s65
	s_wait_alu 0xfffe
	s_cbranch_vccz .LBB41_22
	s_branch .LBB41_16
.LBB41_20:                              ;   in Loop: Header=BB41_17 Depth=3
	s_delay_alu instid0(VALU_DEP_1) | instskip(SKIP_1) | instid1(VALU_DEP_1)
	v_mul_hi_u32 v13, v12, s76
	s_and_not1_b32 s0, s0, exec_lo
	v_mul_lo_u32 v13, v13, s69
	s_delay_alu instid0(VALU_DEP_1) | instskip(NEXT) | instid1(VALU_DEP_1)
	v_sub_nc_u32_e32 v13, v12, v13
	v_subrev_nc_u32_e32 v14, s69, v13
	v_cmp_le_u32_e32 vcc_lo, s69, v13
	s_wait_alu 0xfffd
	s_delay_alu instid0(VALU_DEP_2) | instskip(NEXT) | instid1(VALU_DEP_1)
	v_cndmask_b32_e32 v13, v13, v14, vcc_lo
	v_subrev_nc_u32_e32 v14, s69, v13
	v_cmp_le_u32_e32 vcc_lo, s69, v13
	s_wait_alu 0xfffd
	s_delay_alu instid0(VALU_DEP_2) | instskip(NEXT) | instid1(VALU_DEP_1)
	v_cndmask_b32_e32 v13, v13, v14, vcc_lo
	v_xor_b32_e32 v13, v13, v11
	s_delay_alu instid0(VALU_DEP_1) | instskip(NEXT) | instid1(VALU_DEP_1)
	v_sub_nc_u32_e32 v13, v13, v11
	v_cmp_ne_u32_e32 vcc_lo, 0, v13
	s_and_b32 s59, vcc_lo, exec_lo
	s_wait_alu 0xfffe
	s_or_b32 s0, s0, s59
	s_or_b32 exec_lo, exec_lo, s58
	v_mov_b32_e32 v13, 1
	s_wait_alu 0xfffe
	s_and_saveexec_b32 s58, s0
	s_cbranch_execz .LBB41_19
.LBB41_21:                              ;   in Loop: Header=BB41_17 Depth=3
	v_mov_b32_e32 v13, 0
	s_or_b32 exec_lo, exec_lo, s58
	s_delay_alu instid0(SALU_CYCLE_1)
	s_and_not1_b32 vcc_lo, exec_lo, s65
	s_wait_alu 0xfffe
	s_cbranch_vccnz .LBB41_16
.LBB41_22:                              ;   in Loop: Header=BB41_17 Depth=3
	v_mul_hi_u32 v14, v12, s76
	v_xor_b32_e32 v11, s12, v11
	s_mov_b32 s58, s7
	s_delay_alu instid0(VALU_DEP_2) | instskip(NEXT) | instid1(VALU_DEP_1)
	v_mul_lo_u32 v22, v14, s69
	v_sub_nc_u32_e32 v12, v12, v22
	v_add_nc_u32_e32 v22, 1, v14
	s_delay_alu instid0(VALU_DEP_2) | instskip(SKIP_2) | instid1(VALU_DEP_3)
	v_subrev_nc_u32_e32 v23, s69, v12
	v_cmp_le_u32_e32 vcc_lo, s69, v12
	s_wait_alu 0xfffd
	v_cndmask_b32_e32 v14, v14, v22, vcc_lo
	s_delay_alu instid0(VALU_DEP_3) | instskip(NEXT) | instid1(VALU_DEP_2)
	v_cndmask_b32_e32 v12, v12, v23, vcc_lo
	v_add_nc_u32_e32 v22, 1, v14
	s_delay_alu instid0(VALU_DEP_2) | instskip(SKIP_1) | instid1(VALU_DEP_2)
	v_cmp_le_u32_e32 vcc_lo, s69, v12
	s_wait_alu 0xfffd
	v_cndmask_b32_e32 v12, v14, v22, vcc_lo
	s_delay_alu instid0(VALU_DEP_1) | instskip(NEXT) | instid1(VALU_DEP_1)
	v_xor_b32_e32 v12, v12, v11
	v_sub_nc_u32_e32 v11, v12, v11
	s_delay_alu instid0(VALU_DEP_1)
	v_cmp_gt_i32_e32 vcc_lo, s10, v11
	v_ashrrev_i32_e32 v14, 31, v11
	v_mul_lo_u32 v22, s29, v11
	v_mad_co_u64_u32 v[11:12], null, s28, v11, v[7:8]
	s_wait_alu 0xfffd
	v_cndmask_b32_e32 v13, 0, v13, vcc_lo
	v_mul_lo_u32 v14, s28, v14
	s_delay_alu instid0(VALU_DEP_2) | instskip(NEXT) | instid1(VALU_DEP_2)
	v_and_b32_e32 v13, s1, v13
	v_add3_u32 v12, v22, v12, v14
	s_delay_alu instid0(VALU_DEP_2) | instskip(NEXT) | instid1(VALU_DEP_1)
	v_and_b32_e32 v13, 1, v13
	v_cmp_eq_u32_e32 vcc_lo, 1, v13
	v_dual_mov_b32 v14, v10 :: v_dual_mov_b32 v13, v9
	s_branch .LBB41_24
.LBB41_23:                              ;   in Loop: Header=BB41_24 Depth=4
	s_wait_alu 0xfffe
	s_or_b32 exec_lo, exec_lo, s0
	v_add_co_u32 v13, s0, v13, s48
	s_wait_alu 0xf1ff
	v_add_co_ci_u32_e64 v14, null, s49, v14, s0
	v_add_co_u32 v11, s0, v11, s54
	s_wait_alu 0xf1ff
	v_add_co_ci_u32_e64 v12, null, s55, v12, s0
	s_add_co_i32 s58, s58, -1
	s_delay_alu instid0(SALU_CYCLE_1)
	s_cmp_eq_u32 s58, 0
	s_cbranch_scc1 .LBB41_16
.LBB41_24:                              ;   Parent Loop BB41_3 Depth=1
                                        ;     Parent Loop BB41_8 Depth=2
                                        ;       Parent Loop BB41_17 Depth=3
                                        ; =>      This Inner Loop Header: Depth=4
	s_and_saveexec_b32 s0, vcc_lo
	s_cbranch_execz .LBB41_23
; %bb.25:                               ;   in Loop: Header=BB41_24 Depth=4
	global_load_u16 v22, v[11:12], off
	global_load_u16 v23, v[13:14], off
	s_wait_loadcnt 0x1
	v_cvt_f32_f16_e32 v22, v22
	s_wait_loadcnt 0x0
	v_cvt_f32_f16_e32 v24, v23
	s_delay_alu instid0(VALU_DEP_2) | instskip(NEXT) | instid1(VALU_DEP_2)
	v_cvt_f64_f32_e32 v[22:23], v22
	v_cvt_f64_f32_e32 v[24:25], v24
	s_delay_alu instid0(VALU_DEP_1)
	v_fma_f64 v[1:2], v[22:23], v[24:25], v[1:2]
	s_branch .LBB41_23
.LBB41_26:                              ;   in Loop: Header=BB41_3 Depth=1
	v_ashrrev_i32_e32 v5, 31, v16
	v_mul_lo_u32 v6, s41, v16
	v_mad_co_u64_u32 v[3:4], null, s40, v16, 0
	s_and_b32 vcc_lo, exec_lo, s73
	v_mul_lo_u32 v5, s40, v5
	s_mov_b32 s0, -1
	s_delay_alu instid0(VALU_DEP_1) | instskip(SKIP_2) | instid1(VALU_DEP_3)
	v_add3_u32 v4, v4, v5, v6
	v_mul_lo_u32 v5, v19, s37
	v_mul_lo_u32 v6, v20, s36
	v_mad_co_u64_u32 v[3:4], null, v19, s36, v[3:4]
	s_delay_alu instid0(VALU_DEP_1) | instskip(SKIP_2) | instid1(VALU_DEP_3)
	v_add3_u32 v4, v6, v4, v5
	v_mul_lo_u32 v5, v17, s39
	v_mul_lo_u32 v6, v18, s38
	v_mad_co_u64_u32 v[3:4], null, v17, s38, v[3:4]
	s_delay_alu instid0(VALU_DEP_1) | instskip(NEXT) | instid1(VALU_DEP_1)
	v_add3_u32 v4, v6, v4, v5
	v_lshlrev_b64_e32 v[3:4], 1, v[3:4]
	s_wait_alu 0xfffe
	s_cbranch_vccz .LBB41_28
; %bb.27:                               ;   in Loop: Header=BB41_3 Depth=1
	s_delay_alu instid0(VALU_DEP_1) | instskip(SKIP_1) | instid1(VALU_DEP_2)
	v_add_co_u32 v5, vcc_lo, s4, v3
	s_wait_alu 0xfffd
	v_add_co_ci_u32_e64 v6, null, s5, v4, vcc_lo
	s_mov_b32 s0, 0
	global_load_u16 v7, v[5:6], off
	s_wait_loadcnt 0x0
	v_cvt_f32_f16_e32 v7, v7
	s_delay_alu instid0(VALU_DEP_1) | instskip(NEXT) | instid1(VALU_DEP_1)
	v_cvt_f64_f32_e32 v[7:8], v7
	v_mul_f64_e32 v[7:8], s[26:27], v[7:8]
	s_delay_alu instid0(VALU_DEP_1) | instskip(NEXT) | instid1(VALU_DEP_1)
	v_fma_f64 v[7:8], s[24:25], v[1:2], v[7:8]
	v_and_or_b32 v7, 0x1ff, v8, v7
	v_lshrrev_b32_e32 v9, 8, v8
	v_bfe_u32 v10, v8, 20, 11
	v_lshrrev_b32_e32 v8, 16, v8
	s_delay_alu instid0(VALU_DEP_4) | instskip(NEXT) | instid1(VALU_DEP_3)
	v_cmp_ne_u32_e32 vcc_lo, 0, v7
	v_sub_nc_u32_e32 v11, 0x3f1, v10
	s_wait_alu 0xfffd
	v_cndmask_b32_e64 v7, 0, 1, vcc_lo
	s_delay_alu instid0(VALU_DEP_1) | instskip(NEXT) | instid1(VALU_DEP_3)
	v_and_or_b32 v7, 0xffe, v9, v7
	v_med3_i32 v9, v11, 0, 13
	s_delay_alu instid0(VALU_DEP_2) | instskip(NEXT) | instid1(VALU_DEP_1)
	v_or_b32_e32 v11, 0x1000, v7
	v_lshrrev_b32_e32 v12, v9, v11
	s_delay_alu instid0(VALU_DEP_1) | instskip(NEXT) | instid1(VALU_DEP_1)
	v_lshlrev_b32_e32 v9, v9, v12
	v_cmp_ne_u32_e32 vcc_lo, v9, v11
	s_wait_alu 0xfffd
	v_cndmask_b32_e64 v9, 0, 1, vcc_lo
	s_delay_alu instid0(VALU_DEP_1) | instskip(SKIP_1) | instid1(VALU_DEP_1)
	v_or_b32_e32 v9, v12, v9
	v_add_nc_u32_e32 v10, 0xfffffc10, v10
	v_lshl_or_b32 v11, v10, 12, v7
	v_cmp_gt_i32_e32 vcc_lo, 1, v10
	s_wait_alu 0xfffd
	s_delay_alu instid0(VALU_DEP_2) | instskip(NEXT) | instid1(VALU_DEP_1)
	v_cndmask_b32_e32 v9, v11, v9, vcc_lo
	v_and_b32_e32 v11, 7, v9
	v_lshrrev_b32_e32 v9, 2, v9
	s_delay_alu instid0(VALU_DEP_2)
	v_cmp_lt_i32_e32 vcc_lo, 5, v11
	s_wait_alu 0xfffd
	v_cndmask_b32_e64 v12, 0, 1, vcc_lo
	v_cmp_eq_u32_e32 vcc_lo, 3, v11
	s_wait_alu 0xfffd
	v_cndmask_b32_e64 v11, 0, 1, vcc_lo
	v_cmp_ne_u32_e32 vcc_lo, 0, v7
	s_delay_alu instid0(VALU_DEP_2) | instskip(SKIP_3) | instid1(VALU_DEP_3)
	v_or_b32_e32 v11, v11, v12
	s_wait_alu 0xfffd
	v_cndmask_b32_e32 v7, 0x7c00, v15, vcc_lo
	v_cmp_gt_i32_e32 vcc_lo, 31, v10
	v_add_nc_u32_e32 v9, v9, v11
	s_wait_alu 0xfffd
	s_delay_alu instid0(VALU_DEP_1) | instskip(SKIP_2) | instid1(VALU_DEP_2)
	v_cndmask_b32_e32 v9, 0x7c00, v9, vcc_lo
	v_cmp_eq_u32_e32 vcc_lo, 0x40f, v10
	s_wait_alu 0xfffd
	v_cndmask_b32_e32 v7, v9, v7, vcc_lo
	s_delay_alu instid0(VALU_DEP_1)
	v_and_or_b32 v7, 0x8000, v8, v7
	global_store_b16 v[5:6], v7, off
.LBB41_28:                              ;   in Loop: Header=BB41_3 Depth=1
	s_wait_alu 0xfffe
	s_and_not1_b32 vcc_lo, exec_lo, s0
	s_wait_alu 0xfffe
	s_cbranch_vccnz .LBB41_2
; %bb.29:                               ;   in Loop: Header=BB41_3 Depth=1
	v_and_or_b32 v1, 0x1ff, v2, v1
	v_lshrrev_b32_e32 v5, 8, v2
	v_bfe_u32 v6, v2, 20, 11
	v_lshrrev_b32_e32 v2, 16, v2
	s_delay_alu instid0(VALU_DEP_4) | instskip(NEXT) | instid1(VALU_DEP_3)
	v_cmp_ne_u32_e32 vcc_lo, 0, v1
	v_sub_nc_u32_e32 v7, 0x3f1, v6
	s_wait_alu 0xfffd
	v_cndmask_b32_e64 v1, 0, 1, vcc_lo
	s_delay_alu instid0(VALU_DEP_1) | instskip(NEXT) | instid1(VALU_DEP_3)
	v_and_or_b32 v1, 0xffe, v5, v1
	v_med3_i32 v5, v7, 0, 13
	s_delay_alu instid0(VALU_DEP_2) | instskip(NEXT) | instid1(VALU_DEP_1)
	v_or_b32_e32 v7, 0x1000, v1
	v_lshrrev_b32_e32 v8, v5, v7
	s_delay_alu instid0(VALU_DEP_1) | instskip(NEXT) | instid1(VALU_DEP_1)
	v_lshlrev_b32_e32 v5, v5, v8
	v_cmp_ne_u32_e32 vcc_lo, v5, v7
	s_wait_alu 0xfffd
	v_cndmask_b32_e64 v5, 0, 1, vcc_lo
	s_delay_alu instid0(VALU_DEP_1) | instskip(SKIP_1) | instid1(VALU_DEP_1)
	v_or_b32_e32 v5, v8, v5
	v_add_nc_u32_e32 v6, 0xfffffc10, v6
	v_lshl_or_b32 v7, v6, 12, v1
	v_cmp_gt_i32_e32 vcc_lo, 1, v6
	s_wait_alu 0xfffd
	s_delay_alu instid0(VALU_DEP_2) | instskip(NEXT) | instid1(VALU_DEP_1)
	v_cndmask_b32_e32 v5, v7, v5, vcc_lo
	v_and_b32_e32 v7, 7, v5
	v_lshrrev_b32_e32 v5, 2, v5
	s_delay_alu instid0(VALU_DEP_2)
	v_cmp_lt_i32_e32 vcc_lo, 5, v7
	s_wait_alu 0xfffd
	v_cndmask_b32_e64 v8, 0, 1, vcc_lo
	v_cmp_eq_u32_e32 vcc_lo, 3, v7
	s_wait_alu 0xfffd
	v_cndmask_b32_e64 v7, 0, 1, vcc_lo
	v_cmp_ne_u32_e32 vcc_lo, 0, v1
	s_delay_alu instid0(VALU_DEP_2) | instskip(SKIP_3) | instid1(VALU_DEP_3)
	v_or_b32_e32 v7, v7, v8
	s_wait_alu 0xfffd
	v_cndmask_b32_e32 v1, 0x7c00, v15, vcc_lo
	v_cmp_gt_i32_e32 vcc_lo, 31, v6
	v_add_nc_u32_e32 v5, v5, v7
	s_wait_alu 0xfffd
	s_delay_alu instid0(VALU_DEP_1) | instskip(SKIP_2) | instid1(VALU_DEP_2)
	v_cndmask_b32_e32 v5, 0x7c00, v5, vcc_lo
	v_cmp_eq_u32_e32 vcc_lo, 0x40f, v6
	s_wait_alu 0xfffd
	v_cndmask_b32_e32 v1, v5, v1, vcc_lo
	s_delay_alu instid0(VALU_DEP_1)
	v_and_or_b32 v5, 0x8000, v2, v1
	v_add_co_u32 v1, vcc_lo, s4, v3
	s_wait_alu 0xfffd
	v_add_co_ci_u32_e64 v2, null, s5, v4, vcc_lo
	global_store_b16 v[1:2], v5, off
	s_branch .LBB41_2
.LBB41_30:
	s_endpgm
	.section	.rodata,"a",@progbits
	.p2align	6, 0x0
	.amdhsa_kernel naive_conv_ab_nonpacked_bwd_nhwc_half_double_half_0
		.amdhsa_group_segment_fixed_size 0
		.amdhsa_private_segment_fixed_size 0
		.amdhsa_kernarg_size 480
		.amdhsa_user_sgpr_count 2
		.amdhsa_user_sgpr_dispatch_ptr 0
		.amdhsa_user_sgpr_queue_ptr 0
		.amdhsa_user_sgpr_kernarg_segment_ptr 1
		.amdhsa_user_sgpr_dispatch_id 0
		.amdhsa_user_sgpr_private_segment_size 0
		.amdhsa_wavefront_size32 1
		.amdhsa_uses_dynamic_stack 0
		.amdhsa_enable_private_segment 0
		.amdhsa_system_sgpr_workgroup_id_x 1
		.amdhsa_system_sgpr_workgroup_id_y 0
		.amdhsa_system_sgpr_workgroup_id_z 0
		.amdhsa_system_sgpr_workgroup_info 0
		.amdhsa_system_vgpr_workitem_id 0
		.amdhsa_next_free_vgpr 26
		.amdhsa_next_free_sgpr 80
		.amdhsa_reserve_vcc 1
		.amdhsa_float_round_mode_32 0
		.amdhsa_float_round_mode_16_64 0
		.amdhsa_float_denorm_mode_32 3
		.amdhsa_float_denorm_mode_16_64 3
		.amdhsa_fp16_overflow 0
		.amdhsa_workgroup_processor_mode 1
		.amdhsa_memory_ordered 1
		.amdhsa_forward_progress 1
		.amdhsa_inst_pref_size 24
		.amdhsa_round_robin_scheduling 0
		.amdhsa_exception_fp_ieee_invalid_op 0
		.amdhsa_exception_fp_denorm_src 0
		.amdhsa_exception_fp_ieee_div_zero 0
		.amdhsa_exception_fp_ieee_overflow 0
		.amdhsa_exception_fp_ieee_underflow 0
		.amdhsa_exception_fp_ieee_inexact 0
		.amdhsa_exception_int_div_zero 0
	.end_amdhsa_kernel
	.text
.Lfunc_end41:
	.size	naive_conv_ab_nonpacked_bwd_nhwc_half_double_half_0, .Lfunc_end41-naive_conv_ab_nonpacked_bwd_nhwc_half_double_half_0
                                        ; -- End function
	.set naive_conv_ab_nonpacked_bwd_nhwc_half_double_half_0.num_vgpr, 26
	.set naive_conv_ab_nonpacked_bwd_nhwc_half_double_half_0.num_agpr, 0
	.set naive_conv_ab_nonpacked_bwd_nhwc_half_double_half_0.numbered_sgpr, 80
	.set naive_conv_ab_nonpacked_bwd_nhwc_half_double_half_0.num_named_barrier, 0
	.set naive_conv_ab_nonpacked_bwd_nhwc_half_double_half_0.private_seg_size, 0
	.set naive_conv_ab_nonpacked_bwd_nhwc_half_double_half_0.uses_vcc, 1
	.set naive_conv_ab_nonpacked_bwd_nhwc_half_double_half_0.uses_flat_scratch, 0
	.set naive_conv_ab_nonpacked_bwd_nhwc_half_double_half_0.has_dyn_sized_stack, 0
	.set naive_conv_ab_nonpacked_bwd_nhwc_half_double_half_0.has_recursion, 0
	.set naive_conv_ab_nonpacked_bwd_nhwc_half_double_half_0.has_indirect_call, 0
	.section	.AMDGPU.csdata,"",@progbits
; Kernel info:
; codeLenInByte = 3072
; TotalNumSgprs: 82
; NumVgprs: 26
; ScratchSize: 0
; MemoryBound: 0
; FloatMode: 240
; IeeeMode: 1
; LDSByteSize: 0 bytes/workgroup (compile time only)
; SGPRBlocks: 0
; VGPRBlocks: 3
; NumSGPRsForWavesPerEU: 82
; NumVGPRsForWavesPerEU: 26
; Occupancy: 16
; WaveLimiterHint : 0
; COMPUTE_PGM_RSRC2:SCRATCH_EN: 0
; COMPUTE_PGM_RSRC2:USER_SGPR: 2
; COMPUTE_PGM_RSRC2:TRAP_HANDLER: 0
; COMPUTE_PGM_RSRC2:TGID_X_EN: 1
; COMPUTE_PGM_RSRC2:TGID_Y_EN: 0
; COMPUTE_PGM_RSRC2:TGID_Z_EN: 0
; COMPUTE_PGM_RSRC2:TIDIG_COMP_CNT: 0
	.text
	.protected	naive_conv_ab_packed_bwd_nhwc_ushort_double_ushort_0 ; -- Begin function naive_conv_ab_packed_bwd_nhwc_ushort_double_ushort_0
	.globl	naive_conv_ab_packed_bwd_nhwc_ushort_double_ushort_0
	.p2align	8
	.type	naive_conv_ab_packed_bwd_nhwc_ushort_double_ushort_0,@function
naive_conv_ab_packed_bwd_nhwc_ushort_double_ushort_0: ; @naive_conv_ab_packed_bwd_nhwc_ushort_double_ushort_0
; %bb.0:
	s_load_b512 s[4:19], s[0:1], 0xa0
	s_abs_i32 s21, ttmp9
	s_mov_b32 s29, 0
	s_wait_kmcnt 0x0
	s_abs_i32 s2, s4
	s_delay_alu instid0(SALU_CYCLE_1) | instskip(SKIP_1) | instid1(SALU_CYCLE_2)
	s_cvt_f32_u32 s3, s2
	s_sub_co_i32 s20, 0, s2
	v_rcp_iflag_f32_e32 v1, s3
	s_delay_alu instid0(TRANS32_DEP_1) | instskip(SKIP_2) | instid1(SALU_CYCLE_2)
	v_readfirstlane_b32 s3, v1
	s_mul_f32 s3, s3, 0x4f7ffffe
	s_wait_alu 0xfffe
	s_cvt_u32_f32 s3, s3
	s_wait_alu 0xfffe
	s_delay_alu instid0(SALU_CYCLE_2) | instskip(NEXT) | instid1(SALU_CYCLE_1)
	s_mul_i32 s20, s20, s3
	s_mul_hi_u32 s20, s3, s20
	s_delay_alu instid0(SALU_CYCLE_1) | instskip(SKIP_4) | instid1(SALU_CYCLE_1)
	s_add_co_i32 s3, s3, s20
	s_wait_alu 0xfffe
	s_mul_hi_u32 s3, s21, s3
	s_wait_alu 0xfffe
	s_mul_i32 s20, s3, s2
	s_sub_co_i32 s20, s21, s20
	s_add_co_i32 s21, s3, 1
	s_sub_co_i32 s22, s20, s2
	s_cmp_ge_u32 s20, s2
	s_cselect_b32 s3, s21, s3
	s_cselect_b32 s20, s22, s20
	s_wait_alu 0xfffe
	s_add_co_i32 s21, s3, 1
	s_cmp_ge_u32 s20, s2
	s_cselect_b32 s28, s21, s3
	s_abs_i32 s3, s6
	s_mov_b32 s21, exec_lo
	s_wait_alu 0xfffe
	s_cvt_f32_u32 s2, s3
	s_wait_alu 0xfffe
	s_delay_alu instid0(SALU_CYCLE_2) | instskip(SKIP_3) | instid1(TRANS32_DEP_1)
	v_rcp_iflag_f32_e32 v1, s2
	s_mul_i32 s2, s19, s8
	s_wait_alu 0xfffe
	s_mul_i32 s6, s2, s5
	v_readfirstlane_b32 s20, v1
	v_cmpx_gt_i32_e64 s6, v0
	s_cbranch_execz .LBB42_30
; %bb.1:
	s_mul_f32 s30, s20, 0x4f7ffffe
	s_xor_b32 s31, ttmp9, s4
	s_sub_co_i32 s33, 0, s3
	s_ashr_i32 s34, s31, 31
	s_cvt_u32_f32 s30, s30
	s_xor_b32 s28, s28, s34
	s_mov_b32 s31, s29
	s_sub_co_i32 s34, s28, s34
	s_mul_i32 s33, s33, s30
	s_abs_i32 s28, s34
	s_mul_hi_u32 s33, s30, s33
	s_load_b256 s[20:27], s[0:1], 0x0
	s_add_co_i32 s30, s30, s33
	s_ashr_i32 s37, s34, 31
	s_mul_u64 s[30:31], s[28:29], s[30:31]
	s_mul_i32 s34, s34, s4
	s_mul_i32 s30, s31, s3
	;; [unrolled: 1-line block ×3, first 2 shown]
	s_sub_co_i32 s28, s28, s30
	s_sub_co_i32 s30, ttmp9, s34
	s_sub_co_i32 s31, s28, s3
	s_cmp_ge_u32 s28, s3
	s_mov_b32 s34, s4
	s_cselect_b32 s19, s31, s28
	s_mov_b32 s36, s5
	s_sub_co_i32 s28, s19, s3
	s_cmp_ge_u32 s19, s3
	s_mov_b32 s40, s17
	s_cselect_b32 s3, s28, s19
	s_ashr_i32 s35, s4, 31
	s_wait_alu 0xfffe
	s_xor_b32 s3, s3, s37
	s_wait_kmcnt 0x0
	v_cmp_neq_f64_e64 s28, s[24:25], 1.0
	s_wait_alu 0xfffe
	s_sub_co_i32 s38, s3, s37
	v_cmp_neq_f64_e64 s42, s[26:27], 0
	s_ashr_i32 s39, s38, 31
	s_ashr_i32 s37, s5, 31
	;; [unrolled: 1-line block ×3, first 2 shown]
	s_mul_u64 s[34:35], s[38:39], s[34:35]
	s_ashr_i32 s31, s30, 31
	s_wait_alu 0xfffe
	s_mul_u64 s[36:37], s[2:3], s[36:37]
	s_add_nc_u64 s[34:35], s[34:35], s[30:31]
	s_ashr_i32 s5, s9, 31
	s_mul_u64 s[34:35], s[36:37], s[34:35]
	s_ashr_i32 s31, s10, 31
	s_ashr_i32 s50, s33, 31
	s_lshl_b64 s[36:37], s[34:35], 1
	s_cmp_lt_i32 s17, 1
	s_mov_b32 s4, s9
	s_cselect_b32 s51, -1, 0
	s_add_co_i32 s15, s30, s15
	s_cmp_gt_i32 s18, 0
	s_mov_b32 s30, s10
	s_cselect_b32 s52, -1, 0
	s_cmp_gt_i32 s7, 0
	s_clause 0x1
	s_load_b64 s[34:35], s[0:1], 0x20
	s_load_b32 s10, s[0:1], 0xec
	s_cselect_b32 s53, -1, 0
	s_abs_i32 s54, s2
	s_abs_i32 s55, s8
	s_cvt_f32_u32 s1, s54
	s_cvt_f32_u32 s9, s55
	s_abs_i32 s56, s11
	s_add_nc_u64 s[20:21], s[20:21], s[36:37]
	v_rcp_iflag_f32_e32 v1, s1
	v_rcp_iflag_f32_e32 v2, s9
	s_cvt_f32_u32 s36, s56
	s_abs_i32 s57, s12
	s_ashr_i32 s19, s18, 31
	s_ashr_i32 s9, s8, 31
	;; [unrolled: 1-line block ×4, first 2 shown]
	s_mov_b32 s0, s7
	s_or_b32 s59, s28, s42
	v_readfirstlane_b32 s37, v1
	v_rcp_iflag_f32_e32 v1, s36
	s_cvt_f32_u32 s36, s57
	v_readfirstlane_b32 s43, v2
	s_wait_kmcnt 0x0
	s_and_b32 s58, s10, 0xffff
	s_mul_f32 s10, s37, 0x4f7ffffe
	s_wait_alu 0xfffe
	v_rcp_iflag_f32_e32 v2, s36
	s_sub_co_i32 s36, 0, s54
	s_mul_f32 s28, s43, 0x4f7ffffe
	s_cvt_u32_f32 s10, s10
	s_sub_co_i32 s42, 0, s55
	v_readfirstlane_b32 s37, v1
	s_cvt_u32_f32 s28, s28
	s_wait_alu 0xfffe
	s_mul_i32 s36, s36, s10
	s_ashr_i32 s1, s7, 31
	s_wait_alu 0xfffe
	s_mul_hi_u32 s36, s10, s36
	v_readfirstlane_b32 s43, v2
	s_mul_i32 s42, s42, s28
	s_mul_f32 s37, s37, 0x4f7ffffe
	s_mul_hi_u32 s42, s28, s42
	s_wait_alu 0xfffe
	s_add_co_i32 s60, s10, s36
	s_add_co_i32 s61, s28, s42
	s_cvt_u32_f32 s10, s37
	s_mul_f32 s28, s43, 0x4f7ffffe
	s_sub_co_i32 s36, 0, s56
	s_mul_u64 s[42:43], s[18:19], s[8:9]
	s_wait_alu 0xfffe
	s_mul_i32 s36, s36, s10
	s_cvt_u32_f32 s28, s28
	s_wait_alu 0xfffe
	s_mul_hi_u32 s11, s10, s36
	s_sub_co_i32 s36, 0, s57
	s_mul_u64 s[44:45], s[30:31], s[4:5]
	s_wait_alu 0xfffe
	s_mul_i32 s36, s36, s28
	s_mul_u64 s[46:47], s[42:43], s[40:41]
	s_wait_alu 0xfffe
	s_mul_hi_u32 s36, s28, s36
	s_ashr_i32 s5, s12, 31
	s_wait_alu 0xfffe
	s_add_co_i32 s12, s28, s36
	s_lshl_b64 s[36:37], s[0:1], 1
	s_mul_u64 s[38:39], s[44:45], s[38:39]
	s_mul_u64 s[0:1], s[46:47], s[0:1]
	s_add_co_i32 s10, s10, s11
	s_mov_b32 s11, s29
	s_lshl_b64 s[38:39], s[38:39], 1
	s_wait_alu 0xfffe
	s_lshl_b64 s[40:41], s[0:1], 1
	s_lshl_b64 s[42:43], s[42:43], 1
	;; [unrolled: 1-line block ×4, first 2 shown]
	s_mov_b32 s19, 0
	s_branch .LBB42_3
.LBB42_2:                               ;   in Loop: Header=BB42_3 Depth=1
	v_add_nc_u32_e32 v0, s58, v0
	s_delay_alu instid0(VALU_DEP_1) | instskip(SKIP_1) | instid1(SALU_CYCLE_1)
	v_cmp_le_i32_e32 vcc_lo, s6, v0
	s_or_b32 s19, vcc_lo, s19
	s_and_not1_b32 exec_lo, exec_lo, s19
	s_cbranch_execz .LBB42_30
.LBB42_3:                               ; =>This Loop Header: Depth=1
                                        ;     Child Loop BB42_8 Depth 2
                                        ;       Child Loop BB42_17 Depth 3
                                        ;         Child Loop BB42_24 Depth 4
	v_sub_nc_u32_e32 v1, 0, v0
	s_mov_b32 s0, -1
	s_delay_alu instid0(VALU_DEP_1) | instskip(NEXT) | instid1(VALU_DEP_1)
	v_max_i32_e32 v1, v0, v1
	v_mul_hi_u32 v2, v1, s60
	s_delay_alu instid0(VALU_DEP_1) | instskip(NEXT) | instid1(VALU_DEP_1)
	v_mul_lo_u32 v3, v2, s54
	v_sub_nc_u32_e32 v1, v1, v3
	v_add_nc_u32_e32 v3, 1, v2
	s_delay_alu instid0(VALU_DEP_2) | instskip(SKIP_2) | instid1(VALU_DEP_2)
	v_subrev_nc_u32_e32 v4, s54, v1
	v_cmp_le_u32_e32 vcc_lo, s54, v1
	s_wait_alu 0xfffd
	v_dual_cndmask_b32 v2, v2, v3 :: v_dual_cndmask_b32 v1, v1, v4
	v_ashrrev_i32_e32 v3, 31, v0
	s_delay_alu instid0(VALU_DEP_2) | instskip(NEXT) | instid1(VALU_DEP_3)
	v_add_nc_u32_e32 v4, 1, v2
	v_cmp_le_u32_e32 vcc_lo, s54, v1
	s_delay_alu instid0(VALU_DEP_3) | instskip(SKIP_1) | instid1(VALU_DEP_3)
	v_xor_b32_e32 v3, s3, v3
	s_wait_alu 0xfffd
	v_cndmask_b32_e32 v1, v2, v4, vcc_lo
	s_delay_alu instid0(VALU_DEP_1) | instskip(NEXT) | instid1(VALU_DEP_1)
	v_xor_b32_e32 v1, v1, v3
	v_sub_nc_u32_e32 v15, v1, v3
	s_delay_alu instid0(VALU_DEP_1) | instskip(NEXT) | instid1(VALU_DEP_1)
	v_mul_lo_u32 v1, v15, s2
	v_sub_nc_u32_e32 v5, v0, v1
	s_delay_alu instid0(VALU_DEP_1) | instskip(SKIP_1) | instid1(VALU_DEP_2)
	v_sub_nc_u32_e32 v1, 0, v5
	v_ashrrev_i32_e32 v6, 31, v5
	v_max_i32_e32 v1, v5, v1
	s_delay_alu instid0(VALU_DEP_1) | instskip(NEXT) | instid1(VALU_DEP_1)
	v_mul_hi_u32 v2, v1, s61
	v_mul_lo_u32 v3, v2, s55
	s_delay_alu instid0(VALU_DEP_1) | instskip(SKIP_1) | instid1(VALU_DEP_2)
	v_sub_nc_u32_e32 v1, v1, v3
	v_add_nc_u32_e32 v3, 1, v2
	v_subrev_nc_u32_e32 v4, s55, v1
	v_cmp_le_u32_e32 vcc_lo, s55, v1
	s_wait_alu 0xfffd
	s_delay_alu instid0(VALU_DEP_2) | instskip(SKIP_1) | instid1(VALU_DEP_2)
	v_dual_cndmask_b32 v2, v2, v3 :: v_dual_cndmask_b32 v1, v1, v4
	v_xor_b32_e32 v4, s9, v6
	v_add_nc_u32_e32 v3, 1, v2
	s_delay_alu instid0(VALU_DEP_3) | instskip(SKIP_1) | instid1(VALU_DEP_2)
	v_cmp_le_u32_e32 vcc_lo, s55, v1
	s_wait_alu 0xfffd
	v_cndmask_b32_e32 v1, v2, v3, vcc_lo
	s_and_not1_b32 vcc_lo, exec_lo, s51
	s_delay_alu instid0(VALU_DEP_1) | instskip(NEXT) | instid1(VALU_DEP_1)
	v_xor_b32_e32 v1, v1, v4
	v_sub_nc_u32_e32 v16, v1, v4
	s_delay_alu instid0(VALU_DEP_1) | instskip(SKIP_1) | instid1(VALU_DEP_2)
	v_mul_lo_u32 v7, v16, s8
	v_ashrrev_i32_e32 v17, 31, v16
	v_sub_nc_u32_e32 v1, v5, v7
	s_delay_alu instid0(VALU_DEP_1)
	v_ashrrev_i32_e32 v2, 31, v1
	s_wait_alu 0xfffe
	s_cbranch_vccnz .LBB42_5
; %bb.4:                                ;   in Loop: Header=BB42_3 Depth=1
	s_mov_b32 s0, 0
.LBB42_5:                               ;   in Loop: Header=BB42_3 Depth=1
	v_mov_b32_e32 v3, 0
	v_mov_b32_e32 v4, 0
	s_wait_alu 0xfffe
	s_and_not1_b32 vcc_lo, exec_lo, s0
	s_wait_alu 0xfffe
	s_cbranch_vccnz .LBB42_26
; %bb.6:                                ;   in Loop: Header=BB42_3 Depth=1
	v_lshlrev_b64_e32 v[3:4], 1, v[5:6]
	v_mul_lo_u32 v10, s41, v16
	v_mul_lo_u32 v11, s40, v17
	v_ashrrev_i32_e32 v8, 31, v7
	v_mad_co_u64_u32 v[5:6], null, s36, v16, s[34:35]
	v_mad_co_u64_u32 v[3:4], null, s40, v16, v[3:4]
	s_delay_alu instid0(VALU_DEP_3)
	v_lshlrev_b64_e32 v[7:8], 1, v[7:8]
	v_mul_lo_u32 v9, s37, v16
	v_mul_lo_u32 v12, s36, v17
	v_add_nc_u32_e32 v18, s16, v15
	s_mov_b32 s63, 0
	v_add3_u32 v4, v10, v4, v11
	v_sub_co_u32 v7, vcc_lo, v3, v7
	s_delay_alu instid0(VALU_DEP_4) | instskip(SKIP_1) | instid1(VALU_DEP_3)
	v_add3_u32 v6, v9, v6, v12
	s_wait_alu 0xfffd
	v_sub_co_ci_u32_e64 v8, null, v4, v8, vcc_lo
	s_delay_alu instid0(VALU_DEP_3)
	v_add_co_u32 v7, vcc_lo, s22, v7
	v_mov_b32_e32 v3, 0
	v_mov_b32_e32 v4, 0
	s_wait_alu 0xfffd
	v_add_co_ci_u32_e64 v8, null, s23, v8, vcc_lo
	s_branch .LBB42_8
.LBB42_7:                               ;   in Loop: Header=BB42_8 Depth=2
	v_add_co_u32 v7, vcc_lo, v7, s42
	s_wait_alu 0xfffd
	v_add_co_ci_u32_e64 v8, null, s43, v8, vcc_lo
	s_add_co_i32 s63, s63, 1
	s_delay_alu instid0(SALU_CYCLE_1)
	s_cmp_eq_u32 s63, s17
	s_cbranch_scc1 .LBB42_26
.LBB42_8:                               ;   Parent Loop BB42_3 Depth=1
                                        ; =>  This Loop Header: Depth=2
                                        ;       Child Loop BB42_17 Depth 3
                                        ;         Child Loop BB42_24 Depth 4
	s_mul_i32 s0, s13, s63
	s_mov_b32 s65, -1
	s_wait_alu 0xfffe
	s_sub_co_i32 s49, s15, s0
	s_mov_b32 s64, 0
	s_wait_alu 0xfffe
	s_cmp_gt_i32 s49, -1
                                        ; implicit-def: $sgpr28
                                        ; implicit-def: $sgpr1
                                        ; implicit-def: $sgpr0
                                        ; implicit-def: $sgpr48
	s_cbranch_scc1 .LBB42_12
; %bb.9:                                ;   in Loop: Header=BB42_8 Depth=2
	s_and_not1_b32 vcc_lo, exec_lo, s65
	s_wait_alu 0xfffe
	s_cbranch_vccz .LBB42_13
.LBB42_10:                              ;   in Loop: Header=BB42_8 Depth=2
	s_and_not1_b32 vcc_lo, exec_lo, s64
	s_mov_b32 s49, 1
	s_wait_alu 0xfffe
	s_cbranch_vccz .LBB42_14
; %bb.11:                               ;   in Loop: Header=BB42_8 Depth=2
	s_and_not1_b32 vcc_lo, exec_lo, s52
	s_wait_alu 0xfffe
	s_cbranch_vccz .LBB42_15
	s_branch .LBB42_7
.LBB42_12:                              ;   in Loop: Header=BB42_8 Depth=2
	s_abs_i32 s28, s49
	s_delay_alu instid0(SALU_CYCLE_1)
	s_mul_u64 s[0:1], s[28:29], s[10:11]
	s_wait_alu 0xfffe
	s_mul_i32 s0, s1, s56
	s_wait_alu 0xfffe
	s_sub_co_i32 s0, s28, s0
	s_ashr_i32 s28, s49, 31
	s_wait_alu 0xfffe
	s_sub_co_i32 s48, s0, s56
	s_cmp_ge_u32 s0, s56
	s_wait_alu 0xfffe
	s_cselect_b32 s64, s48, s0
	s_delay_alu instid0(SALU_CYCLE_1) | instskip(SKIP_2) | instid1(SALU_CYCLE_1)
	s_sub_co_i32 s65, s64, s56
	s_cmp_ge_u32 s64, s56
	s_cselect_b32 s64, s65, s64
	s_xor_b32 s64, s64, s28
	s_delay_alu instid0(SALU_CYCLE_1) | instskip(NEXT) | instid1(SALU_CYCLE_1)
	s_sub_co_i32 s64, s64, s28
	s_cmp_lg_u32 s64, 0
	s_cselect_b32 s64, -1, 0
	s_cbranch_execnz .LBB42_10
.LBB42_13:                              ;   in Loop: Header=BB42_8 Depth=2
	s_abs_i32 s28, s49
	s_delay_alu instid0(SALU_CYCLE_1)
	s_mul_u64 s[0:1], s[28:29], s[10:11]
	s_wait_alu 0xfffe
	s_mul_i32 s0, s1, s56
	s_wait_alu 0xfffe
	s_sub_co_i32 s0, s28, s0
	s_ashr_i32 s28, s49, 31
	s_wait_alu 0xfffe
	s_sub_co_i32 s48, s0, s56
	s_mov_b32 s49, 1
.LBB42_14:                              ;   in Loop: Header=BB42_8 Depth=2
	s_mov_b32 s49, 0
	s_and_not1_b32 vcc_lo, exec_lo, s52
	s_wait_alu 0xfffe
	s_cbranch_vccnz .LBB42_7
.LBB42_15:                              ;   in Loop: Header=BB42_8 Depth=2
	s_xor_b32 s28, s28, s62
	s_add_co_i32 s64, s1, 1
	s_cmp_ge_u32 s0, s56
	v_dual_mov_b32 v10, v8 :: v_dual_mov_b32 v9, v7
	s_cselect_b32 s1, s64, s1
	s_cselect_b32 s0, s48, s0
	s_wait_alu 0xfffe
	s_add_co_i32 s48, s1, 1
	s_cmp_ge_u32 s0, s56
	s_wait_alu 0xfffe
	s_cselect_b32 s0, s48, s1
	s_wait_alu 0xfffe
	s_xor_b32 s0, s0, s28
	s_wait_alu 0xfffe
	s_sub_co_i32 s48, s0, s28
	s_mov_b32 s28, 0
	s_wait_alu 0xfffe
	s_cmp_lt_i32 s48, s4
	s_cselect_b32 s1, s49, 0
	s_ashr_i32 s49, s48, 31
	s_wait_alu 0xfffe
	s_mul_u64 s[48:49], s[48:49], s[30:31]
	s_branch .LBB42_17
.LBB42_16:                              ;   in Loop: Header=BB42_17 Depth=3
	v_add_co_u32 v9, vcc_lo, v9, s44
	s_wait_alu 0xfffd
	v_add_co_ci_u32_e64 v10, null, s45, v10, vcc_lo
	s_add_co_i32 s28, s28, 1
	s_delay_alu instid0(SALU_CYCLE_1)
	s_cmp_eq_u32 s28, s18
	s_cbranch_scc1 .LBB42_7
.LBB42_17:                              ;   Parent Loop BB42_3 Depth=1
                                        ;     Parent Loop BB42_8 Depth=2
                                        ; =>    This Loop Header: Depth=3
                                        ;         Child Loop BB42_24 Depth 4
	s_mul_i32 s0, s14, s28
	s_wait_alu 0xfffe
	v_subrev_nc_u32_e32 v12, s0, v18
	s_delay_alu instid0(VALU_DEP_1) | instskip(SKIP_3) | instid1(VALU_DEP_4)
	v_sub_nc_u32_e32 v13, 0, v12
	v_cmp_gt_i32_e64 s0, 0, v12
	v_cmp_lt_i32_e32 vcc_lo, -1, v12
	v_ashrrev_i32_e32 v11, 31, v12
	v_max_i32_e32 v12, v12, v13
	s_and_saveexec_b32 s64, vcc_lo
	s_cbranch_execnz .LBB42_20
; %bb.18:                               ;   in Loop: Header=BB42_17 Depth=3
	s_or_b32 exec_lo, exec_lo, s64
	v_mov_b32_e32 v13, 1
	s_and_saveexec_b32 s64, s0
	s_cbranch_execnz .LBB42_21
.LBB42_19:                              ;   in Loop: Header=BB42_17 Depth=3
	s_or_b32 exec_lo, exec_lo, s64
	s_delay_alu instid0(SALU_CYCLE_1)
	s_and_not1_b32 vcc_lo, exec_lo, s53
	s_wait_alu 0xfffe
	s_cbranch_vccz .LBB42_22
	s_branch .LBB42_16
.LBB42_20:                              ;   in Loop: Header=BB42_17 Depth=3
	s_delay_alu instid0(VALU_DEP_1) | instskip(SKIP_1) | instid1(VALU_DEP_1)
	v_mul_hi_u32 v13, v12, s12
	s_and_not1_b32 s0, s0, exec_lo
	v_mul_lo_u32 v13, v13, s57
	s_delay_alu instid0(VALU_DEP_1) | instskip(NEXT) | instid1(VALU_DEP_1)
	v_sub_nc_u32_e32 v13, v12, v13
	v_subrev_nc_u32_e32 v14, s57, v13
	v_cmp_le_u32_e32 vcc_lo, s57, v13
	s_wait_alu 0xfffd
	s_delay_alu instid0(VALU_DEP_2) | instskip(NEXT) | instid1(VALU_DEP_1)
	v_cndmask_b32_e32 v13, v13, v14, vcc_lo
	v_subrev_nc_u32_e32 v14, s57, v13
	v_cmp_le_u32_e32 vcc_lo, s57, v13
	s_wait_alu 0xfffd
	s_delay_alu instid0(VALU_DEP_2) | instskip(NEXT) | instid1(VALU_DEP_1)
	v_cndmask_b32_e32 v13, v13, v14, vcc_lo
	v_xor_b32_e32 v13, v13, v11
	s_delay_alu instid0(VALU_DEP_1) | instskip(NEXT) | instid1(VALU_DEP_1)
	v_sub_nc_u32_e32 v13, v13, v11
	v_cmp_ne_u32_e32 vcc_lo, 0, v13
	s_and_b32 s65, vcc_lo, exec_lo
	s_wait_alu 0xfffe
	s_or_b32 s0, s0, s65
	s_or_b32 exec_lo, exec_lo, s64
	v_mov_b32_e32 v13, 1
	s_wait_alu 0xfffe
	s_and_saveexec_b32 s64, s0
	s_cbranch_execz .LBB42_19
.LBB42_21:                              ;   in Loop: Header=BB42_17 Depth=3
	v_mov_b32_e32 v13, 0
	s_or_b32 exec_lo, exec_lo, s64
	s_delay_alu instid0(SALU_CYCLE_1)
	s_and_not1_b32 vcc_lo, exec_lo, s53
	s_wait_alu 0xfffe
	s_cbranch_vccnz .LBB42_16
.LBB42_22:                              ;   in Loop: Header=BB42_17 Depth=3
	v_mul_hi_u32 v14, v12, s12
	v_xor_b32_e32 v11, s5, v11
	s_mov_b32 s64, s7
	s_delay_alu instid0(VALU_DEP_2) | instskip(NEXT) | instid1(VALU_DEP_1)
	v_mul_lo_u32 v19, v14, s57
	v_sub_nc_u32_e32 v12, v12, v19
	s_delay_alu instid0(VALU_DEP_1) | instskip(SKIP_2) | instid1(VALU_DEP_2)
	v_subrev_nc_u32_e32 v20, s57, v12
	v_cmp_le_u32_e32 vcc_lo, s57, v12
	s_wait_alu 0xfffd
	v_dual_cndmask_b32 v12, v12, v20 :: v_dual_add_nc_u32 v19, 1, v14
	s_delay_alu instid0(VALU_DEP_1) | instskip(NEXT) | instid1(VALU_DEP_2)
	v_cndmask_b32_e32 v14, v14, v19, vcc_lo
	v_cmp_le_u32_e32 vcc_lo, s57, v12
	s_delay_alu instid0(VALU_DEP_2) | instskip(SKIP_1) | instid1(VALU_DEP_1)
	v_add_nc_u32_e32 v19, 1, v14
	s_wait_alu 0xfffd
	v_cndmask_b32_e32 v12, v14, v19, vcc_lo
	s_delay_alu instid0(VALU_DEP_1) | instskip(NEXT) | instid1(VALU_DEP_1)
	v_xor_b32_e32 v12, v12, v11
	v_sub_nc_u32_e32 v14, v12, v11
	s_delay_alu instid0(VALU_DEP_1) | instskip(SKIP_2) | instid1(VALU_DEP_2)
	v_ashrrev_i32_e32 v12, 31, v14
	v_add_co_u32 v11, vcc_lo, s48, v14
	s_wait_alu 0xfffd
	v_add_co_ci_u32_e64 v12, null, s49, v12, vcc_lo
	v_cmp_gt_i32_e32 vcc_lo, s30, v14
	s_delay_alu instid0(VALU_DEP_2) | instskip(SKIP_2) | instid1(VALU_DEP_2)
	v_lshlrev_b64_e32 v[11:12], 1, v[11:12]
	s_wait_alu 0xfffd
	v_cndmask_b32_e32 v13, 0, v13, vcc_lo
	v_add_co_u32 v11, vcc_lo, s38, v11
	s_wait_alu 0xfffd
	s_delay_alu instid0(VALU_DEP_3) | instskip(NEXT) | instid1(VALU_DEP_3)
	v_add_co_ci_u32_e64 v12, null, s39, v12, vcc_lo
	v_and_b32_e32 v13, s1, v13
	s_delay_alu instid0(VALU_DEP_3) | instskip(NEXT) | instid1(VALU_DEP_3)
	v_mul_lo_u32 v19, s50, v11
	v_mul_lo_u32 v14, s33, v12
	v_mad_co_u64_u32 v[11:12], null, s33, v11, v[5:6]
	s_delay_alu instid0(VALU_DEP_4) | instskip(NEXT) | instid1(VALU_DEP_1)
	v_and_b32_e32 v13, 1, v13
	v_cmp_eq_u32_e32 vcc_lo, 1, v13
	s_delay_alu instid0(VALU_DEP_3)
	v_add3_u32 v12, v19, v12, v14
	v_dual_mov_b32 v14, v10 :: v_dual_mov_b32 v13, v9
	s_branch .LBB42_24
.LBB42_23:                              ;   in Loop: Header=BB42_24 Depth=4
	s_wait_alu 0xfffe
	s_or_b32 exec_lo, exec_lo, s0
	v_add_co_u32 v11, s0, v11, 2
	s_wait_alu 0xf1ff
	v_add_co_ci_u32_e64 v12, null, 0, v12, s0
	v_add_co_u32 v13, s0, v13, s46
	s_wait_alu 0xf1ff
	v_add_co_ci_u32_e64 v14, null, s47, v14, s0
	s_add_co_i32 s64, s64, -1
	s_delay_alu instid0(SALU_CYCLE_1)
	s_cmp_eq_u32 s64, 0
	s_cbranch_scc1 .LBB42_16
.LBB42_24:                              ;   Parent Loop BB42_3 Depth=1
                                        ;     Parent Loop BB42_8 Depth=2
                                        ;       Parent Loop BB42_17 Depth=3
                                        ; =>      This Inner Loop Header: Depth=4
	s_and_saveexec_b32 s0, vcc_lo
	s_cbranch_execz .LBB42_23
; %bb.25:                               ;   in Loop: Header=BB42_24 Depth=4
	global_load_u16 v19, v[13:14], off
	global_load_u16 v20, v[11:12], off
	s_wait_loadcnt 0x1
	v_lshlrev_b32_e32 v19, 16, v19
	s_wait_loadcnt 0x0
	v_lshlrev_b32_e32 v21, 16, v20
	s_delay_alu instid0(VALU_DEP_2) | instskip(NEXT) | instid1(VALU_DEP_2)
	v_cvt_f64_f32_e32 v[19:20], v19
	v_cvt_f64_f32_e32 v[21:22], v21
	s_delay_alu instid0(VALU_DEP_1)
	v_fma_f64 v[3:4], v[21:22], v[19:20], v[3:4]
	s_branch .LBB42_23
.LBB42_26:                              ;   in Loop: Header=BB42_3 Depth=1
	v_mad_co_i64_i32 v[1:2], null, v15, s2, v[1:2]
	v_mul_lo_u32 v5, v16, s9
	v_mul_lo_u32 v6, v17, s8
	s_and_b32 vcc_lo, exec_lo, s59
	s_mov_b32 s0, -1
	s_delay_alu instid0(VALU_DEP_3) | instskip(NEXT) | instid1(VALU_DEP_1)
	v_mad_co_u64_u32 v[1:2], null, v16, s8, v[1:2]
	v_add3_u32 v2, v6, v2, v5
	s_delay_alu instid0(VALU_DEP_1)
	v_lshlrev_b64_e32 v[1:2], 1, v[1:2]
	s_wait_alu 0xfffe
	s_cbranch_vccz .LBB42_28
; %bb.27:                               ;   in Loop: Header=BB42_3 Depth=1
	s_delay_alu instid0(VALU_DEP_1) | instskip(SKIP_1) | instid1(VALU_DEP_2)
	v_add_co_u32 v5, vcc_lo, s20, v1
	s_wait_alu 0xfffd
	v_add_co_ci_u32_e64 v6, null, s21, v2, vcc_lo
	global_load_u16 v7, v[5:6], off
	s_wait_loadcnt 0x0
	v_lshlrev_b32_e32 v7, 16, v7
	s_delay_alu instid0(VALU_DEP_1) | instskip(NEXT) | instid1(VALU_DEP_1)
	v_cvt_f64_f32_e32 v[7:8], v7
	v_mul_f64_e32 v[7:8], s[26:27], v[7:8]
	s_delay_alu instid0(VALU_DEP_1) | instskip(NEXT) | instid1(VALU_DEP_1)
	v_fma_f64 v[7:8], s[24:25], v[3:4], v[7:8]
	v_cvt_f32_f64_e32 v7, v[7:8]
	s_delay_alu instid0(VALU_DEP_1) | instskip(SKIP_2) | instid1(VALU_DEP_3)
	v_and_b32_e32 v8, 0x7f800000, v7
	v_and_b32_e32 v9, 0xffff, v7
	v_lshrrev_b32_e32 v7, 16, v7
	v_cmp_eq_u32_e32 vcc_lo, 0x7f800000, v8
	s_delay_alu instid0(VALU_DEP_3) | instskip(SKIP_4) | instid1(VALU_DEP_1)
	v_cmp_ne_u32_e64 s0, 0, v9
	s_and_b32 s0, vcc_lo, s0
	s_wait_alu 0xfffe
	v_cndmask_b32_e64 v8, 0, 1, s0
	s_mov_b32 s0, 0
	v_or_b32_e32 v7, v7, v8
	global_store_b16 v[5:6], v7, off
.LBB42_28:                              ;   in Loop: Header=BB42_3 Depth=1
	s_wait_alu 0xfffe
	s_and_not1_b32 vcc_lo, exec_lo, s0
	s_wait_alu 0xfffe
	s_cbranch_vccnz .LBB42_2
; %bb.29:                               ;   in Loop: Header=BB42_3 Depth=1
	v_cvt_f32_f64_e32 v3, v[3:4]
	s_delay_alu instid0(VALU_DEP_1) | instskip(SKIP_2) | instid1(VALU_DEP_3)
	v_and_b32_e32 v4, 0x7f800000, v3
	v_and_b32_e32 v5, 0xffff, v3
	v_lshrrev_b32_e32 v3, 16, v3
	v_cmp_eq_u32_e32 vcc_lo, 0x7f800000, v4
	s_delay_alu instid0(VALU_DEP_3)
	v_cmp_ne_u32_e64 s0, 0, v5
	s_and_b32 s0, vcc_lo, s0
	v_add_co_u32 v1, vcc_lo, s20, v1
	s_wait_alu 0xfffe
	v_cndmask_b32_e64 v4, 0, 1, s0
	s_wait_alu 0xfffd
	v_add_co_ci_u32_e64 v2, null, s21, v2, vcc_lo
	s_delay_alu instid0(VALU_DEP_2)
	v_or_b32_e32 v3, v3, v4
	global_store_b16 v[1:2], v3, off
	s_branch .LBB42_2
.LBB42_30:
	s_endpgm
	.section	.rodata,"a",@progbits
	.p2align	6, 0x0
	.amdhsa_kernel naive_conv_ab_packed_bwd_nhwc_ushort_double_ushort_0
		.amdhsa_group_segment_fixed_size 0
		.amdhsa_private_segment_fixed_size 0
		.amdhsa_kernarg_size 480
		.amdhsa_user_sgpr_count 2
		.amdhsa_user_sgpr_dispatch_ptr 0
		.amdhsa_user_sgpr_queue_ptr 0
		.amdhsa_user_sgpr_kernarg_segment_ptr 1
		.amdhsa_user_sgpr_dispatch_id 0
		.amdhsa_user_sgpr_private_segment_size 0
		.amdhsa_wavefront_size32 1
		.amdhsa_uses_dynamic_stack 0
		.amdhsa_enable_private_segment 0
		.amdhsa_system_sgpr_workgroup_id_x 1
		.amdhsa_system_sgpr_workgroup_id_y 0
		.amdhsa_system_sgpr_workgroup_id_z 0
		.amdhsa_system_sgpr_workgroup_info 0
		.amdhsa_system_vgpr_workitem_id 0
		.amdhsa_next_free_vgpr 23
		.amdhsa_next_free_sgpr 66
		.amdhsa_reserve_vcc 1
		.amdhsa_float_round_mode_32 0
		.amdhsa_float_round_mode_16_64 0
		.amdhsa_float_denorm_mode_32 3
		.amdhsa_float_denorm_mode_16_64 3
		.amdhsa_fp16_overflow 0
		.amdhsa_workgroup_processor_mode 1
		.amdhsa_memory_ordered 1
		.amdhsa_forward_progress 1
		.amdhsa_inst_pref_size 21
		.amdhsa_round_robin_scheduling 0
		.amdhsa_exception_fp_ieee_invalid_op 0
		.amdhsa_exception_fp_denorm_src 0
		.amdhsa_exception_fp_ieee_div_zero 0
		.amdhsa_exception_fp_ieee_overflow 0
		.amdhsa_exception_fp_ieee_underflow 0
		.amdhsa_exception_fp_ieee_inexact 0
		.amdhsa_exception_int_div_zero 0
	.end_amdhsa_kernel
	.text
.Lfunc_end42:
	.size	naive_conv_ab_packed_bwd_nhwc_ushort_double_ushort_0, .Lfunc_end42-naive_conv_ab_packed_bwd_nhwc_ushort_double_ushort_0
                                        ; -- End function
	.set naive_conv_ab_packed_bwd_nhwc_ushort_double_ushort_0.num_vgpr, 23
	.set naive_conv_ab_packed_bwd_nhwc_ushort_double_ushort_0.num_agpr, 0
	.set naive_conv_ab_packed_bwd_nhwc_ushort_double_ushort_0.numbered_sgpr, 66
	.set naive_conv_ab_packed_bwd_nhwc_ushort_double_ushort_0.num_named_barrier, 0
	.set naive_conv_ab_packed_bwd_nhwc_ushort_double_ushort_0.private_seg_size, 0
	.set naive_conv_ab_packed_bwd_nhwc_ushort_double_ushort_0.uses_vcc, 1
	.set naive_conv_ab_packed_bwd_nhwc_ushort_double_ushort_0.uses_flat_scratch, 0
	.set naive_conv_ab_packed_bwd_nhwc_ushort_double_ushort_0.has_dyn_sized_stack, 0
	.set naive_conv_ab_packed_bwd_nhwc_ushort_double_ushort_0.has_recursion, 0
	.set naive_conv_ab_packed_bwd_nhwc_ushort_double_ushort_0.has_indirect_call, 0
	.section	.AMDGPU.csdata,"",@progbits
; Kernel info:
; codeLenInByte = 2620
; TotalNumSgprs: 68
; NumVgprs: 23
; ScratchSize: 0
; MemoryBound: 0
; FloatMode: 240
; IeeeMode: 1
; LDSByteSize: 0 bytes/workgroup (compile time only)
; SGPRBlocks: 0
; VGPRBlocks: 2
; NumSGPRsForWavesPerEU: 68
; NumVGPRsForWavesPerEU: 23
; Occupancy: 16
; WaveLimiterHint : 0
; COMPUTE_PGM_RSRC2:SCRATCH_EN: 0
; COMPUTE_PGM_RSRC2:USER_SGPR: 2
; COMPUTE_PGM_RSRC2:TRAP_HANDLER: 0
; COMPUTE_PGM_RSRC2:TGID_X_EN: 1
; COMPUTE_PGM_RSRC2:TGID_Y_EN: 0
; COMPUTE_PGM_RSRC2:TGID_Z_EN: 0
; COMPUTE_PGM_RSRC2:TIDIG_COMP_CNT: 0
	.text
	.protected	naive_conv_ab_nonpacked_bwd_nhwc_ushort_double_ushort_0 ; -- Begin function naive_conv_ab_nonpacked_bwd_nhwc_ushort_double_ushort_0
	.globl	naive_conv_ab_nonpacked_bwd_nhwc_ushort_double_ushort_0
	.p2align	8
	.type	naive_conv_ab_nonpacked_bwd_nhwc_ushort_double_ushort_0,@function
naive_conv_ab_nonpacked_bwd_nhwc_ushort_double_ushort_0: ; @naive_conv_ab_nonpacked_bwd_nhwc_ushort_double_ushort_0
; %bb.0:
	s_load_b512 s[4:19], s[0:1], 0xa0
	s_abs_i32 s21, ttmp9
	s_wait_kmcnt 0x0
	s_abs_i32 s2, s4
	s_delay_alu instid0(SALU_CYCLE_1) | instskip(SKIP_1) | instid1(SALU_CYCLE_2)
	s_cvt_f32_u32 s3, s2
	s_sub_co_i32 s20, 0, s2
	v_rcp_iflag_f32_e32 v1, s3
	s_delay_alu instid0(TRANS32_DEP_1) | instskip(SKIP_2) | instid1(SALU_CYCLE_2)
	v_readfirstlane_b32 s3, v1
	s_mul_f32 s3, s3, 0x4f7ffffe
	s_wait_alu 0xfffe
	s_cvt_u32_f32 s3, s3
	s_wait_alu 0xfffe
	s_delay_alu instid0(SALU_CYCLE_2) | instskip(NEXT) | instid1(SALU_CYCLE_1)
	s_mul_i32 s20, s20, s3
	s_mul_hi_u32 s20, s3, s20
	s_delay_alu instid0(SALU_CYCLE_1) | instskip(SKIP_4) | instid1(SALU_CYCLE_1)
	s_add_co_i32 s3, s3, s20
	s_wait_alu 0xfffe
	s_mul_hi_u32 s3, s21, s3
	s_wait_alu 0xfffe
	s_mul_i32 s20, s3, s2
	s_sub_co_i32 s20, s21, s20
	s_add_co_i32 s21, s3, 1
	s_sub_co_i32 s22, s20, s2
	s_cmp_ge_u32 s20, s2
	s_cselect_b32 s3, s21, s3
	s_cselect_b32 s20, s22, s20
	s_wait_alu 0xfffe
	s_add_co_i32 s21, s3, 1
	s_cmp_ge_u32 s20, s2
	s_mov_b32 s20, exec_lo
	s_cselect_b32 s2, s21, s3
	s_abs_i32 s28, s6
	s_mul_i32 s6, s19, s8
	s_cvt_f32_u32 s3, s28
	s_mul_i32 s19, s6, s5
	s_wait_alu 0xfffe
	s_delay_alu instid0(SALU_CYCLE_1) | instskip(SKIP_1) | instid1(TRANS32_DEP_1)
	v_rcp_iflag_f32_e32 v1, s3
	s_mov_b32 s3, 0
	v_readfirstlane_b32 s5, v1
	v_cmpx_gt_i32_e64 s19, v0
	s_cbranch_execz .LBB43_30
; %bb.1:
	s_mul_f32 s5, s5, 0x4f7ffffe
	s_xor_b32 s29, ttmp9, s4
	s_sub_co_i32 s30, 0, s28
	s_ashr_i32 s29, s29, 31
	s_cvt_u32_f32 s5, s5
	s_xor_b32 s2, s2, s29
	s_wait_alu 0xfffe
	s_mov_b32 s31, s3
	s_sub_co_i32 s29, s2, s29
	s_mul_i32 s30, s30, s5
	s_abs_i32 s2, s29
	s_mul_hi_u32 s30, s5, s30
	s_load_b512 s[36:51], s[0:1], 0x28
	s_add_co_i32 s30, s5, s30
	s_ashr_i32 s5, s29, 31
	s_mul_u64 s[30:31], s[2:3], s[30:31]
	s_mul_i32 s29, s29, s4
	s_mul_i32 s30, s31, s28
	s_sub_co_i32 s4, ttmp9, s29
	s_sub_co_i32 s2, s2, s30
	s_load_b256 s[20:27], s[0:1], 0x0
	s_sub_co_i32 s29, s2, s28
	s_cmp_ge_u32 s2, s28
	s_load_b64 s[60:61], s[0:1], 0x20
	s_cselect_b32 s2, s29, s2
	s_load_b256 s[52:59], s[0:1], 0x68
	s_sub_co_i32 s29, s2, s28
	s_cmp_ge_u32 s2, s28
	s_cselect_b32 s2, s29, s2
	s_wait_alu 0xfffe
	s_xor_b32 s2, s2, s5
	s_wait_alu 0xfffe
	s_sub_co_i32 s62, s2, s5
	s_ashr_i32 s5, s4, 31
	s_ashr_i32 s63, s62, 31
	s_wait_kmcnt 0x0
	s_mul_u64 s[28:29], s[42:43], s[4:5]
	s_mul_u64 s[30:31], s[44:45], s[62:63]
	s_lshl_b64 s[34:35], s[28:29], 1
	s_lshl_b64 s[42:43], s[30:31], 1
	s_cmp_lt_i32 s17, 1
	v_cmp_neq_f64_e64 s73, s[24:25], 1.0
	v_cmp_neq_f64_e64 s74, s[26:27], 0
	s_cselect_b32 s33, -1, 0
	s_add_co_i32 s15, s4, s15
	s_cmp_gt_i32 s18, 0
	s_load_b32 s2, s[0:1], 0xec
	s_cselect_b32 s64, -1, 0
	s_cmp_gt_i32 s7, 0
	s_clause 0x1
	s_load_b64 s[78:79], s[0:1], 0x98
	s_load_b128 s[28:31], s[0:1], 0x88
	s_cselect_b32 s65, -1, 0
	s_abs_i32 s66, s6
	s_abs_i32 s67, s8
	s_cvt_f32_u32 s4, s66
	s_cvt_f32_u32 s5, s67
	s_abs_i32 s68, s11
	s_add_nc_u64 s[0:1], s[20:21], s[42:43]
	v_rcp_iflag_f32_e32 v1, s4
	v_rcp_iflag_f32_e32 v2, s5
	s_abs_i32 s69, s12
	s_cvt_f32_u32 s20, s68
	s_add_nc_u64 s[4:5], s[0:1], s[34:35]
	s_cvt_f32_u32 s0, s69
	s_ashr_i32 s71, s6, 31
	v_rcp_iflag_f32_e32 v3, s20
	s_sub_co_i32 s20, 0, s67
	v_rcp_iflag_f32_e32 v4, s0
	v_readfirstlane_b32 s0, v1
	v_readfirstlane_b32 s1, v2
	s_wait_kmcnt 0x0
	s_and_b32 s70, s2, 0xffff
	s_sub_co_i32 s2, 0, s66
	s_ashr_i32 s72, s8, 31
	s_mul_f32 s0, s0, 0x4f7ffffe
	s_mul_f32 s1, s1, 0x4f7ffffe
	v_readfirstlane_b32 s21, v3
	s_ashr_i32 s11, s11, 31
	s_wait_alu 0xfffe
	s_cvt_u32_f32 s0, s0
	s_cvt_u32_f32 s1, s1
	v_readfirstlane_b32 s34, v4
	s_mul_f32 s21, s21, 0x4f7ffffe
	s_wait_alu 0xfffe
	s_mul_i32 s2, s2, s0
	s_mul_i32 s20, s20, s1
	s_wait_alu 0xfffe
	s_mul_hi_u32 s2, s0, s2
	s_mul_hi_u32 s20, s1, s20
	s_or_b32 s73, s73, s74
	s_wait_alu 0xfffe
	s_add_co_i32 s74, s0, s2
	s_add_co_i32 s75, s1, s20
	s_cvt_u32_f32 s0, s21
	s_mul_f32 s1, s34, 0x4f7ffffe
	s_sub_co_i32 s2, 0, s68
	s_sub_co_i32 s21, 0, s69
	s_wait_alu 0xfffe
	s_mul_i32 s2, s2, s0
	s_cvt_u32_f32 s1, s1
	s_wait_alu 0xfffe
	s_mul_hi_u32 s2, s0, s2
	s_ashr_i32 s12, s12, 31
	s_wait_alu 0xfffe
	s_add_co_i32 s20, s0, s2
	s_mul_i32 s0, s21, s1
	s_mov_b32 s21, s3
	s_wait_alu 0xfffe
	s_mul_hi_u32 s0, s1, s0
	s_lshl_b64 s[34:35], s[46:47], 1
	s_wait_alu 0xfffe
	s_add_co_i32 s76, s1, s0
	s_mul_u64 s[0:1], s[78:79], s[62:63]
	s_lshl_b64 s[42:43], s[54:55], 1
	s_wait_alu 0xfffe
	s_lshl_b64 s[0:1], s[0:1], 1
	s_lshl_b64 s[44:45], s[50:51], 1
	;; [unrolled: 1-line block ×4, first 2 shown]
	s_wait_alu 0xfffe
	s_add_nc_u64 s[50:51], s[60:61], s[0:1]
	s_lshl_b64 s[52:53], s[58:59], 1
	s_lshl_b64 s[30:31], s[30:31], 1
	;; [unrolled: 1-line block ×4, first 2 shown]
	s_mov_b32 s56, 0
	s_branch .LBB43_3
.LBB43_2:                               ;   in Loop: Header=BB43_3 Depth=1
	v_add_nc_u32_e32 v0, s70, v0
	s_delay_alu instid0(VALU_DEP_1) | instskip(SKIP_1) | instid1(SALU_CYCLE_1)
	v_cmp_le_i32_e32 vcc_lo, s19, v0
	s_or_b32 s56, vcc_lo, s56
	s_and_not1_b32 exec_lo, exec_lo, s56
	s_cbranch_execz .LBB43_30
.LBB43_3:                               ; =>This Loop Header: Depth=1
                                        ;     Child Loop BB43_8 Depth 2
                                        ;       Child Loop BB43_17 Depth 3
                                        ;         Child Loop BB43_24 Depth 4
	v_sub_nc_u32_e32 v1, 0, v0
	s_mov_b32 s0, -1
	s_delay_alu instid0(VALU_DEP_1) | instskip(NEXT) | instid1(VALU_DEP_1)
	v_max_i32_e32 v1, v0, v1
	v_mul_hi_u32 v2, v1, s74
	s_delay_alu instid0(VALU_DEP_1) | instskip(NEXT) | instid1(VALU_DEP_1)
	v_mul_lo_u32 v3, v2, s66
	v_sub_nc_u32_e32 v1, v1, v3
	v_add_nc_u32_e32 v3, 1, v2
	s_delay_alu instid0(VALU_DEP_2) | instskip(SKIP_2) | instid1(VALU_DEP_2)
	v_subrev_nc_u32_e32 v4, s66, v1
	v_cmp_le_u32_e32 vcc_lo, s66, v1
	s_wait_alu 0xfffd
	v_dual_cndmask_b32 v2, v2, v3 :: v_dual_cndmask_b32 v1, v1, v4
	v_ashrrev_i32_e32 v3, 31, v0
	s_delay_alu instid0(VALU_DEP_2) | instskip(NEXT) | instid1(VALU_DEP_3)
	v_add_nc_u32_e32 v4, 1, v2
	v_cmp_le_u32_e32 vcc_lo, s66, v1
	s_delay_alu instid0(VALU_DEP_3) | instskip(SKIP_1) | instid1(VALU_DEP_3)
	v_xor_b32_e32 v3, s71, v3
	s_wait_alu 0xfffd
	v_cndmask_b32_e32 v1, v2, v4, vcc_lo
	s_delay_alu instid0(VALU_DEP_1) | instskip(NEXT) | instid1(VALU_DEP_1)
	v_xor_b32_e32 v1, v1, v3
	v_sub_nc_u32_e32 v15, v1, v3
	s_delay_alu instid0(VALU_DEP_1) | instskip(NEXT) | instid1(VALU_DEP_1)
	v_mul_lo_u32 v1, v15, s6
	v_sub_nc_u32_e32 v3, v0, v1
	s_delay_alu instid0(VALU_DEP_1) | instskip(NEXT) | instid1(VALU_DEP_1)
	v_sub_nc_u32_e32 v1, 0, v3
	v_max_i32_e32 v1, v3, v1
	s_delay_alu instid0(VALU_DEP_1) | instskip(NEXT) | instid1(VALU_DEP_1)
	v_mul_hi_u32 v2, v1, s75
	v_mul_lo_u32 v4, v2, s67
	s_delay_alu instid0(VALU_DEP_1) | instskip(SKIP_1) | instid1(VALU_DEP_2)
	v_sub_nc_u32_e32 v1, v1, v4
	v_add_nc_u32_e32 v4, 1, v2
	v_subrev_nc_u32_e32 v5, s67, v1
	v_cmp_le_u32_e32 vcc_lo, s67, v1
	s_wait_alu 0xfffd
	s_delay_alu instid0(VALU_DEP_2) | instskip(SKIP_1) | instid1(VALU_DEP_2)
	v_dual_cndmask_b32 v2, v2, v4 :: v_dual_cndmask_b32 v1, v1, v5
	v_ashrrev_i32_e32 v4, 31, v3
	v_add_nc_u32_e32 v5, 1, v2
	s_delay_alu instid0(VALU_DEP_3) | instskip(NEXT) | instid1(VALU_DEP_3)
	v_cmp_le_u32_e32 vcc_lo, s67, v1
	v_xor_b32_e32 v6, s72, v4
	s_wait_alu 0xfffd
	s_delay_alu instid0(VALU_DEP_3) | instskip(SKIP_1) | instid1(VALU_DEP_1)
	v_cndmask_b32_e32 v1, v2, v5, vcc_lo
	s_and_not1_b32 vcc_lo, exec_lo, s33
	v_xor_b32_e32 v1, v1, v6
	s_delay_alu instid0(VALU_DEP_1) | instskip(NEXT) | instid1(VALU_DEP_1)
	v_sub_nc_u32_e32 v16, v1, v6
	v_mul_lo_u32 v5, v16, s8
	v_ashrrev_i32_e32 v17, 31, v16
	s_delay_alu instid0(VALU_DEP_2) | instskip(NEXT) | instid1(VALU_DEP_1)
	v_sub_nc_u32_e32 v18, v3, v5
	v_ashrrev_i32_e32 v19, 31, v18
	s_wait_alu 0xfffe
	s_cbranch_vccnz .LBB43_5
; %bb.4:                                ;   in Loop: Header=BB43_3 Depth=1
	s_mov_b32 s0, 0
.LBB43_5:                               ;   in Loop: Header=BB43_3 Depth=1
	v_mov_b32_e32 v1, 0
	v_mov_b32_e32 v2, 0
	s_wait_alu 0xfffe
	s_and_not1_b32 vcc_lo, exec_lo, s0
	s_wait_alu 0xfffe
	s_cbranch_vccnz .LBB43_26
; %bb.6:                                ;   in Loop: Header=BB43_3 Depth=1
	v_mul_lo_u32 v6, s43, v16
	v_mul_lo_u32 v7, s42, v17
	v_mad_co_u64_u32 v[1:2], null, s42, v16, 0
	v_ashrrev_i32_e32 v8, 31, v5
	v_sub_co_u32 v3, vcc_lo, v3, v5
	v_mul_lo_u32 v9, s53, v16
	v_mul_lo_u32 v10, s52, v17
	s_wait_alu 0xfffd
	v_sub_co_ci_u32_e64 v4, null, v4, v8, vcc_lo
	v_add3_u32 v2, v2, v7, v6
	v_mul_lo_u32 v7, s35, v3
	v_add_nc_u32_e32 v20, s16, v15
	s_delay_alu instid0(VALU_DEP_4)
	v_mul_lo_u32 v8, s34, v4
	s_mov_b32 s57, 0
	v_mad_co_u64_u32 v[5:6], null, s34, v3, v[1:2]
	v_mad_co_u64_u32 v[3:4], null, s52, v16, s[50:51]
	v_mov_b32_e32 v1, 0
	v_mov_b32_e32 v2, 0
	s_delay_alu instid0(VALU_DEP_4) | instskip(SKIP_3) | instid1(VALU_DEP_3)
	v_add3_u32 v6, v7, v6, v8
	v_add_co_u32 v5, vcc_lo, s22, v5
	v_add3_u32 v4, v9, v4, v10
	s_wait_alu 0xfffd
	v_add_co_ci_u32_e64 v6, null, s23, v6, vcc_lo
	s_branch .LBB43_8
.LBB43_7:                               ;   in Loop: Header=BB43_8 Depth=2
	v_add_co_u32 v5, vcc_lo, v5, s44
	s_wait_alu 0xfffd
	v_add_co_ci_u32_e64 v6, null, s45, v6, vcc_lo
	s_add_co_i32 s57, s57, 1
	s_delay_alu instid0(SALU_CYCLE_1)
	s_cmp_eq_u32 s57, s17
	s_cbranch_scc1 .LBB43_26
.LBB43_8:                               ;   Parent Loop BB43_3 Depth=1
                                        ; =>  This Loop Header: Depth=2
                                        ;       Child Loop BB43_17 Depth 3
                                        ;         Child Loop BB43_24 Depth 4
	s_mul_i32 s0, s13, s57
	s_mov_b32 s61, -1
	s_wait_alu 0xfffe
	s_sub_co_i32 s59, s15, s0
	s_mov_b32 s60, 0
	s_cmp_gt_i32 s59, -1
                                        ; implicit-def: $sgpr2
                                        ; implicit-def: $sgpr1
                                        ; implicit-def: $sgpr0
                                        ; implicit-def: $sgpr58
	s_cbranch_scc1 .LBB43_12
; %bb.9:                                ;   in Loop: Header=BB43_8 Depth=2
	s_and_not1_b32 vcc_lo, exec_lo, s61
	s_wait_alu 0xfffe
	s_cbranch_vccz .LBB43_13
.LBB43_10:                              ;   in Loop: Header=BB43_8 Depth=2
	s_and_not1_b32 vcc_lo, exec_lo, s60
	s_mov_b32 s59, 1
	s_wait_alu 0xfffe
	s_cbranch_vccz .LBB43_14
; %bb.11:                               ;   in Loop: Header=BB43_8 Depth=2
	s_and_not1_b32 vcc_lo, exec_lo, s64
	s_wait_alu 0xfffe
	s_cbranch_vccz .LBB43_15
	s_branch .LBB43_7
.LBB43_12:                              ;   in Loop: Header=BB43_8 Depth=2
	s_abs_i32 s2, s59
	s_wait_alu 0xfffe
	s_mul_u64 s[0:1], s[2:3], s[20:21]
	s_wait_alu 0xfffe
	s_mul_i32 s0, s1, s68
	s_wait_alu 0xfffe
	s_sub_co_i32 s0, s2, s0
	s_ashr_i32 s2, s59, 31
	s_wait_alu 0xfffe
	s_sub_co_i32 s58, s0, s68
	s_cmp_ge_u32 s0, s68
	s_cselect_b32 s60, s58, s0
	s_delay_alu instid0(SALU_CYCLE_1) | instskip(SKIP_2) | instid1(SALU_CYCLE_1)
	s_sub_co_i32 s61, s60, s68
	s_cmp_ge_u32 s60, s68
	s_cselect_b32 s60, s61, s60
	s_xor_b32 s60, s60, s2
	s_delay_alu instid0(SALU_CYCLE_1) | instskip(NEXT) | instid1(SALU_CYCLE_1)
	s_sub_co_i32 s60, s60, s2
	s_cmp_lg_u32 s60, 0
	s_cselect_b32 s60, -1, 0
	s_cbranch_execnz .LBB43_10
.LBB43_13:                              ;   in Loop: Header=BB43_8 Depth=2
	s_abs_i32 s2, s59
	s_wait_alu 0xfffe
	s_mul_u64 s[0:1], s[2:3], s[20:21]
	s_wait_alu 0xfffe
	s_mul_i32 s0, s1, s68
	s_wait_alu 0xfffe
	s_sub_co_i32 s0, s2, s0
	s_ashr_i32 s2, s59, 31
	s_wait_alu 0xfffe
	s_sub_co_i32 s58, s0, s68
	s_mov_b32 s59, 1
.LBB43_14:                              ;   in Loop: Header=BB43_8 Depth=2
	s_mov_b32 s59, 0
	s_and_not1_b32 vcc_lo, exec_lo, s64
	s_wait_alu 0xfffe
	s_cbranch_vccnz .LBB43_7
.LBB43_15:                              ;   in Loop: Header=BB43_8 Depth=2
	s_xor_b32 s2, s2, s11
	s_add_co_i32 s60, s1, 1
	s_cmp_ge_u32 s0, s68
	v_dual_mov_b32 v10, v6 :: v_dual_mov_b32 v9, v5
	s_cselect_b32 s1, s60, s1
	s_cselect_b32 s0, s58, s0
	s_wait_alu 0xfffe
	s_add_co_i32 s58, s1, 1
	s_cmp_ge_u32 s0, s68
	s_cselect_b32 s0, s58, s1
	s_wait_alu 0xfffe
	s_xor_b32 s0, s0, s2
	s_wait_alu 0xfffe
	s_sub_co_i32 s0, s0, s2
	s_wait_alu 0xfffe
	v_mad_co_u64_u32 v[7:8], null, s30, s0, v[3:4]
	s_cmp_lt_i32 s0, s9
	s_cselect_b32 s1, s59, 0
	s_ashr_i32 s2, s0, 31
	s_mul_i32 s0, s31, s0
	s_wait_alu 0xfffe
	s_mul_i32 s2, s30, s2
	s_wait_alu 0xfffe
	v_add3_u32 v8, s2, s0, v8
	s_mov_b32 s2, 0
	s_branch .LBB43_17
.LBB43_16:                              ;   in Loop: Header=BB43_17 Depth=3
	v_add_co_u32 v9, vcc_lo, v9, s46
	s_wait_alu 0xfffd
	v_add_co_ci_u32_e64 v10, null, s47, v10, vcc_lo
	s_add_co_i32 s2, s2, 1
	s_wait_alu 0xfffe
	s_cmp_eq_u32 s2, s18
	s_cbranch_scc1 .LBB43_7
.LBB43_17:                              ;   Parent Loop BB43_3 Depth=1
                                        ;     Parent Loop BB43_8 Depth=2
                                        ; =>    This Loop Header: Depth=3
                                        ;         Child Loop BB43_24 Depth 4
	s_wait_alu 0xfffe
	s_mul_i32 s0, s14, s2
	s_wait_alu 0xfffe
	v_subrev_nc_u32_e32 v12, s0, v20
	s_delay_alu instid0(VALU_DEP_1) | instskip(SKIP_3) | instid1(VALU_DEP_4)
	v_sub_nc_u32_e32 v13, 0, v12
	v_cmp_gt_i32_e64 s0, 0, v12
	v_cmp_lt_i32_e32 vcc_lo, -1, v12
	v_ashrrev_i32_e32 v11, 31, v12
	v_max_i32_e32 v12, v12, v13
	s_and_saveexec_b32 s58, vcc_lo
	s_cbranch_execnz .LBB43_20
; %bb.18:                               ;   in Loop: Header=BB43_17 Depth=3
	s_or_b32 exec_lo, exec_lo, s58
	v_mov_b32_e32 v13, 1
	s_and_saveexec_b32 s58, s0
	s_cbranch_execnz .LBB43_21
.LBB43_19:                              ;   in Loop: Header=BB43_17 Depth=3
	s_or_b32 exec_lo, exec_lo, s58
	s_delay_alu instid0(SALU_CYCLE_1)
	s_and_not1_b32 vcc_lo, exec_lo, s65
	s_wait_alu 0xfffe
	s_cbranch_vccz .LBB43_22
	s_branch .LBB43_16
.LBB43_20:                              ;   in Loop: Header=BB43_17 Depth=3
	s_delay_alu instid0(VALU_DEP_1) | instskip(SKIP_1) | instid1(VALU_DEP_1)
	v_mul_hi_u32 v13, v12, s76
	s_and_not1_b32 s0, s0, exec_lo
	v_mul_lo_u32 v13, v13, s69
	s_delay_alu instid0(VALU_DEP_1) | instskip(NEXT) | instid1(VALU_DEP_1)
	v_sub_nc_u32_e32 v13, v12, v13
	v_subrev_nc_u32_e32 v14, s69, v13
	v_cmp_le_u32_e32 vcc_lo, s69, v13
	s_wait_alu 0xfffd
	s_delay_alu instid0(VALU_DEP_2) | instskip(NEXT) | instid1(VALU_DEP_1)
	v_cndmask_b32_e32 v13, v13, v14, vcc_lo
	v_subrev_nc_u32_e32 v14, s69, v13
	v_cmp_le_u32_e32 vcc_lo, s69, v13
	s_wait_alu 0xfffd
	s_delay_alu instid0(VALU_DEP_2) | instskip(NEXT) | instid1(VALU_DEP_1)
	v_cndmask_b32_e32 v13, v13, v14, vcc_lo
	v_xor_b32_e32 v13, v13, v11
	s_delay_alu instid0(VALU_DEP_1) | instskip(NEXT) | instid1(VALU_DEP_1)
	v_sub_nc_u32_e32 v13, v13, v11
	v_cmp_ne_u32_e32 vcc_lo, 0, v13
	s_and_b32 s59, vcc_lo, exec_lo
	s_wait_alu 0xfffe
	s_or_b32 s0, s0, s59
	s_or_b32 exec_lo, exec_lo, s58
	v_mov_b32_e32 v13, 1
	s_wait_alu 0xfffe
	s_and_saveexec_b32 s58, s0
	s_cbranch_execz .LBB43_19
.LBB43_21:                              ;   in Loop: Header=BB43_17 Depth=3
	v_mov_b32_e32 v13, 0
	s_or_b32 exec_lo, exec_lo, s58
	s_delay_alu instid0(SALU_CYCLE_1)
	s_and_not1_b32 vcc_lo, exec_lo, s65
	s_wait_alu 0xfffe
	s_cbranch_vccnz .LBB43_16
.LBB43_22:                              ;   in Loop: Header=BB43_17 Depth=3
	v_mul_hi_u32 v14, v12, s76
	v_xor_b32_e32 v11, s12, v11
	s_mov_b32 s58, s7
	s_delay_alu instid0(VALU_DEP_2) | instskip(NEXT) | instid1(VALU_DEP_1)
	v_mul_lo_u32 v21, v14, s69
	v_sub_nc_u32_e32 v12, v12, v21
	v_add_nc_u32_e32 v21, 1, v14
	s_delay_alu instid0(VALU_DEP_2) | instskip(SKIP_2) | instid1(VALU_DEP_3)
	v_subrev_nc_u32_e32 v22, s69, v12
	v_cmp_le_u32_e32 vcc_lo, s69, v12
	s_wait_alu 0xfffd
	v_cndmask_b32_e32 v14, v14, v21, vcc_lo
	s_delay_alu instid0(VALU_DEP_3) | instskip(NEXT) | instid1(VALU_DEP_2)
	v_cndmask_b32_e32 v12, v12, v22, vcc_lo
	v_add_nc_u32_e32 v21, 1, v14
	s_delay_alu instid0(VALU_DEP_2) | instskip(SKIP_1) | instid1(VALU_DEP_2)
	v_cmp_le_u32_e32 vcc_lo, s69, v12
	s_wait_alu 0xfffd
	v_cndmask_b32_e32 v12, v14, v21, vcc_lo
	s_delay_alu instid0(VALU_DEP_1) | instskip(NEXT) | instid1(VALU_DEP_1)
	v_xor_b32_e32 v12, v12, v11
	v_sub_nc_u32_e32 v11, v12, v11
	s_delay_alu instid0(VALU_DEP_1)
	v_cmp_gt_i32_e32 vcc_lo, s10, v11
	v_ashrrev_i32_e32 v14, 31, v11
	v_mul_lo_u32 v21, s29, v11
	v_mad_co_u64_u32 v[11:12], null, s28, v11, v[7:8]
	s_wait_alu 0xfffd
	v_cndmask_b32_e32 v13, 0, v13, vcc_lo
	v_mul_lo_u32 v14, s28, v14
	s_delay_alu instid0(VALU_DEP_2) | instskip(NEXT) | instid1(VALU_DEP_2)
	v_and_b32_e32 v13, s1, v13
	v_add3_u32 v12, v21, v12, v14
	s_delay_alu instid0(VALU_DEP_2) | instskip(NEXT) | instid1(VALU_DEP_1)
	v_and_b32_e32 v13, 1, v13
	v_cmp_eq_u32_e32 vcc_lo, 1, v13
	v_dual_mov_b32 v14, v10 :: v_dual_mov_b32 v13, v9
	s_branch .LBB43_24
.LBB43_23:                              ;   in Loop: Header=BB43_24 Depth=4
	s_wait_alu 0xfffe
	s_or_b32 exec_lo, exec_lo, s0
	v_add_co_u32 v13, s0, v13, s48
	s_wait_alu 0xf1ff
	v_add_co_ci_u32_e64 v14, null, s49, v14, s0
	v_add_co_u32 v11, s0, v11, s54
	s_wait_alu 0xf1ff
	v_add_co_ci_u32_e64 v12, null, s55, v12, s0
	s_add_co_i32 s58, s58, -1
	s_delay_alu instid0(SALU_CYCLE_1)
	s_cmp_eq_u32 s58, 0
	s_cbranch_scc1 .LBB43_16
.LBB43_24:                              ;   Parent Loop BB43_3 Depth=1
                                        ;     Parent Loop BB43_8 Depth=2
                                        ;       Parent Loop BB43_17 Depth=3
                                        ; =>      This Inner Loop Header: Depth=4
	s_and_saveexec_b32 s0, vcc_lo
	s_cbranch_execz .LBB43_23
; %bb.25:                               ;   in Loop: Header=BB43_24 Depth=4
	global_load_u16 v21, v[13:14], off
	global_load_u16 v22, v[11:12], off
	s_wait_loadcnt 0x1
	v_lshlrev_b32_e32 v21, 16, v21
	s_wait_loadcnt 0x0
	v_lshlrev_b32_e32 v23, 16, v22
	s_delay_alu instid0(VALU_DEP_2) | instskip(NEXT) | instid1(VALU_DEP_2)
	v_cvt_f64_f32_e32 v[21:22], v21
	v_cvt_f64_f32_e32 v[23:24], v23
	s_delay_alu instid0(VALU_DEP_1)
	v_fma_f64 v[1:2], v[23:24], v[21:22], v[1:2]
	s_branch .LBB43_23
.LBB43_26:                              ;   in Loop: Header=BB43_3 Depth=1
	v_ashrrev_i32_e32 v5, 31, v15
	v_mul_lo_u32 v6, s41, v15
	v_mad_co_u64_u32 v[3:4], null, s40, v15, 0
	s_and_b32 vcc_lo, exec_lo, s73
	v_mul_lo_u32 v5, s40, v5
	s_mov_b32 s0, -1
	s_delay_alu instid0(VALU_DEP_1) | instskip(SKIP_2) | instid1(VALU_DEP_3)
	v_add3_u32 v4, v4, v5, v6
	v_mul_lo_u32 v5, v18, s37
	v_mul_lo_u32 v6, v19, s36
	v_mad_co_u64_u32 v[3:4], null, v18, s36, v[3:4]
	s_delay_alu instid0(VALU_DEP_1) | instskip(SKIP_2) | instid1(VALU_DEP_3)
	v_add3_u32 v4, v6, v4, v5
	v_mul_lo_u32 v5, v16, s39
	v_mul_lo_u32 v6, v17, s38
	v_mad_co_u64_u32 v[3:4], null, v16, s38, v[3:4]
	s_delay_alu instid0(VALU_DEP_1) | instskip(NEXT) | instid1(VALU_DEP_1)
	v_add3_u32 v4, v6, v4, v5
	v_lshlrev_b64_e32 v[3:4], 1, v[3:4]
	s_wait_alu 0xfffe
	s_cbranch_vccz .LBB43_28
; %bb.27:                               ;   in Loop: Header=BB43_3 Depth=1
	s_delay_alu instid0(VALU_DEP_1) | instskip(SKIP_1) | instid1(VALU_DEP_2)
	v_add_co_u32 v5, vcc_lo, s4, v3
	s_wait_alu 0xfffd
	v_add_co_ci_u32_e64 v6, null, s5, v4, vcc_lo
	global_load_u16 v7, v[5:6], off
	s_wait_loadcnt 0x0
	v_lshlrev_b32_e32 v7, 16, v7
	s_delay_alu instid0(VALU_DEP_1) | instskip(NEXT) | instid1(VALU_DEP_1)
	v_cvt_f64_f32_e32 v[7:8], v7
	v_mul_f64_e32 v[7:8], s[26:27], v[7:8]
	s_delay_alu instid0(VALU_DEP_1) | instskip(NEXT) | instid1(VALU_DEP_1)
	v_fma_f64 v[7:8], s[24:25], v[1:2], v[7:8]
	v_cvt_f32_f64_e32 v7, v[7:8]
	s_delay_alu instid0(VALU_DEP_1) | instskip(SKIP_2) | instid1(VALU_DEP_3)
	v_and_b32_e32 v8, 0x7f800000, v7
	v_and_b32_e32 v9, 0xffff, v7
	v_lshrrev_b32_e32 v7, 16, v7
	v_cmp_eq_u32_e32 vcc_lo, 0x7f800000, v8
	s_delay_alu instid0(VALU_DEP_3) | instskip(SKIP_4) | instid1(VALU_DEP_1)
	v_cmp_ne_u32_e64 s0, 0, v9
	s_and_b32 s0, vcc_lo, s0
	s_wait_alu 0xfffe
	v_cndmask_b32_e64 v8, 0, 1, s0
	s_mov_b32 s0, 0
	v_or_b32_e32 v7, v7, v8
	global_store_b16 v[5:6], v7, off
.LBB43_28:                              ;   in Loop: Header=BB43_3 Depth=1
	s_wait_alu 0xfffe
	s_and_not1_b32 vcc_lo, exec_lo, s0
	s_wait_alu 0xfffe
	s_cbranch_vccnz .LBB43_2
; %bb.29:                               ;   in Loop: Header=BB43_3 Depth=1
	v_cvt_f32_f64_e32 v1, v[1:2]
	s_delay_alu instid0(VALU_DEP_1) | instskip(SKIP_2) | instid1(VALU_DEP_3)
	v_and_b32_e32 v2, 0x7f800000, v1
	v_and_b32_e32 v5, 0xffff, v1
	v_lshrrev_b32_e32 v1, 16, v1
	v_cmp_eq_u32_e32 vcc_lo, 0x7f800000, v2
	s_delay_alu instid0(VALU_DEP_3) | instskip(SKIP_3) | instid1(VALU_DEP_1)
	v_cmp_ne_u32_e64 s0, 0, v5
	s_and_b32 s0, vcc_lo, s0
	s_wait_alu 0xfffe
	v_cndmask_b32_e64 v2, 0, 1, s0
	v_or_b32_e32 v5, v1, v2
	v_add_co_u32 v1, vcc_lo, s4, v3
	s_wait_alu 0xfffd
	v_add_co_ci_u32_e64 v2, null, s5, v4, vcc_lo
	global_store_b16 v[1:2], v5, off
	s_branch .LBB43_2
.LBB43_30:
	s_endpgm
	.section	.rodata,"a",@progbits
	.p2align	6, 0x0
	.amdhsa_kernel naive_conv_ab_nonpacked_bwd_nhwc_ushort_double_ushort_0
		.amdhsa_group_segment_fixed_size 0
		.amdhsa_private_segment_fixed_size 0
		.amdhsa_kernarg_size 480
		.amdhsa_user_sgpr_count 2
		.amdhsa_user_sgpr_dispatch_ptr 0
		.amdhsa_user_sgpr_queue_ptr 0
		.amdhsa_user_sgpr_kernarg_segment_ptr 1
		.amdhsa_user_sgpr_dispatch_id 0
		.amdhsa_user_sgpr_private_segment_size 0
		.amdhsa_wavefront_size32 1
		.amdhsa_uses_dynamic_stack 0
		.amdhsa_enable_private_segment 0
		.amdhsa_system_sgpr_workgroup_id_x 1
		.amdhsa_system_sgpr_workgroup_id_y 0
		.amdhsa_system_sgpr_workgroup_id_z 0
		.amdhsa_system_sgpr_workgroup_info 0
		.amdhsa_system_vgpr_workitem_id 0
		.amdhsa_next_free_vgpr 25
		.amdhsa_next_free_sgpr 80
		.amdhsa_reserve_vcc 1
		.amdhsa_float_round_mode_32 0
		.amdhsa_float_round_mode_16_64 0
		.amdhsa_float_denorm_mode_32 3
		.amdhsa_float_denorm_mode_16_64 3
		.amdhsa_fp16_overflow 0
		.amdhsa_workgroup_processor_mode 1
		.amdhsa_memory_ordered 1
		.amdhsa_forward_progress 1
		.amdhsa_inst_pref_size 21
		.amdhsa_round_robin_scheduling 0
		.amdhsa_exception_fp_ieee_invalid_op 0
		.amdhsa_exception_fp_denorm_src 0
		.amdhsa_exception_fp_ieee_div_zero 0
		.amdhsa_exception_fp_ieee_overflow 0
		.amdhsa_exception_fp_ieee_underflow 0
		.amdhsa_exception_fp_ieee_inexact 0
		.amdhsa_exception_int_div_zero 0
	.end_amdhsa_kernel
	.text
.Lfunc_end43:
	.size	naive_conv_ab_nonpacked_bwd_nhwc_ushort_double_ushort_0, .Lfunc_end43-naive_conv_ab_nonpacked_bwd_nhwc_ushort_double_ushort_0
                                        ; -- End function
	.set naive_conv_ab_nonpacked_bwd_nhwc_ushort_double_ushort_0.num_vgpr, 25
	.set naive_conv_ab_nonpacked_bwd_nhwc_ushort_double_ushort_0.num_agpr, 0
	.set naive_conv_ab_nonpacked_bwd_nhwc_ushort_double_ushort_0.numbered_sgpr, 80
	.set naive_conv_ab_nonpacked_bwd_nhwc_ushort_double_ushort_0.num_named_barrier, 0
	.set naive_conv_ab_nonpacked_bwd_nhwc_ushort_double_ushort_0.private_seg_size, 0
	.set naive_conv_ab_nonpacked_bwd_nhwc_ushort_double_ushort_0.uses_vcc, 1
	.set naive_conv_ab_nonpacked_bwd_nhwc_ushort_double_ushort_0.uses_flat_scratch, 0
	.set naive_conv_ab_nonpacked_bwd_nhwc_ushort_double_ushort_0.has_dyn_sized_stack, 0
	.set naive_conv_ab_nonpacked_bwd_nhwc_ushort_double_ushort_0.has_recursion, 0
	.set naive_conv_ab_nonpacked_bwd_nhwc_ushort_double_ushort_0.has_indirect_call, 0
	.section	.AMDGPU.csdata,"",@progbits
; Kernel info:
; codeLenInByte = 2632
; TotalNumSgprs: 82
; NumVgprs: 25
; ScratchSize: 0
; MemoryBound: 0
; FloatMode: 240
; IeeeMode: 1
; LDSByteSize: 0 bytes/workgroup (compile time only)
; SGPRBlocks: 0
; VGPRBlocks: 3
; NumSGPRsForWavesPerEU: 82
; NumVGPRsForWavesPerEU: 25
; Occupancy: 16
; WaveLimiterHint : 0
; COMPUTE_PGM_RSRC2:SCRATCH_EN: 0
; COMPUTE_PGM_RSRC2:USER_SGPR: 2
; COMPUTE_PGM_RSRC2:TRAP_HANDLER: 0
; COMPUTE_PGM_RSRC2:TGID_X_EN: 1
; COMPUTE_PGM_RSRC2:TGID_Y_EN: 0
; COMPUTE_PGM_RSRC2:TGID_Z_EN: 0
; COMPUTE_PGM_RSRC2:TIDIG_COMP_CNT: 0
	.text
	.protected	naive_conv_ab_packed_wrw_nchw_float_double_float_0 ; -- Begin function naive_conv_ab_packed_wrw_nchw_float_double_float_0
	.globl	naive_conv_ab_packed_wrw_nchw_float_double_float_0
	.p2align	8
	.type	naive_conv_ab_packed_wrw_nchw_float_double_float_0,@function
naive_conv_ab_packed_wrw_nchw_float_double_float_0: ; @naive_conv_ab_packed_wrw_nchw_float_double_float_0
; %bb.0:
	s_load_b512 s[4:19], s[0:1], 0xa0
	s_mov_b32 s3, exec_lo
	s_wait_kmcnt 0x0
	s_abs_i32 s29, s7
	s_mul_i32 s38, s18, s17
	s_cvt_f32_u32 s2, s29
	s_mul_i32 s33, s38, s8
	s_delay_alu instid0(SALU_CYCLE_2) | instskip(NEXT) | instid1(TRANS32_DEP_1)
	v_rcp_iflag_f32_e32 v1, s2
	v_readfirstlane_b32 s2, v1
	v_cmpx_gt_i32_e64 s33, v0
	s_cbranch_execz .LBB44_18
; %bb.1:
	s_mul_f32 s2, s2, 0x4f7ffffe
	s_sub_co_i32 s3, 0, s29
	s_ashr_i32 s34, ttmp9, 31
	s_ashr_i32 s37, s7, 31
	s_wait_alu 0xfffe
	s_cvt_u32_f32 s28, s2
	s_abs_i32 s2, ttmp9
	s_xor_b32 s39, s34, s37
	s_mov_b32 s40, s8
	s_mul_i32 s30, s3, s28
	s_mov_b32 s3, 0
	s_mul_hi_u32 s30, s28, s30
	s_wait_alu 0xfffe
	s_mov_b32 s31, s3
	s_add_co_i32 s30, s28, s30
	s_mov_b32 s28, s4
	s_mul_u64 s[30:31], s[2:3], s[30:31]
	s_mov_b32 s30, s5
	s_mul_i32 s35, s31, s29
	s_add_co_i32 s34, s31, 1
	s_sub_co_i32 s2, s2, s35
	s_mov_b32 s36, s7
	s_wait_alu 0xfffe
	s_sub_co_i32 s35, s2, s29
	s_cmp_ge_u32 s2, s29
	s_load_b256 s[20:27], s[0:1], 0x0
	s_cselect_b32 s31, s34, s31
	s_cselect_b32 s2, s35, s2
	s_add_co_i32 s35, s31, 1
	s_wait_alu 0xfffe
	s_cmp_ge_u32 s2, s29
	s_mov_b32 s34, s17
	s_cselect_b32 s2, s35, s31
	s_ashr_i32 s29, s4, 31
	s_wait_alu 0xfffe
	s_xor_b32 s2, s2, s39
	s_ashr_i32 s31, s5, 31
	s_wait_alu 0xfffe
	s_sub_co_i32 s42, s2, s39
	s_ashr_i32 s41, s8, 31
	s_mul_i32 s2, s42, s7
	s_mul_u64 s[4:5], s[30:31], s[28:29]
	s_ashr_i32 s35, s17, 31
	s_ashr_i32 s43, s42, 31
	s_wait_alu 0xfffe
	s_sub_co_i32 s46, ttmp9, s2
	s_mul_u64 s[44:45], s[4:5], s[40:41]
	s_mul_u64 s[36:37], s[42:43], s[36:37]
	;; [unrolled: 1-line block ×3, first 2 shown]
	s_ashr_i32 s5, s18, 31
	s_ashr_i32 s47, s46, 31
	s_mov_b32 s4, s18
	s_add_nc_u64 s[54:55], s[36:37], s[46:47]
	s_mul_u64 s[36:37], s[40:41], s[4:5]
	s_mul_u64 s[40:41], s[44:45], s[42:43]
	;; [unrolled: 1-line block ×3, first 2 shown]
	s_lshl_b64 s[40:41], s[40:41], 2
	s_lshl_b64 s[42:43], s[36:37], 2
	s_ashr_i32 s37, s9, 31
	s_ashr_i32 s57, s10, 31
	s_cmp_lt_i32 s6, 1
	s_mov_b32 s36, s9
	s_cselect_b32 s44, -1, 0
	s_cmp_gt_i32 s9, 0
	s_mul_i32 s50, s19, s8
	s_cselect_b32 s45, -1, 0
	s_cmp_gt_i32 s10, 0
	s_mov_b32 s56, s10
	s_cselect_b32 s46, -1, 0
	s_abs_i32 s47, s18
	s_abs_i32 s48, s17
	s_cvt_f32_u32 s2, s47
	s_wait_kmcnt 0x0
	v_cmp_neq_f64_e64 s17, s[26:27], 0
	s_clause 0x1
	s_load_b64 s[58:59], s[0:1], 0x20
	s_load_b32 s18, s[0:1], 0xec
	s_cvt_f32_u32 s0, s48
	v_rcp_iflag_f32_e32 v1, s2
	v_cmp_neq_f64_e64 s2, s[24:25], 1.0
	s_abs_i32 s49, s38
	v_rcp_iflag_f32_e32 v2, s0
	s_cvt_f32_u32 s0, s49
	s_sub_co_i32 s39, 0, s48
	s_ashr_i32 s53, s38, 31
	s_add_nc_u64 s[20:21], s[20:21], s[40:41]
	s_add_nc_u64 s[22:23], s[22:23], s[42:43]
	s_delay_alu instid0(TRANS32_DEP_2)
	v_readfirstlane_b32 s1, v1
	s_wait_alu 0xfffe
	v_rcp_iflag_f32_e32 v1, s0
	s_mul_i32 s0, s19, s7
	v_readfirstlane_b32 s9, v2
	v_mov_b32_e32 v2, 0
	s_mul_f32 s8, s1, 0x4f7ffffe
	s_wait_alu 0xfffe
	s_ashr_i32 s1, s0, 31
	s_ashr_i32 s7, s50, 31
	s_mul_f32 s9, s9, 0x4f7ffffe
	s_cvt_u32_f32 s8, s8
	s_wait_kmcnt 0x0
	s_and_b32 s51, s18, 0xffff
	v_readfirstlane_b32 s19, v1
	s_sub_co_i32 s18, 0, s47
	s_cvt_u32_f32 s9, s9
	s_mul_i32 s18, s18, s8
	s_mul_f32 s19, s19, 0x4f7ffffe
	s_mul_hi_u32 s18, s8, s18
	s_mul_i32 s39, s39, s9
	s_add_co_i32 s52, s8, s18
	s_mul_hi_u32 s8, s9, s39
	s_cvt_u32_f32 s39, s19
	s_mul_u64 s[18:19], s[56:57], s[36:37]
	s_add_co_i32 s37, s9, s8
	s_sub_co_i32 s8, 0, s49
	s_wait_alu 0xfffe
	s_mul_u64 s[0:1], s[18:19], s[0:1]
	s_mul_i32 s38, s8, s39
	s_mul_u64 s[8:9], s[18:19], s[54:55]
	s_mul_hi_u32 s38, s39, s38
	s_lshl_b64 s[8:9], s[8:9], 2
	s_add_co_i32 s54, s39, s38
	s_add_nc_u64 s[8:9], s[58:59], s[8:9]
	s_or_b32 s55, s2, s17
	s_wait_alu 0xfffe
	s_lshl_b64 s[18:19], s[0:1], 2
	s_lshl_b64 s[38:39], s[56:57], 2
	s_sub_co_i32 s2, 0, s16
	s_branch .LBB44_3
.LBB44_2:                               ;   in Loop: Header=BB44_3 Depth=1
	s_delay_alu instid0(VALU_DEP_1) | instskip(SKIP_1) | instid1(VALU_DEP_1)
	v_cvt_f32_f64_e32 v1, v[5:6]
	v_add_nc_u32_e32 v0, s51, v0
	v_cmp_le_i32_e32 vcc_lo, s33, v0
	s_or_b32 s3, vcc_lo, s3
	global_store_b32 v[3:4], v1, off
	s_wait_alu 0xfffe
	s_and_not1_b32 exec_lo, exec_lo, s3
	s_cbranch_execz .LBB44_18
.LBB44_3:                               ; =>This Loop Header: Depth=1
                                        ;     Child Loop BB44_8 Depth 2
                                        ;       Child Loop BB44_11 Depth 3
                                        ;         Child Loop BB44_14 Depth 4
	v_sub_nc_u32_e32 v1, 0, v0
	s_mov_b32 s1, -1
	s_delay_alu instid0(VALU_DEP_1) | instskip(NEXT) | instid1(VALU_DEP_1)
	v_max_i32_e32 v3, v0, v1
	v_mul_hi_u32 v1, v3, s52
	s_delay_alu instid0(VALU_DEP_1) | instskip(NEXT) | instid1(VALU_DEP_1)
	v_mul_lo_u32 v4, v1, s47
	v_sub_nc_u32_e32 v4, v3, v4
	s_delay_alu instid0(VALU_DEP_1) | instskip(SKIP_2) | instid1(VALU_DEP_2)
	v_subrev_nc_u32_e32 v6, s47, v4
	v_cmp_le_u32_e32 vcc_lo, s47, v4
	s_wait_alu 0xfffd
	v_dual_cndmask_b32 v4, v4, v6 :: v_dual_add_nc_u32 v5, 1, v1
	s_delay_alu instid0(VALU_DEP_1) | instskip(SKIP_1) | instid1(VALU_DEP_3)
	v_cndmask_b32_e32 v1, v1, v5, vcc_lo
	v_ashrrev_i32_e32 v5, 31, v0
	v_cmp_le_u32_e32 vcc_lo, s47, v4
	v_mul_hi_u32 v4, v3, s54
	s_delay_alu instid0(VALU_DEP_3) | instskip(SKIP_1) | instid1(VALU_DEP_3)
	v_xor_b32_e32 v7, s5, v5
	v_xor_b32_e32 v9, s53, v5
	v_add_nc_u32_e32 v8, 1, v4
	v_add_nc_u32_e32 v6, 1, v1
	s_wait_alu 0xfffd
	s_delay_alu instid0(VALU_DEP_1) | instskip(NEXT) | instid1(VALU_DEP_1)
	v_cndmask_b32_e32 v1, v1, v6, vcc_lo
	v_xor_b32_e32 v1, v1, v7
	s_delay_alu instid0(VALU_DEP_1) | instskip(SKIP_1) | instid1(VALU_DEP_2)
	v_sub_nc_u32_e32 v1, v1, v7
	v_mul_lo_u32 v7, v4, s49
	v_sub_nc_u32_e32 v6, 0, v1
	s_delay_alu instid0(VALU_DEP_2) | instskip(NEXT) | instid1(VALU_DEP_2)
	v_sub_nc_u32_e32 v3, v3, v7
	v_max_i32_e32 v6, v1, v6
	s_delay_alu instid0(VALU_DEP_2) | instskip(NEXT) | instid1(VALU_DEP_2)
	v_cmp_le_u32_e32 vcc_lo, s49, v3
	v_mul_hi_u32 v7, v6, s37
	s_wait_alu 0xfffd
	v_cndmask_b32_e32 v4, v4, v8, vcc_lo
	v_subrev_nc_u32_e32 v8, s49, v3
	s_delay_alu instid0(VALU_DEP_3) | instskip(NEXT) | instid1(VALU_DEP_2)
	v_mul_lo_u32 v7, v7, s48
	v_cndmask_b32_e32 v3, v3, v8, vcc_lo
	s_delay_alu instid0(VALU_DEP_4) | instskip(NEXT) | instid1(VALU_DEP_2)
	v_add_nc_u32_e32 v8, 1, v4
	v_cmp_le_u32_e32 vcc_lo, s49, v3
	s_delay_alu instid0(VALU_DEP_4) | instskip(SKIP_1) | instid1(VALU_DEP_3)
	v_sub_nc_u32_e32 v5, v6, v7
	s_wait_alu 0xfffd
	v_cndmask_b32_e32 v3, v4, v8, vcc_lo
	s_delay_alu instid0(VALU_DEP_2) | instskip(SKIP_1) | instid1(VALU_DEP_3)
	v_subrev_nc_u32_e32 v4, s48, v5
	v_cmp_le_u32_e32 vcc_lo, s48, v5
	v_xor_b32_e32 v3, v3, v9
	s_wait_alu 0xfffd
	s_delay_alu instid0(VALU_DEP_3) | instskip(SKIP_1) | instid1(VALU_DEP_2)
	v_cndmask_b32_e32 v5, v5, v4, vcc_lo
	s_and_not1_b32 vcc_lo, exec_lo, s44
	v_sub_nc_u32_e32 v3, v3, v9
	s_delay_alu instid0(VALU_DEP_2) | instskip(NEXT) | instid1(VALU_DEP_2)
	v_cmp_le_u32_e64 s0, s48, v5
	v_ashrrev_i32_e32 v4, 31, v3
	s_wait_alu 0xfffe
	s_cbranch_vccnz .LBB44_5
; %bb.4:                                ;   in Loop: Header=BB44_3 Depth=1
	s_mov_b32 s1, 0
.LBB44_5:                               ;   in Loop: Header=BB44_3 Depth=1
	v_subrev_nc_u32_e32 v6, s48, v5
	v_mul_lo_u32 v7, v1, s4
	v_ashrrev_i32_e32 v1, 31, v1
	s_wait_alu 0xfffe
	s_and_not1_b32 vcc_lo, exec_lo, s1
	v_cndmask_b32_e64 v5, v5, v6, s0
	s_delay_alu instid0(VALU_DEP_3) | instskip(NEXT) | instid1(VALU_DEP_2)
	v_sub_nc_u32_e32 v7, v0, v7
	v_xor_b32_e32 v8, v5, v1
	v_mov_b32_e32 v5, 0
	v_mov_b32_e32 v6, 0
	s_delay_alu instid0(VALU_DEP_3)
	v_sub_nc_u32_e32 v8, v8, v1
	s_wait_alu 0xfffe
	s_cbranch_vccnz .LBB44_16
; %bb.6:                                ;   in Loop: Header=BB44_3 Depth=1
	s_delay_alu instid0(VALU_DEP_1)
	v_mul_lo_u32 v12, v8, s13
	v_mad_co_u64_u32 v[9:10], null, v7, s14, s[2:3]
	v_mov_b32_e32 v5, 0
	v_mov_b32_e32 v6, 0
	s_mov_b32 s56, 0
	s_mov_b64 s[16:17], s[8:9]
	s_branch .LBB44_8
.LBB44_7:                               ;   in Loop: Header=BB44_8 Depth=2
	s_add_co_i32 s56, s56, 1
	s_add_nc_u64 s[16:17], s[16:17], s[18:19]
	s_wait_alu 0xfffe
	s_cmp_eq_u32 s56, s6
	s_cbranch_scc1 .LBB44_16
.LBB44_8:                               ;   Parent Loop BB44_3 Depth=1
                                        ; =>  This Loop Header: Depth=2
                                        ;       Child Loop BB44_11 Depth 3
                                        ;         Child Loop BB44_14 Depth 4
	s_and_not1_b32 vcc_lo, exec_lo, s45
	s_wait_alu 0xfffe
	s_cbranch_vccnz .LBB44_7
; %bb.9:                                ;   in Loop: Header=BB44_8 Depth=2
	v_mad_co_u64_u32 v[10:11], null, s56, s50, v[3:4]
	s_mov_b32 s57, 0
	s_mov_b64 s[40:41], s[16:17]
	v_mov_b32_e32 v1, v11
	s_delay_alu instid0(VALU_DEP_1) | instskip(SKIP_2) | instid1(VALU_DEP_3)
	v_mad_co_u64_u32 v[13:14], null, s56, s7, v[1:2]
	v_mul_lo_u32 v1, v10, s29
	v_mad_co_u64_u32 v[10:11], null, v10, s28, 0
	v_mul_lo_u32 v13, v13, s28
	s_delay_alu instid0(VALU_DEP_1)
	v_add3_u32 v11, v11, v1, v13
	s_branch .LBB44_11
.LBB44_10:                              ;   in Loop: Header=BB44_11 Depth=3
	s_add_co_i32 s57, s57, 1
	s_add_nc_u64 s[40:41], s[40:41], s[38:39]
	s_wait_alu 0xfffe
	s_cmp_eq_u32 s57, s36
	s_cbranch_scc1 .LBB44_7
.LBB44_11:                              ;   Parent Loop BB44_3 Depth=1
                                        ;     Parent Loop BB44_8 Depth=2
                                        ; =>    This Loop Header: Depth=3
                                        ;         Child Loop BB44_14 Depth 4
	s_and_not1_b32 vcc_lo, exec_lo, s46
	s_wait_alu 0xfffe
	s_cbranch_vccnz .LBB44_10
; %bb.12:                               ;   in Loop: Header=BB44_11 Depth=3
	s_mul_i32 s0, s57, s11
	s_mov_b64 s[42:43], s[40:41]
	s_wait_alu 0xfffe
	s_sub_co_i32 s0, s0, s15
	s_mov_b32 s58, s10
	s_wait_alu 0xfffe
	v_add_nc_u32_e32 v1, s0, v12
	s_delay_alu instid0(VALU_DEP_1) | instskip(SKIP_3) | instid1(VALU_DEP_3)
	v_add_co_u32 v13, vcc_lo, v10, v1
	s_wait_alu 0xfffd
	v_add_co_ci_u32_e64 v14, null, 0, v11, vcc_lo
	v_cmp_gt_i32_e32 vcc_lo, 0, v1
	v_mul_lo_u32 v16, v13, s31
	v_cmp_le_i32_e64 s0, s28, v1
	s_delay_alu instid0(VALU_DEP_4) | instskip(SKIP_2) | instid1(VALU_DEP_2)
	v_mul_lo_u32 v15, v14, s30
	v_mad_co_u64_u32 v[13:14], null, v13, s30, 0
	v_mov_b32_e32 v1, v9
	v_add3_u32 v14, v14, v16, v15
	s_delay_alu instid0(VALU_DEP_1) | instskip(NEXT) | instid1(VALU_DEP_1)
	v_lshlrev_b64_e32 v[13:14], 2, v[13:14]
	v_add_co_u32 v13, s1, s20, v13
	s_wait_alu 0xf1ff
	s_delay_alu instid0(VALU_DEP_2)
	v_add_co_ci_u32_e64 v14, null, s21, v14, s1
	s_or_b32 s1, vcc_lo, s0
	s_branch .LBB44_14
.LBB44_13:                              ;   in Loop: Header=BB44_14 Depth=4
	s_wait_alu 0xfffe
	s_or_b32 exec_lo, exec_lo, s0
	v_add_nc_u32_e32 v1, s12, v1
	s_add_co_i32 s58, s58, -1
	s_add_nc_u64 s[42:43], s[42:43], 4
	s_wait_alu 0xfffe
	s_cmp_eq_u32 s58, 0
	s_cbranch_scc1 .LBB44_10
.LBB44_14:                              ;   Parent Loop BB44_3 Depth=1
                                        ;     Parent Loop BB44_8 Depth=2
                                        ;       Parent Loop BB44_11 Depth=3
                                        ; =>      This Inner Loop Header: Depth=4
	v_cmp_gt_i32_e32 vcc_lo, 0, v1
	v_cmp_le_i32_e64 s0, s30, v1
	s_or_b32 s0, vcc_lo, s0
	s_wait_alu 0xfffe
	s_nor_b32 s59, s1, s0
	s_wait_alu 0xfffe
	s_and_saveexec_b32 s0, s59
	s_cbranch_execz .LBB44_13
; %bb.15:                               ;   in Loop: Header=BB44_14 Depth=4
	v_lshlrev_b64_e32 v[15:16], 2, v[1:2]
	s_load_b32 s59, s[42:43], 0x0
	s_delay_alu instid0(VALU_DEP_1) | instskip(SKIP_1) | instid1(VALU_DEP_2)
	v_add_co_u32 v15, vcc_lo, v13, v15
	s_wait_alu 0xfffd
	v_add_co_ci_u32_e64 v16, null, v14, v16, vcc_lo
	global_load_b32 v15, v[15:16], off
	s_wait_kmcnt 0x0
	v_cvt_f64_f32_e32 v[17:18], s59
	s_wait_loadcnt 0x0
	v_cvt_f64_f32_e32 v[15:16], v15
	s_delay_alu instid0(VALU_DEP_1)
	v_fma_f64 v[5:6], v[15:16], v[17:18], v[5:6]
	s_branch .LBB44_13
.LBB44_16:                              ;   in Loop: Header=BB44_3 Depth=1
	s_delay_alu instid0(VALU_DEP_1) | instskip(SKIP_2) | instid1(VALU_DEP_3)
	v_ashrrev_i32_e32 v9, 31, v8
	v_mul_lo_u32 v1, v3, s35
	v_mul_lo_u32 v10, v4, s34
	v_mad_co_u64_u32 v[3:4], null, v3, s34, v[8:9]
	s_delay_alu instid0(VALU_DEP_1) | instskip(NEXT) | instid1(VALU_DEP_2)
	v_add3_u32 v1, v10, v4, v1
	v_mul_lo_u32 v8, v3, s5
	v_mad_co_u64_u32 v[3:4], null, v3, s4, 0
	s_delay_alu instid0(VALU_DEP_3) | instskip(NEXT) | instid1(VALU_DEP_1)
	v_mul_lo_u32 v1, v1, s4
	v_add3_u32 v4, v4, v8, v1
	v_ashrrev_i32_e32 v8, 31, v7
	s_delay_alu instid0(VALU_DEP_2) | instskip(NEXT) | instid1(VALU_DEP_2)
	v_lshlrev_b64_e32 v[3:4], 2, v[3:4]
	v_lshlrev_b64_e32 v[7:8], 2, v[7:8]
	s_delay_alu instid0(VALU_DEP_2) | instskip(SKIP_1) | instid1(VALU_DEP_3)
	v_add_co_u32 v1, vcc_lo, s22, v3
	s_wait_alu 0xfffd
	v_add_co_ci_u32_e64 v4, null, s23, v4, vcc_lo
	s_delay_alu instid0(VALU_DEP_2) | instskip(SKIP_1) | instid1(VALU_DEP_2)
	v_add_co_u32 v3, vcc_lo, v1, v7
	s_wait_alu 0xfffd
	v_add_co_ci_u32_e64 v4, null, v4, v8, vcc_lo
	s_and_not1_b32 vcc_lo, exec_lo, s55
	s_wait_alu 0xfffe
	s_cbranch_vccnz .LBB44_2
; %bb.17:                               ;   in Loop: Header=BB44_3 Depth=1
	global_load_b32 v1, v[3:4], off
	s_wait_loadcnt 0x0
	v_cvt_f64_f32_e32 v[7:8], v1
	s_delay_alu instid0(VALU_DEP_1) | instskip(NEXT) | instid1(VALU_DEP_1)
	v_mul_f64_e32 v[7:8], s[26:27], v[7:8]
	v_fma_f64 v[5:6], s[24:25], v[5:6], v[7:8]
	s_branch .LBB44_2
.LBB44_18:
	s_endpgm
	.section	.rodata,"a",@progbits
	.p2align	6, 0x0
	.amdhsa_kernel naive_conv_ab_packed_wrw_nchw_float_double_float_0
		.amdhsa_group_segment_fixed_size 0
		.amdhsa_private_segment_fixed_size 0
		.amdhsa_kernarg_size 480
		.amdhsa_user_sgpr_count 2
		.amdhsa_user_sgpr_dispatch_ptr 0
		.amdhsa_user_sgpr_queue_ptr 0
		.amdhsa_user_sgpr_kernarg_segment_ptr 1
		.amdhsa_user_sgpr_dispatch_id 0
		.amdhsa_user_sgpr_private_segment_size 0
		.amdhsa_wavefront_size32 1
		.amdhsa_uses_dynamic_stack 0
		.amdhsa_enable_private_segment 0
		.amdhsa_system_sgpr_workgroup_id_x 1
		.amdhsa_system_sgpr_workgroup_id_y 0
		.amdhsa_system_sgpr_workgroup_id_z 0
		.amdhsa_system_sgpr_workgroup_info 0
		.amdhsa_system_vgpr_workitem_id 0
		.amdhsa_next_free_vgpr 19
		.amdhsa_next_free_sgpr 60
		.amdhsa_reserve_vcc 1
		.amdhsa_float_round_mode_32 0
		.amdhsa_float_round_mode_16_64 0
		.amdhsa_float_denorm_mode_32 3
		.amdhsa_float_denorm_mode_16_64 3
		.amdhsa_fp16_overflow 0
		.amdhsa_workgroup_processor_mode 1
		.amdhsa_memory_ordered 1
		.amdhsa_forward_progress 1
		.amdhsa_inst_pref_size 14
		.amdhsa_round_robin_scheduling 0
		.amdhsa_exception_fp_ieee_invalid_op 0
		.amdhsa_exception_fp_denorm_src 0
		.amdhsa_exception_fp_ieee_div_zero 0
		.amdhsa_exception_fp_ieee_overflow 0
		.amdhsa_exception_fp_ieee_underflow 0
		.amdhsa_exception_fp_ieee_inexact 0
		.amdhsa_exception_int_div_zero 0
	.end_amdhsa_kernel
	.text
.Lfunc_end44:
	.size	naive_conv_ab_packed_wrw_nchw_float_double_float_0, .Lfunc_end44-naive_conv_ab_packed_wrw_nchw_float_double_float_0
                                        ; -- End function
	.set naive_conv_ab_packed_wrw_nchw_float_double_float_0.num_vgpr, 19
	.set naive_conv_ab_packed_wrw_nchw_float_double_float_0.num_agpr, 0
	.set naive_conv_ab_packed_wrw_nchw_float_double_float_0.numbered_sgpr, 60
	.set naive_conv_ab_packed_wrw_nchw_float_double_float_0.num_named_barrier, 0
	.set naive_conv_ab_packed_wrw_nchw_float_double_float_0.private_seg_size, 0
	.set naive_conv_ab_packed_wrw_nchw_float_double_float_0.uses_vcc, 1
	.set naive_conv_ab_packed_wrw_nchw_float_double_float_0.uses_flat_scratch, 0
	.set naive_conv_ab_packed_wrw_nchw_float_double_float_0.has_dyn_sized_stack, 0
	.set naive_conv_ab_packed_wrw_nchw_float_double_float_0.has_recursion, 0
	.set naive_conv_ab_packed_wrw_nchw_float_double_float_0.has_indirect_call, 0
	.section	.AMDGPU.csdata,"",@progbits
; Kernel info:
; codeLenInByte = 1684
; TotalNumSgprs: 62
; NumVgprs: 19
; ScratchSize: 0
; MemoryBound: 0
; FloatMode: 240
; IeeeMode: 1
; LDSByteSize: 0 bytes/workgroup (compile time only)
; SGPRBlocks: 0
; VGPRBlocks: 2
; NumSGPRsForWavesPerEU: 62
; NumVGPRsForWavesPerEU: 19
; Occupancy: 16
; WaveLimiterHint : 0
; COMPUTE_PGM_RSRC2:SCRATCH_EN: 0
; COMPUTE_PGM_RSRC2:USER_SGPR: 2
; COMPUTE_PGM_RSRC2:TRAP_HANDLER: 0
; COMPUTE_PGM_RSRC2:TGID_X_EN: 1
; COMPUTE_PGM_RSRC2:TGID_Y_EN: 0
; COMPUTE_PGM_RSRC2:TGID_Z_EN: 0
; COMPUTE_PGM_RSRC2:TIDIG_COMP_CNT: 0
	.text
	.protected	naive_conv_ab_nonpacked_wrw_nchw_float_double_float_0 ; -- Begin function naive_conv_ab_nonpacked_wrw_nchw_float_double_float_0
	.globl	naive_conv_ab_nonpacked_wrw_nchw_float_double_float_0
	.p2align	8
	.type	naive_conv_ab_nonpacked_wrw_nchw_float_double_float_0,@function
naive_conv_ab_nonpacked_wrw_nchw_float_double_float_0: ; @naive_conv_ab_nonpacked_wrw_nchw_float_double_float_0
; %bb.0:
	s_clause 0x1
	s_load_b256 s[20:27], s[0:1], 0xa0
	s_load_b128 s[28:31], s[0:1], 0xd0
	s_mov_b32 s3, exec_lo
	s_wait_kmcnt 0x0
	s_abs_i32 s33, s23
	s_mul_i32 s64, s30, s29
	s_cvt_f32_u32 s2, s33
	s_mul_i32 s31, s64, s24
	s_delay_alu instid0(SALU_CYCLE_2) | instskip(NEXT) | instid1(TRANS32_DEP_1)
	v_rcp_iflag_f32_e32 v1, s2
	v_readfirstlane_b32 s2, v1
	v_cmpx_gt_i32_e64 s31, v0
	s_cbranch_execz .LBB45_18
; %bb.1:
	s_mul_f32 s2, s2, 0x4f7ffffe
	s_sub_co_i32 s3, 0, s33
	s_ashr_i32 s24, ttmp9, 31
	s_clause 0x1
	s_load_b64 s[62:63], s[0:1], 0x20
	s_load_b64 s[66:67], s[0:1], 0x98
	s_cvt_u32_f32 s4, s2
	s_abs_i32 s2, ttmp9
	s_delay_alu instid0(SALU_CYCLE_2)
	s_mul_i32 s5, s3, s4
	s_mov_b32 s3, 0
	s_mul_hi_u32 s6, s4, s5
	s_wait_alu 0xfffe
	s_mov_b32 s5, s3
	s_add_co_i32 s4, s4, s6
	s_delay_alu instid0(SALU_CYCLE_1)
	s_mul_u64 s[34:35], s[2:3], s[4:5]
	s_ashr_i32 s34, s23, 31
	s_mul_i32 s36, s35, s33
	s_clause 0x2
	s_load_b512 s[4:19], s[0:1], 0x28
	s_load_b128 s[52:55], s[0:1], 0x88
	s_load_b256 s[44:51], s[0:1], 0x68
	s_sub_co_i32 s2, s2, s36
	s_xor_b32 s24, s24, s34
	s_add_co_i32 s34, s35, 1
	s_wait_alu 0xfffe
	s_sub_co_i32 s36, s2, s33
	s_cmp_ge_u32 s2, s33
	s_cselect_b32 s34, s34, s35
	s_cselect_b32 s2, s36, s2
	s_add_co_i32 s35, s34, 1
	s_wait_alu 0xfffe
	s_cmp_ge_u32 s2, s33
	s_load_b256 s[36:43], s[0:1], 0x0
	s_cselect_b32 s2, s35, s34
	s_wait_alu 0xfffe
	s_xor_b32 s2, s2, s24
	s_wait_alu 0xfffe
	s_sub_co_i32 s34, s2, s24
	s_delay_alu instid0(SALU_CYCLE_1)
	s_mul_i32 s2, s34, s23
	s_ashr_i32 s35, s34, 31
	s_wait_alu 0xfffe
	s_sub_co_i32 s56, ttmp9, s2
	s_wait_kmcnt 0x0
	s_mul_u64 s[46:47], s[46:47], s[34:35]
	s_ashr_i32 s57, s56, 31
	s_mul_u64 s[10:11], s[10:11], s[34:35]
	s_mul_u64 s[34:35], s[54:55], s[34:35]
	s_lshl_b64 s[54:55], s[46:47], 2
	s_mul_u64 s[44:45], s[44:45], s[56:57]
	s_mul_u64 s[46:47], s[52:53], s[56:57]
	s_lshl_b64 s[10:11], s[10:11], 2
	s_lshl_b64 s[34:35], s[34:35], 2
	;; [unrolled: 1-line block ×4, first 2 shown]
	s_cmp_lt_i32 s22, 1
	v_cmp_neq_f64_e64 s68, s[42:43], 0
	s_cselect_b32 s23, -1, 0
	s_cmp_gt_i32 s25, 0
	s_load_b32 s2, s[0:1], 0xec
	s_cselect_b32 s33, -1, 0
	s_cmp_gt_i32 s26, 0
	s_add_nc_u64 s[10:11], s[36:37], s[10:11]
	s_cselect_b32 s56, -1, 0
	s_abs_i32 s57, s30
	s_abs_i32 s58, s29
	s_cvt_f32_u32 s24, s57
	s_abs_i32 s59, s64
	s_cvt_f32_u32 s29, s58
	s_cvt_f32_u32 s44, s59
	v_rcp_iflag_f32_e32 v1, s24
	v_cmp_neq_f64_e64 s24, s[40:41], 1.0
	v_rcp_iflag_f32_e32 v2, s29
	v_rcp_iflag_f32_e32 v3, s44
	s_load_b128 s[44:47], s[0:1], 0xc0
	s_add_nc_u64 s[0:1], s[38:39], s[54:55]
	s_add_nc_u64 s[36:37], s[62:63], s[34:35]
	;; [unrolled: 1-line block ×4, first 2 shown]
	s_wait_kmcnt 0x0
	s_and_b32 s60, s2, 0xffff
	v_readfirstlane_b32 s0, v1
	s_sub_co_i32 s29, 0, s57
	v_readfirstlane_b32 s1, v2
	v_readfirstlane_b32 s2, v3
	s_sub_co_i32 s38, 0, s58
	s_mul_f32 s0, s0, 0x4f7ffffe
	s_ashr_i32 s61, s30, 31
	s_mul_f32 s1, s1, 0x4f7ffffe
	s_mul_f32 s2, s2, 0x4f7ffffe
	s_cvt_u32_f32 s0, s0
	s_ashr_i32 s64, s64, 31
	s_cvt_u32_f32 s1, s1
	s_wait_alu 0xfffe
	s_cvt_u32_f32 s2, s2
	s_mul_i32 s29, s29, s0
	s_lshl_b64 s[50:51], s[50:51], 2
	s_wait_alu 0xfffe
	s_mul_hi_u32 s29, s0, s29
	s_mul_i32 s38, s38, s1
	s_wait_alu 0xfffe
	s_add_co_i32 s62, s0, s29
	s_sub_co_i32 s0, 0, s59
	s_mul_hi_u32 s29, s1, s38
	s_mul_i32 s0, s0, s2
	s_wait_alu 0xfffe
	s_add_co_i32 s63, s1, s29
	s_mul_hi_u32 s0, s2, s0
	s_lshl_b64 s[38:39], s[66:67], 2
	s_add_co_i32 s65, s2, s0
	s_lshl_b64 s[48:49], s[48:49], 2
	s_mov_b32 s67, 0
	s_or_b32 s66, s24, s68
	s_sub_co_i32 s24, 0, s28
	s_branch .LBB45_3
.LBB45_2:                               ;   in Loop: Header=BB45_3 Depth=1
	s_delay_alu instid0(VALU_DEP_1) | instskip(SKIP_1) | instid1(VALU_DEP_1)
	v_cvt_f32_f64_e32 v1, v[1:2]
	v_add_nc_u32_e32 v0, s60, v0
	v_cmp_le_i32_e32 vcc_lo, s31, v0
	s_or_b32 s67, vcc_lo, s67
	global_store_b32 v[3:4], v1, off
	s_and_not1_b32 exec_lo, exec_lo, s67
	s_cbranch_execz .LBB45_18
.LBB45_3:                               ; =>This Loop Header: Depth=1
                                        ;     Child Loop BB45_8 Depth 2
                                        ;       Child Loop BB45_11 Depth 3
                                        ;         Child Loop BB45_14 Depth 4
	v_sub_nc_u32_e32 v1, 0, v0
	s_mov_b32 s1, -1
	s_delay_alu instid0(VALU_DEP_1) | instskip(NEXT) | instid1(VALU_DEP_1)
	v_max_i32_e32 v2, v0, v1
	v_mul_hi_u32 v1, v2, s62
	s_delay_alu instid0(VALU_DEP_1) | instskip(SKIP_1) | instid1(VALU_DEP_2)
	v_mul_lo_u32 v3, v1, s57
	v_add_nc_u32_e32 v4, 1, v1
	v_sub_nc_u32_e32 v3, v2, v3
	s_delay_alu instid0(VALU_DEP_1) | instskip(SKIP_3) | instid1(VALU_DEP_3)
	v_subrev_nc_u32_e32 v5, s57, v3
	v_cmp_le_u32_e32 vcc_lo, s57, v3
	s_wait_alu 0xfffd
	v_cndmask_b32_e32 v1, v1, v4, vcc_lo
	v_cndmask_b32_e32 v3, v3, v5, vcc_lo
	v_ashrrev_i32_e32 v4, 31, v0
	s_delay_alu instid0(VALU_DEP_3) | instskip(NEXT) | instid1(VALU_DEP_3)
	v_add_nc_u32_e32 v5, 1, v1
	v_cmp_le_u32_e32 vcc_lo, s57, v3
	s_delay_alu instid0(VALU_DEP_3) | instskip(SKIP_4) | instid1(VALU_DEP_3)
	v_xor_b32_e32 v6, s61, v4
	v_mul_hi_u32 v3, v2, s65
	v_xor_b32_e32 v4, s64, v4
	s_wait_alu 0xfffd
	v_cndmask_b32_e32 v1, v1, v5, vcc_lo
	v_add_nc_u32_e32 v7, 1, v3
	s_delay_alu instid0(VALU_DEP_2) | instskip(NEXT) | instid1(VALU_DEP_1)
	v_xor_b32_e32 v1, v1, v6
	v_sub_nc_u32_e32 v1, v1, v6
	v_mul_lo_u32 v6, v3, s59
	s_delay_alu instid0(VALU_DEP_2) | instskip(NEXT) | instid1(VALU_DEP_2)
	v_sub_nc_u32_e32 v5, 0, v1
	v_sub_nc_u32_e32 v2, v2, v6
	s_delay_alu instid0(VALU_DEP_2) | instskip(NEXT) | instid1(VALU_DEP_2)
	v_max_i32_e32 v5, v1, v5
	v_cmp_le_u32_e32 vcc_lo, s59, v2
	s_delay_alu instid0(VALU_DEP_2) | instskip(SKIP_3) | instid1(VALU_DEP_3)
	v_mul_hi_u32 v6, v5, s63
	s_wait_alu 0xfffd
	v_cndmask_b32_e32 v3, v3, v7, vcc_lo
	v_subrev_nc_u32_e32 v7, s59, v2
	v_mul_lo_u32 v6, v6, s58
	s_delay_alu instid0(VALU_DEP_2) | instskip(NEXT) | instid1(VALU_DEP_4)
	v_cndmask_b32_e32 v2, v2, v7, vcc_lo
	v_add_nc_u32_e32 v7, 1, v3
	s_delay_alu instid0(VALU_DEP_2) | instskip(NEXT) | instid1(VALU_DEP_4)
	v_cmp_le_u32_e32 vcc_lo, s59, v2
	v_sub_nc_u32_e32 v5, v5, v6
	s_wait_alu 0xfffd
	s_delay_alu instid0(VALU_DEP_3) | instskip(NEXT) | instid1(VALU_DEP_2)
	v_cndmask_b32_e32 v2, v3, v7, vcc_lo
	v_subrev_nc_u32_e32 v3, s58, v5
	v_cmp_le_u32_e32 vcc_lo, s58, v5
	s_delay_alu instid0(VALU_DEP_3) | instskip(SKIP_1) | instid1(VALU_DEP_3)
	v_xor_b32_e32 v6, v2, v4
	s_wait_alu 0xfffd
	v_cndmask_b32_e32 v2, v5, v3, vcc_lo
	s_and_not1_b32 vcc_lo, exec_lo, s23
	s_delay_alu instid0(VALU_DEP_2) | instskip(NEXT) | instid1(VALU_DEP_2)
	v_sub_nc_u32_e32 v5, v6, v4
	v_cmp_le_u32_e64 s0, s58, v2
	s_delay_alu instid0(VALU_DEP_2)
	v_ashrrev_i32_e32 v6, 31, v5
	s_wait_alu 0xfffe
	s_cbranch_vccnz .LBB45_5
; %bb.4:                                ;   in Loop: Header=BB45_3 Depth=1
	s_mov_b32 s1, 0
.LBB45_5:                               ;   in Loop: Header=BB45_3 Depth=1
	v_subrev_nc_u32_e32 v3, s58, v2
	v_mul_lo_u32 v4, v1, s30
	v_ashrrev_i32_e32 v8, 31, v1
	s_wait_alu 0xfffe
	s_and_not1_b32 vcc_lo, exec_lo, s1
	v_cndmask_b32_e64 v1, v2, v3, s0
	s_delay_alu instid0(VALU_DEP_3) | instskip(NEXT) | instid1(VALU_DEP_2)
	v_sub_nc_u32_e32 v7, v0, v4
	v_xor_b32_e32 v3, v1, v8
	v_mov_b32_e32 v1, 0
	v_mov_b32_e32 v2, 0
	s_delay_alu instid0(VALU_DEP_3)
	v_sub_nc_u32_e32 v8, v3, v8
	s_wait_alu 0xfffe
	s_cbranch_vccnz .LBB45_16
; %bb.6:                                ;   in Loop: Header=BB45_3 Depth=1
	v_mul_lo_u32 v3, s9, v5
	v_mul_lo_u32 v4, s8, v6
	v_mad_co_u64_u32 v[1:2], null, s8, v5, 0
	v_mul_lo_u32 v9, v8, s45
	s_mov_b32 s2, 0
	s_mov_b64 s[28:29], s[36:37]
	s_delay_alu instid0(VALU_DEP_2) | instskip(SKIP_1) | instid1(VALU_DEP_2)
	v_add3_u32 v2, v2, v4, v3
	v_mad_co_u64_u32 v[3:4], null, v7, s46, s[24:25]
	v_lshlrev_b64_e32 v[10:11], 2, v[1:2]
	v_mov_b32_e32 v1, 0
	v_mov_b32_e32 v2, 0
	s_delay_alu instid0(VALU_DEP_3) | instskip(SKIP_1) | instid1(VALU_DEP_4)
	v_add_co_u32 v4, vcc_lo, s10, v10
	s_wait_alu 0xfffd
	v_add_co_ci_u32_e64 v10, null, s11, v11, vcc_lo
	s_branch .LBB45_8
.LBB45_7:                               ;   in Loop: Header=BB45_8 Depth=2
	s_add_co_i32 s2, s2, 1
	s_add_nc_u64 s[28:29], s[28:29], s[38:39]
	s_wait_alu 0xfffe
	s_cmp_eq_u32 s2, s22
	s_cbranch_scc1 .LBB45_16
.LBB45_8:                               ;   Parent Loop BB45_3 Depth=1
                                        ; =>  This Loop Header: Depth=2
                                        ;       Child Loop BB45_11 Depth 3
                                        ;         Child Loop BB45_14 Depth 4
	s_and_not1_b32 vcc_lo, exec_lo, s33
	s_wait_alu 0xfffe
	s_cbranch_vccnz .LBB45_7
; %bb.9:                                ;   in Loop: Header=BB45_8 Depth=2
	s_mul_u64 s[0:1], s[12:13], s[2:3]
	s_mov_b32 s68, 0
	s_wait_alu 0xfffe
	s_lshl_b64 s[0:1], s[0:1], 2
	s_mov_b64 s[52:53], s[28:29]
	s_wait_alu 0xfffe
	v_add_co_u32 v11, vcc_lo, v4, s0
	s_wait_alu 0xfffd
	v_add_co_ci_u32_e64 v12, null, s1, v10, vcc_lo
	s_branch .LBB45_11
.LBB45_10:                              ;   in Loop: Header=BB45_11 Depth=3
	s_add_co_i32 s68, s68, 1
	s_add_nc_u64 s[52:53], s[52:53], s[50:51]
	s_cmp_eq_u32 s68, s25
	s_cbranch_scc1 .LBB45_7
.LBB45_11:                              ;   Parent Loop BB45_3 Depth=1
                                        ;     Parent Loop BB45_8 Depth=2
                                        ; =>    This Loop Header: Depth=3
                                        ;         Child Loop BB45_14 Depth 4
	s_and_not1_b32 vcc_lo, exec_lo, s56
	s_wait_alu 0xfffe
	s_cbranch_vccnz .LBB45_10
; %bb.12:                               ;   in Loop: Header=BB45_11 Depth=3
	s_mul_i32 s0, s68, s27
	s_mov_b64 s[54:55], s[52:53]
	s_wait_alu 0xfffe
	s_sub_co_i32 s0, s0, s47
	s_mov_b32 s69, s26
	s_wait_alu 0xfffe
	v_add_nc_u32_e32 v16, s0, v9
	s_delay_alu instid0(VALU_DEP_1) | instskip(NEXT) | instid1(VALU_DEP_1)
	v_mad_co_u64_u32 v[13:14], null, s6, v16, 0
	v_mad_co_u64_u32 v[14:15], null, s7, v16, v[14:15]
	v_mov_b32_e32 v15, v3
	v_cmp_gt_i32_e32 vcc_lo, 0, v16
	v_cmp_le_i32_e64 s0, s20, v16
	s_delay_alu instid0(VALU_DEP_4) | instskip(NEXT) | instid1(VALU_DEP_1)
	v_lshlrev_b64_e32 v[13:14], 2, v[13:14]
	v_add_co_u32 v13, s1, v11, v13
	s_wait_alu 0xf1ff
	s_delay_alu instid0(VALU_DEP_2)
	v_add_co_ci_u32_e64 v14, null, v12, v14, s1
	s_or_b32 s1, vcc_lo, s0
	s_branch .LBB45_14
.LBB45_13:                              ;   in Loop: Header=BB45_14 Depth=4
	s_wait_alu 0xfffe
	s_or_b32 exec_lo, exec_lo, s0
	v_add_nc_u32_e32 v15, s44, v15
	s_add_co_i32 s69, s69, -1
	s_add_nc_u64 s[54:55], s[54:55], s[48:49]
	s_cmp_eq_u32 s69, 0
	s_cbranch_scc1 .LBB45_10
.LBB45_14:                              ;   Parent Loop BB45_3 Depth=1
                                        ;     Parent Loop BB45_8 Depth=2
                                        ;       Parent Loop BB45_11 Depth=3
                                        ; =>      This Inner Loop Header: Depth=4
	v_cmp_gt_i32_e32 vcc_lo, 0, v15
	v_cmp_le_i32_e64 s0, s21, v15
	s_or_b32 s0, vcc_lo, s0
	s_wait_alu 0xfffe
	s_nor_b32 s70, s1, s0
	s_wait_alu 0xfffe
	s_and_saveexec_b32 s0, s70
	s_cbranch_execz .LBB45_13
; %bb.15:                               ;   in Loop: Header=BB45_14 Depth=4
	v_mad_co_u64_u32 v[16:17], null, s4, v15, 0
	s_load_b32 s70, s[54:55], 0x0
	v_mad_co_u64_u32 v[17:18], null, s5, v15, v[17:18]
	s_delay_alu instid0(VALU_DEP_1) | instskip(SKIP_2) | instid1(VALU_DEP_2)
	v_lshlrev_b64_e32 v[16:17], 2, v[16:17]
	s_wait_kmcnt 0x0
	v_cvt_f64_f32_e32 v[18:19], s70
	v_add_co_u32 v16, vcc_lo, v13, v16
	s_wait_alu 0xfffd
	s_delay_alu instid0(VALU_DEP_3) | instskip(SKIP_3) | instid1(VALU_DEP_1)
	v_add_co_ci_u32_e64 v17, null, v14, v17, vcc_lo
	global_load_b32 v16, v[16:17], off
	s_wait_loadcnt 0x0
	v_cvt_f64_f32_e32 v[16:17], v16
	v_fma_f64 v[1:2], v[16:17], v[18:19], v[1:2]
	s_branch .LBB45_13
.LBB45_16:                              ;   in Loop: Header=BB45_3 Depth=1
	v_mul_lo_u32 v6, v6, s18
	v_mul_lo_u32 v9, v5, s19
	v_mad_co_u64_u32 v[3:4], null, v5, s18, 0
	v_ashrrev_i32_e32 v5, 31, v8
	v_mul_lo_u32 v10, s17, v8
	v_ashrrev_i32_e32 v11, 31, v7
	s_delay_alu instid0(VALU_DEP_3)
	v_mul_lo_u32 v12, s16, v5
	v_add3_u32 v4, v4, v9, v6
	v_mad_co_u64_u32 v[5:6], null, s16, v8, 0
	v_mul_lo_u32 v9, s15, v7
	v_mul_lo_u32 v11, s14, v11
	v_mad_co_u64_u32 v[7:8], null, s14, v7, 0
	v_lshlrev_b64_e32 v[3:4], 2, v[3:4]
	v_add3_u32 v6, v6, v12, v10
	s_delay_alu instid0(VALU_DEP_3) | instskip(NEXT) | instid1(VALU_DEP_2)
	v_add3_u32 v8, v8, v11, v9
	v_lshlrev_b64_e32 v[5:6], 2, v[5:6]
	s_delay_alu instid0(VALU_DEP_4) | instskip(SKIP_3) | instid1(VALU_DEP_3)
	v_add_co_u32 v9, vcc_lo, s34, v3
	s_wait_alu 0xfffd
	v_add_co_ci_u32_e64 v10, null, s35, v4, vcc_lo
	v_lshlrev_b64_e32 v[3:4], 2, v[7:8]
	v_add_co_u32 v5, vcc_lo, v9, v5
	s_wait_alu 0xfffd
	s_delay_alu instid0(VALU_DEP_3) | instskip(NEXT) | instid1(VALU_DEP_2)
	v_add_co_ci_u32_e64 v6, null, v10, v6, vcc_lo
	v_add_co_u32 v3, vcc_lo, v5, v3
	s_wait_alu 0xfffd
	s_delay_alu instid0(VALU_DEP_2)
	v_add_co_ci_u32_e64 v4, null, v6, v4, vcc_lo
	s_and_not1_b32 vcc_lo, exec_lo, s66
	s_wait_alu 0xfffe
	s_cbranch_vccnz .LBB45_2
; %bb.17:                               ;   in Loop: Header=BB45_3 Depth=1
	global_load_b32 v5, v[3:4], off
	s_wait_loadcnt 0x0
	v_cvt_f64_f32_e32 v[5:6], v5
	s_delay_alu instid0(VALU_DEP_1) | instskip(NEXT) | instid1(VALU_DEP_1)
	v_mul_f64_e32 v[5:6], s[42:43], v[5:6]
	v_fma_f64 v[1:2], s[40:41], v[1:2], v[5:6]
	s_branch .LBB45_2
.LBB45_18:
	s_endpgm
	.section	.rodata,"a",@progbits
	.p2align	6, 0x0
	.amdhsa_kernel naive_conv_ab_nonpacked_wrw_nchw_float_double_float_0
		.amdhsa_group_segment_fixed_size 0
		.amdhsa_private_segment_fixed_size 0
		.amdhsa_kernarg_size 480
		.amdhsa_user_sgpr_count 2
		.amdhsa_user_sgpr_dispatch_ptr 0
		.amdhsa_user_sgpr_queue_ptr 0
		.amdhsa_user_sgpr_kernarg_segment_ptr 1
		.amdhsa_user_sgpr_dispatch_id 0
		.amdhsa_user_sgpr_private_segment_size 0
		.amdhsa_wavefront_size32 1
		.amdhsa_uses_dynamic_stack 0
		.amdhsa_enable_private_segment 0
		.amdhsa_system_sgpr_workgroup_id_x 1
		.amdhsa_system_sgpr_workgroup_id_y 0
		.amdhsa_system_sgpr_workgroup_id_z 0
		.amdhsa_system_sgpr_workgroup_info 0
		.amdhsa_system_vgpr_workitem_id 0
		.amdhsa_next_free_vgpr 20
		.amdhsa_next_free_sgpr 71
		.amdhsa_reserve_vcc 1
		.amdhsa_float_round_mode_32 0
		.amdhsa_float_round_mode_16_64 0
		.amdhsa_float_denorm_mode_32 3
		.amdhsa_float_denorm_mode_16_64 3
		.amdhsa_fp16_overflow 0
		.amdhsa_workgroup_processor_mode 1
		.amdhsa_memory_ordered 1
		.amdhsa_forward_progress 1
		.amdhsa_inst_pref_size 14
		.amdhsa_round_robin_scheduling 0
		.amdhsa_exception_fp_ieee_invalid_op 0
		.amdhsa_exception_fp_denorm_src 0
		.amdhsa_exception_fp_ieee_div_zero 0
		.amdhsa_exception_fp_ieee_overflow 0
		.amdhsa_exception_fp_ieee_underflow 0
		.amdhsa_exception_fp_ieee_inexact 0
		.amdhsa_exception_int_div_zero 0
	.end_amdhsa_kernel
	.text
.Lfunc_end45:
	.size	naive_conv_ab_nonpacked_wrw_nchw_float_double_float_0, .Lfunc_end45-naive_conv_ab_nonpacked_wrw_nchw_float_double_float_0
                                        ; -- End function
	.set naive_conv_ab_nonpacked_wrw_nchw_float_double_float_0.num_vgpr, 20
	.set naive_conv_ab_nonpacked_wrw_nchw_float_double_float_0.num_agpr, 0
	.set naive_conv_ab_nonpacked_wrw_nchw_float_double_float_0.numbered_sgpr, 71
	.set naive_conv_ab_nonpacked_wrw_nchw_float_double_float_0.num_named_barrier, 0
	.set naive_conv_ab_nonpacked_wrw_nchw_float_double_float_0.private_seg_size, 0
	.set naive_conv_ab_nonpacked_wrw_nchw_float_double_float_0.uses_vcc, 1
	.set naive_conv_ab_nonpacked_wrw_nchw_float_double_float_0.uses_flat_scratch, 0
	.set naive_conv_ab_nonpacked_wrw_nchw_float_double_float_0.has_dyn_sized_stack, 0
	.set naive_conv_ab_nonpacked_wrw_nchw_float_double_float_0.has_recursion, 0
	.set naive_conv_ab_nonpacked_wrw_nchw_float_double_float_0.has_indirect_call, 0
	.section	.AMDGPU.csdata,"",@progbits
; Kernel info:
; codeLenInByte = 1720
; TotalNumSgprs: 73
; NumVgprs: 20
; ScratchSize: 0
; MemoryBound: 0
; FloatMode: 240
; IeeeMode: 1
; LDSByteSize: 0 bytes/workgroup (compile time only)
; SGPRBlocks: 0
; VGPRBlocks: 2
; NumSGPRsForWavesPerEU: 73
; NumVGPRsForWavesPerEU: 20
; Occupancy: 16
; WaveLimiterHint : 0
; COMPUTE_PGM_RSRC2:SCRATCH_EN: 0
; COMPUTE_PGM_RSRC2:USER_SGPR: 2
; COMPUTE_PGM_RSRC2:TRAP_HANDLER: 0
; COMPUTE_PGM_RSRC2:TGID_X_EN: 1
; COMPUTE_PGM_RSRC2:TGID_Y_EN: 0
; COMPUTE_PGM_RSRC2:TGID_Z_EN: 0
; COMPUTE_PGM_RSRC2:TIDIG_COMP_CNT: 0
	.text
	.protected	naive_conv_ab_packed_wrw_nchw_float_double_float_1 ; -- Begin function naive_conv_ab_packed_wrw_nchw_float_double_float_1
	.globl	naive_conv_ab_packed_wrw_nchw_float_double_float_1
	.p2align	8
	.type	naive_conv_ab_packed_wrw_nchw_float_double_float_1,@function
naive_conv_ab_packed_wrw_nchw_float_double_float_1: ; @naive_conv_ab_packed_wrw_nchw_float_double_float_1
; %bb.0:
	s_load_b512 s[4:19], s[0:1], 0xa0
	s_mov_b32 s3, exec_lo
	s_wait_kmcnt 0x0
	s_abs_i32 s29, s7
	s_mul_i32 s38, s18, s17
	s_cvt_f32_u32 s2, s29
	s_mul_i32 s33, s38, s8
	s_delay_alu instid0(SALU_CYCLE_2) | instskip(NEXT) | instid1(TRANS32_DEP_1)
	v_rcp_iflag_f32_e32 v1, s2
	v_readfirstlane_b32 s2, v1
	v_cmpx_gt_i32_e64 s33, v0
	s_cbranch_execz .LBB46_18
; %bb.1:
	s_mul_f32 s2, s2, 0x4f7ffffe
	s_sub_co_i32 s3, 0, s29
	s_ashr_i32 s34, ttmp9, 31
	s_ashr_i32 s37, s7, 31
	s_wait_alu 0xfffe
	s_cvt_u32_f32 s28, s2
	s_abs_i32 s2, ttmp9
	s_xor_b32 s39, s34, s37
	s_mov_b32 s40, s8
	s_mul_i32 s30, s3, s28
	s_mov_b32 s3, 0
	s_mul_hi_u32 s30, s28, s30
	s_wait_alu 0xfffe
	s_mov_b32 s31, s3
	s_add_co_i32 s30, s28, s30
	s_mov_b32 s28, s4
	s_mul_u64 s[30:31], s[2:3], s[30:31]
	s_mov_b32 s30, s5
	s_mul_i32 s35, s31, s29
	s_add_co_i32 s34, s31, 1
	s_sub_co_i32 s2, s2, s35
	s_mov_b32 s36, s7
	s_wait_alu 0xfffe
	s_sub_co_i32 s35, s2, s29
	s_cmp_ge_u32 s2, s29
	s_load_b256 s[20:27], s[0:1], 0x0
	s_cselect_b32 s31, s34, s31
	s_cselect_b32 s2, s35, s2
	s_add_co_i32 s35, s31, 1
	s_wait_alu 0xfffe
	s_cmp_ge_u32 s2, s29
	s_mov_b32 s34, s17
	s_cselect_b32 s2, s35, s31
	s_ashr_i32 s29, s4, 31
	s_wait_alu 0xfffe
	s_xor_b32 s2, s2, s39
	s_ashr_i32 s31, s5, 31
	s_wait_alu 0xfffe
	s_sub_co_i32 s42, s2, s39
	s_ashr_i32 s41, s8, 31
	s_mul_i32 s2, s42, s7
	s_mul_u64 s[4:5], s[30:31], s[28:29]
	s_ashr_i32 s35, s17, 31
	s_ashr_i32 s43, s42, 31
	s_wait_alu 0xfffe
	s_sub_co_i32 s46, ttmp9, s2
	s_mul_u64 s[44:45], s[4:5], s[40:41]
	s_mul_u64 s[36:37], s[42:43], s[36:37]
	;; [unrolled: 1-line block ×3, first 2 shown]
	s_ashr_i32 s5, s18, 31
	s_ashr_i32 s47, s46, 31
	s_mov_b32 s4, s18
	s_add_nc_u64 s[54:55], s[36:37], s[46:47]
	s_mul_u64 s[36:37], s[40:41], s[4:5]
	s_mul_u64 s[40:41], s[44:45], s[42:43]
	;; [unrolled: 1-line block ×3, first 2 shown]
	s_lshl_b64 s[40:41], s[40:41], 2
	s_lshl_b64 s[42:43], s[36:37], 2
	s_ashr_i32 s37, s9, 31
	s_ashr_i32 s57, s10, 31
	s_cmp_lt_i32 s6, 1
	s_mov_b32 s36, s9
	s_cselect_b32 s44, -1, 0
	s_cmp_gt_i32 s9, 0
	s_mul_i32 s50, s19, s8
	s_cselect_b32 s45, -1, 0
	s_cmp_gt_i32 s10, 0
	s_mov_b32 s56, s10
	s_cselect_b32 s46, -1, 0
	s_abs_i32 s47, s18
	s_abs_i32 s48, s17
	s_cvt_f32_u32 s2, s47
	s_wait_kmcnt 0x0
	v_cmp_neq_f64_e64 s17, s[26:27], 0
	s_clause 0x1
	s_load_b64 s[58:59], s[0:1], 0x20
	s_load_b32 s18, s[0:1], 0xec
	s_cvt_f32_u32 s0, s48
	v_rcp_iflag_f32_e32 v1, s2
	v_cmp_neq_f64_e64 s2, s[24:25], 1.0
	s_abs_i32 s49, s38
	v_rcp_iflag_f32_e32 v2, s0
	s_cvt_f32_u32 s0, s49
	s_sub_co_i32 s39, 0, s48
	s_ashr_i32 s53, s38, 31
	s_add_nc_u64 s[20:21], s[20:21], s[40:41]
	s_add_nc_u64 s[22:23], s[22:23], s[42:43]
	s_delay_alu instid0(TRANS32_DEP_2)
	v_readfirstlane_b32 s1, v1
	s_wait_alu 0xfffe
	v_rcp_iflag_f32_e32 v1, s0
	s_mul_i32 s0, s19, s7
	v_readfirstlane_b32 s9, v2
	v_mov_b32_e32 v2, 0
	s_mul_f32 s8, s1, 0x4f7ffffe
	s_wait_alu 0xfffe
	s_ashr_i32 s1, s0, 31
	s_ashr_i32 s7, s50, 31
	s_mul_f32 s9, s9, 0x4f7ffffe
	s_cvt_u32_f32 s8, s8
	s_wait_kmcnt 0x0
	s_and_b32 s51, s18, 0xffff
	v_readfirstlane_b32 s19, v1
	s_sub_co_i32 s18, 0, s47
	s_cvt_u32_f32 s9, s9
	s_mul_i32 s18, s18, s8
	s_mul_f32 s19, s19, 0x4f7ffffe
	s_mul_hi_u32 s18, s8, s18
	s_mul_i32 s39, s39, s9
	s_add_co_i32 s52, s8, s18
	s_mul_hi_u32 s8, s9, s39
	s_cvt_u32_f32 s39, s19
	s_mul_u64 s[18:19], s[56:57], s[36:37]
	s_add_co_i32 s37, s9, s8
	s_sub_co_i32 s8, 0, s49
	s_wait_alu 0xfffe
	s_mul_u64 s[0:1], s[18:19], s[0:1]
	s_mul_i32 s38, s8, s39
	s_mul_u64 s[8:9], s[18:19], s[54:55]
	s_mul_hi_u32 s38, s39, s38
	s_lshl_b64 s[8:9], s[8:9], 2
	s_add_co_i32 s54, s39, s38
	s_add_nc_u64 s[8:9], s[58:59], s[8:9]
	s_or_b32 s55, s2, s17
	s_wait_alu 0xfffe
	s_lshl_b64 s[18:19], s[0:1], 2
	s_lshl_b64 s[38:39], s[56:57], 2
	s_sub_co_i32 s2, 0, s16
	s_branch .LBB46_3
.LBB46_2:                               ;   in Loop: Header=BB46_3 Depth=1
	s_delay_alu instid0(VALU_DEP_1) | instskip(SKIP_1) | instid1(VALU_DEP_1)
	v_cvt_f32_f64_e32 v1, v[5:6]
	v_add_nc_u32_e32 v0, s51, v0
	v_cmp_le_i32_e32 vcc_lo, s33, v0
	s_or_b32 s3, vcc_lo, s3
	global_store_b32 v[3:4], v1, off
	s_wait_alu 0xfffe
	s_and_not1_b32 exec_lo, exec_lo, s3
	s_cbranch_execz .LBB46_18
.LBB46_3:                               ; =>This Loop Header: Depth=1
                                        ;     Child Loop BB46_8 Depth 2
                                        ;       Child Loop BB46_11 Depth 3
                                        ;         Child Loop BB46_14 Depth 4
	v_sub_nc_u32_e32 v1, 0, v0
	s_mov_b32 s1, -1
	s_delay_alu instid0(VALU_DEP_1) | instskip(NEXT) | instid1(VALU_DEP_1)
	v_max_i32_e32 v3, v0, v1
	v_mul_hi_u32 v1, v3, s52
	s_delay_alu instid0(VALU_DEP_1) | instskip(NEXT) | instid1(VALU_DEP_1)
	v_mul_lo_u32 v4, v1, s47
	v_sub_nc_u32_e32 v4, v3, v4
	s_delay_alu instid0(VALU_DEP_1) | instskip(SKIP_2) | instid1(VALU_DEP_2)
	v_subrev_nc_u32_e32 v6, s47, v4
	v_cmp_le_u32_e32 vcc_lo, s47, v4
	s_wait_alu 0xfffd
	v_dual_cndmask_b32 v4, v4, v6 :: v_dual_add_nc_u32 v5, 1, v1
	s_delay_alu instid0(VALU_DEP_1) | instskip(SKIP_1) | instid1(VALU_DEP_3)
	v_cndmask_b32_e32 v1, v1, v5, vcc_lo
	v_ashrrev_i32_e32 v5, 31, v0
	v_cmp_le_u32_e32 vcc_lo, s47, v4
	v_mul_hi_u32 v4, v3, s54
	s_delay_alu instid0(VALU_DEP_3) | instskip(SKIP_1) | instid1(VALU_DEP_3)
	v_xor_b32_e32 v7, s5, v5
	v_xor_b32_e32 v9, s53, v5
	v_add_nc_u32_e32 v8, 1, v4
	v_add_nc_u32_e32 v6, 1, v1
	s_wait_alu 0xfffd
	s_delay_alu instid0(VALU_DEP_1) | instskip(NEXT) | instid1(VALU_DEP_1)
	v_cndmask_b32_e32 v1, v1, v6, vcc_lo
	v_xor_b32_e32 v1, v1, v7
	s_delay_alu instid0(VALU_DEP_1) | instskip(SKIP_1) | instid1(VALU_DEP_2)
	v_sub_nc_u32_e32 v1, v1, v7
	v_mul_lo_u32 v7, v4, s49
	v_sub_nc_u32_e32 v6, 0, v1
	s_delay_alu instid0(VALU_DEP_2) | instskip(NEXT) | instid1(VALU_DEP_2)
	v_sub_nc_u32_e32 v3, v3, v7
	v_max_i32_e32 v6, v1, v6
	s_delay_alu instid0(VALU_DEP_2) | instskip(NEXT) | instid1(VALU_DEP_2)
	v_cmp_le_u32_e32 vcc_lo, s49, v3
	v_mul_hi_u32 v7, v6, s37
	s_wait_alu 0xfffd
	v_cndmask_b32_e32 v4, v4, v8, vcc_lo
	v_subrev_nc_u32_e32 v8, s49, v3
	s_delay_alu instid0(VALU_DEP_3) | instskip(NEXT) | instid1(VALU_DEP_2)
	v_mul_lo_u32 v7, v7, s48
	v_cndmask_b32_e32 v3, v3, v8, vcc_lo
	s_delay_alu instid0(VALU_DEP_4) | instskip(NEXT) | instid1(VALU_DEP_2)
	v_add_nc_u32_e32 v8, 1, v4
	v_cmp_le_u32_e32 vcc_lo, s49, v3
	s_delay_alu instid0(VALU_DEP_4) | instskip(SKIP_1) | instid1(VALU_DEP_3)
	v_sub_nc_u32_e32 v5, v6, v7
	s_wait_alu 0xfffd
	v_cndmask_b32_e32 v3, v4, v8, vcc_lo
	s_delay_alu instid0(VALU_DEP_2) | instskip(SKIP_1) | instid1(VALU_DEP_3)
	v_subrev_nc_u32_e32 v4, s48, v5
	v_cmp_le_u32_e32 vcc_lo, s48, v5
	v_xor_b32_e32 v3, v3, v9
	s_wait_alu 0xfffd
	s_delay_alu instid0(VALU_DEP_3) | instskip(SKIP_1) | instid1(VALU_DEP_2)
	v_cndmask_b32_e32 v5, v5, v4, vcc_lo
	s_and_not1_b32 vcc_lo, exec_lo, s44
	v_sub_nc_u32_e32 v3, v3, v9
	s_delay_alu instid0(VALU_DEP_2) | instskip(NEXT) | instid1(VALU_DEP_2)
	v_cmp_le_u32_e64 s0, s48, v5
	v_ashrrev_i32_e32 v4, 31, v3
	s_wait_alu 0xfffe
	s_cbranch_vccnz .LBB46_5
; %bb.4:                                ;   in Loop: Header=BB46_3 Depth=1
	s_mov_b32 s1, 0
.LBB46_5:                               ;   in Loop: Header=BB46_3 Depth=1
	v_subrev_nc_u32_e32 v6, s48, v5
	v_mul_lo_u32 v7, v1, s4
	v_ashrrev_i32_e32 v1, 31, v1
	s_wait_alu 0xfffe
	s_and_not1_b32 vcc_lo, exec_lo, s1
	v_cndmask_b32_e64 v5, v5, v6, s0
	s_delay_alu instid0(VALU_DEP_3) | instskip(NEXT) | instid1(VALU_DEP_2)
	v_sub_nc_u32_e32 v7, v0, v7
	v_xor_b32_e32 v8, v5, v1
	v_mov_b32_e32 v5, 0
	v_mov_b32_e32 v6, 0
	s_delay_alu instid0(VALU_DEP_3)
	v_sub_nc_u32_e32 v8, v8, v1
	s_wait_alu 0xfffe
	s_cbranch_vccnz .LBB46_16
; %bb.6:                                ;   in Loop: Header=BB46_3 Depth=1
	s_delay_alu instid0(VALU_DEP_1)
	v_mul_lo_u32 v12, v8, s13
	v_mad_co_u64_u32 v[9:10], null, v7, s14, s[2:3]
	v_mov_b32_e32 v5, 0
	v_mov_b32_e32 v6, 0
	s_mov_b32 s56, 0
	s_mov_b64 s[16:17], s[8:9]
	s_branch .LBB46_8
.LBB46_7:                               ;   in Loop: Header=BB46_8 Depth=2
	s_add_co_i32 s56, s56, 1
	s_add_nc_u64 s[16:17], s[16:17], s[18:19]
	s_wait_alu 0xfffe
	s_cmp_eq_u32 s56, s6
	s_cbranch_scc1 .LBB46_16
.LBB46_8:                               ;   Parent Loop BB46_3 Depth=1
                                        ; =>  This Loop Header: Depth=2
                                        ;       Child Loop BB46_11 Depth 3
                                        ;         Child Loop BB46_14 Depth 4
	s_and_not1_b32 vcc_lo, exec_lo, s45
	s_wait_alu 0xfffe
	s_cbranch_vccnz .LBB46_7
; %bb.9:                                ;   in Loop: Header=BB46_8 Depth=2
	v_mad_co_u64_u32 v[10:11], null, s56, s50, v[3:4]
	s_mov_b32 s57, 0
	s_mov_b64 s[40:41], s[16:17]
	v_mov_b32_e32 v1, v11
	s_delay_alu instid0(VALU_DEP_1) | instskip(SKIP_2) | instid1(VALU_DEP_3)
	v_mad_co_u64_u32 v[13:14], null, s56, s7, v[1:2]
	v_mul_lo_u32 v1, v10, s29
	v_mad_co_u64_u32 v[10:11], null, v10, s28, 0
	v_mul_lo_u32 v13, v13, s28
	s_delay_alu instid0(VALU_DEP_1)
	v_add3_u32 v11, v11, v1, v13
	s_branch .LBB46_11
.LBB46_10:                              ;   in Loop: Header=BB46_11 Depth=3
	s_add_co_i32 s57, s57, 1
	s_add_nc_u64 s[40:41], s[40:41], s[38:39]
	s_wait_alu 0xfffe
	s_cmp_eq_u32 s57, s36
	s_cbranch_scc1 .LBB46_7
.LBB46_11:                              ;   Parent Loop BB46_3 Depth=1
                                        ;     Parent Loop BB46_8 Depth=2
                                        ; =>    This Loop Header: Depth=3
                                        ;         Child Loop BB46_14 Depth 4
	s_and_not1_b32 vcc_lo, exec_lo, s46
	s_wait_alu 0xfffe
	s_cbranch_vccnz .LBB46_10
; %bb.12:                               ;   in Loop: Header=BB46_11 Depth=3
	s_mul_i32 s0, s57, s11
	s_mov_b64 s[42:43], s[40:41]
	s_wait_alu 0xfffe
	s_sub_co_i32 s0, s0, s15
	s_mov_b32 s58, s10
	s_wait_alu 0xfffe
	v_add_nc_u32_e32 v1, s0, v12
	s_delay_alu instid0(VALU_DEP_1) | instskip(SKIP_3) | instid1(VALU_DEP_3)
	v_add_co_u32 v13, vcc_lo, v10, v1
	s_wait_alu 0xfffd
	v_add_co_ci_u32_e64 v14, null, 0, v11, vcc_lo
	v_cmp_gt_i32_e32 vcc_lo, 0, v1
	v_mul_lo_u32 v16, v13, s31
	v_cmp_le_i32_e64 s0, s28, v1
	s_delay_alu instid0(VALU_DEP_4) | instskip(SKIP_2) | instid1(VALU_DEP_2)
	v_mul_lo_u32 v15, v14, s30
	v_mad_co_u64_u32 v[13:14], null, v13, s30, 0
	v_mov_b32_e32 v1, v9
	v_add3_u32 v14, v14, v16, v15
	s_delay_alu instid0(VALU_DEP_1) | instskip(NEXT) | instid1(VALU_DEP_1)
	v_lshlrev_b64_e32 v[13:14], 2, v[13:14]
	v_add_co_u32 v13, s1, s20, v13
	s_wait_alu 0xf1ff
	s_delay_alu instid0(VALU_DEP_2)
	v_add_co_ci_u32_e64 v14, null, s21, v14, s1
	s_or_b32 s1, vcc_lo, s0
	s_branch .LBB46_14
.LBB46_13:                              ;   in Loop: Header=BB46_14 Depth=4
	s_wait_alu 0xfffe
	s_or_b32 exec_lo, exec_lo, s0
	v_add_nc_u32_e32 v1, s12, v1
	s_add_co_i32 s58, s58, -1
	s_add_nc_u64 s[42:43], s[42:43], 4
	s_wait_alu 0xfffe
	s_cmp_eq_u32 s58, 0
	s_cbranch_scc1 .LBB46_10
.LBB46_14:                              ;   Parent Loop BB46_3 Depth=1
                                        ;     Parent Loop BB46_8 Depth=2
                                        ;       Parent Loop BB46_11 Depth=3
                                        ; =>      This Inner Loop Header: Depth=4
	v_cmp_gt_i32_e32 vcc_lo, 0, v1
	v_cmp_le_i32_e64 s0, s30, v1
	s_or_b32 s0, vcc_lo, s0
	s_wait_alu 0xfffe
	s_nor_b32 s59, s1, s0
	s_wait_alu 0xfffe
	s_and_saveexec_b32 s0, s59
	s_cbranch_execz .LBB46_13
; %bb.15:                               ;   in Loop: Header=BB46_14 Depth=4
	v_lshlrev_b64_e32 v[15:16], 2, v[1:2]
	s_load_b32 s59, s[42:43], 0x0
	s_delay_alu instid0(VALU_DEP_1) | instskip(SKIP_1) | instid1(VALU_DEP_2)
	v_add_co_u32 v15, vcc_lo, v13, v15
	s_wait_alu 0xfffd
	v_add_co_ci_u32_e64 v16, null, v14, v16, vcc_lo
	global_load_b32 v15, v[15:16], off
	s_wait_kmcnt 0x0
	s_and_b32 s59, s59, 0xffffe000
	s_wait_alu 0xfffe
	v_cvt_f64_f32_e32 v[17:18], s59
	s_wait_loadcnt 0x0
	v_and_b32_e32 v15, 0xffffe000, v15
	s_delay_alu instid0(VALU_DEP_1) | instskip(NEXT) | instid1(VALU_DEP_1)
	v_cvt_f64_f32_e32 v[15:16], v15
	v_fma_f64 v[5:6], v[15:16], v[17:18], v[5:6]
	s_branch .LBB46_13
.LBB46_16:                              ;   in Loop: Header=BB46_3 Depth=1
	s_delay_alu instid0(VALU_DEP_1) | instskip(SKIP_2) | instid1(VALU_DEP_3)
	v_ashrrev_i32_e32 v9, 31, v8
	v_mul_lo_u32 v1, v3, s35
	v_mul_lo_u32 v10, v4, s34
	v_mad_co_u64_u32 v[3:4], null, v3, s34, v[8:9]
	s_delay_alu instid0(VALU_DEP_1) | instskip(NEXT) | instid1(VALU_DEP_2)
	v_add3_u32 v1, v10, v4, v1
	v_mul_lo_u32 v8, v3, s5
	v_mad_co_u64_u32 v[3:4], null, v3, s4, 0
	s_delay_alu instid0(VALU_DEP_3) | instskip(NEXT) | instid1(VALU_DEP_1)
	v_mul_lo_u32 v1, v1, s4
	v_add3_u32 v4, v4, v8, v1
	v_ashrrev_i32_e32 v8, 31, v7
	s_delay_alu instid0(VALU_DEP_2) | instskip(NEXT) | instid1(VALU_DEP_2)
	v_lshlrev_b64_e32 v[3:4], 2, v[3:4]
	v_lshlrev_b64_e32 v[7:8], 2, v[7:8]
	s_delay_alu instid0(VALU_DEP_2) | instskip(SKIP_1) | instid1(VALU_DEP_3)
	v_add_co_u32 v1, vcc_lo, s22, v3
	s_wait_alu 0xfffd
	v_add_co_ci_u32_e64 v4, null, s23, v4, vcc_lo
	s_delay_alu instid0(VALU_DEP_2) | instskip(SKIP_1) | instid1(VALU_DEP_2)
	v_add_co_u32 v3, vcc_lo, v1, v7
	s_wait_alu 0xfffd
	v_add_co_ci_u32_e64 v4, null, v4, v8, vcc_lo
	s_and_not1_b32 vcc_lo, exec_lo, s55
	s_wait_alu 0xfffe
	s_cbranch_vccnz .LBB46_2
; %bb.17:                               ;   in Loop: Header=BB46_3 Depth=1
	global_load_b32 v1, v[3:4], off
	s_wait_loadcnt 0x0
	v_cvt_f64_f32_e32 v[7:8], v1
	s_delay_alu instid0(VALU_DEP_1) | instskip(NEXT) | instid1(VALU_DEP_1)
	v_mul_f64_e32 v[7:8], s[26:27], v[7:8]
	v_fma_f64 v[5:6], s[24:25], v[5:6], v[7:8]
	s_branch .LBB46_2
.LBB46_18:
	s_endpgm
	.section	.rodata,"a",@progbits
	.p2align	6, 0x0
	.amdhsa_kernel naive_conv_ab_packed_wrw_nchw_float_double_float_1
		.amdhsa_group_segment_fixed_size 0
		.amdhsa_private_segment_fixed_size 0
		.amdhsa_kernarg_size 480
		.amdhsa_user_sgpr_count 2
		.amdhsa_user_sgpr_dispatch_ptr 0
		.amdhsa_user_sgpr_queue_ptr 0
		.amdhsa_user_sgpr_kernarg_segment_ptr 1
		.amdhsa_user_sgpr_dispatch_id 0
		.amdhsa_user_sgpr_private_segment_size 0
		.amdhsa_wavefront_size32 1
		.amdhsa_uses_dynamic_stack 0
		.amdhsa_enable_private_segment 0
		.amdhsa_system_sgpr_workgroup_id_x 1
		.amdhsa_system_sgpr_workgroup_id_y 0
		.amdhsa_system_sgpr_workgroup_id_z 0
		.amdhsa_system_sgpr_workgroup_info 0
		.amdhsa_system_vgpr_workitem_id 0
		.amdhsa_next_free_vgpr 19
		.amdhsa_next_free_sgpr 60
		.amdhsa_reserve_vcc 1
		.amdhsa_float_round_mode_32 0
		.amdhsa_float_round_mode_16_64 0
		.amdhsa_float_denorm_mode_32 3
		.amdhsa_float_denorm_mode_16_64 3
		.amdhsa_fp16_overflow 0
		.amdhsa_workgroup_processor_mode 1
		.amdhsa_memory_ordered 1
		.amdhsa_forward_progress 1
		.amdhsa_inst_pref_size 14
		.amdhsa_round_robin_scheduling 0
		.amdhsa_exception_fp_ieee_invalid_op 0
		.amdhsa_exception_fp_denorm_src 0
		.amdhsa_exception_fp_ieee_div_zero 0
		.amdhsa_exception_fp_ieee_overflow 0
		.amdhsa_exception_fp_ieee_underflow 0
		.amdhsa_exception_fp_ieee_inexact 0
		.amdhsa_exception_int_div_zero 0
	.end_amdhsa_kernel
	.text
.Lfunc_end46:
	.size	naive_conv_ab_packed_wrw_nchw_float_double_float_1, .Lfunc_end46-naive_conv_ab_packed_wrw_nchw_float_double_float_1
                                        ; -- End function
	.set naive_conv_ab_packed_wrw_nchw_float_double_float_1.num_vgpr, 19
	.set naive_conv_ab_packed_wrw_nchw_float_double_float_1.num_agpr, 0
	.set naive_conv_ab_packed_wrw_nchw_float_double_float_1.numbered_sgpr, 60
	.set naive_conv_ab_packed_wrw_nchw_float_double_float_1.num_named_barrier, 0
	.set naive_conv_ab_packed_wrw_nchw_float_double_float_1.private_seg_size, 0
	.set naive_conv_ab_packed_wrw_nchw_float_double_float_1.uses_vcc, 1
	.set naive_conv_ab_packed_wrw_nchw_float_double_float_1.uses_flat_scratch, 0
	.set naive_conv_ab_packed_wrw_nchw_float_double_float_1.has_dyn_sized_stack, 0
	.set naive_conv_ab_packed_wrw_nchw_float_double_float_1.has_recursion, 0
	.set naive_conv_ab_packed_wrw_nchw_float_double_float_1.has_indirect_call, 0
	.section	.AMDGPU.csdata,"",@progbits
; Kernel info:
; codeLenInByte = 1704
; TotalNumSgprs: 62
; NumVgprs: 19
; ScratchSize: 0
; MemoryBound: 0
; FloatMode: 240
; IeeeMode: 1
; LDSByteSize: 0 bytes/workgroup (compile time only)
; SGPRBlocks: 0
; VGPRBlocks: 2
; NumSGPRsForWavesPerEU: 62
; NumVGPRsForWavesPerEU: 19
; Occupancy: 16
; WaveLimiterHint : 0
; COMPUTE_PGM_RSRC2:SCRATCH_EN: 0
; COMPUTE_PGM_RSRC2:USER_SGPR: 2
; COMPUTE_PGM_RSRC2:TRAP_HANDLER: 0
; COMPUTE_PGM_RSRC2:TGID_X_EN: 1
; COMPUTE_PGM_RSRC2:TGID_Y_EN: 0
; COMPUTE_PGM_RSRC2:TGID_Z_EN: 0
; COMPUTE_PGM_RSRC2:TIDIG_COMP_CNT: 0
	.text
	.protected	naive_conv_ab_nonpacked_wrw_nchw_float_double_float_1 ; -- Begin function naive_conv_ab_nonpacked_wrw_nchw_float_double_float_1
	.globl	naive_conv_ab_nonpacked_wrw_nchw_float_double_float_1
	.p2align	8
	.type	naive_conv_ab_nonpacked_wrw_nchw_float_double_float_1,@function
naive_conv_ab_nonpacked_wrw_nchw_float_double_float_1: ; @naive_conv_ab_nonpacked_wrw_nchw_float_double_float_1
; %bb.0:
	s_clause 0x1
	s_load_b256 s[20:27], s[0:1], 0xa0
	s_load_b128 s[28:31], s[0:1], 0xd0
	s_mov_b32 s3, exec_lo
	s_wait_kmcnt 0x0
	s_abs_i32 s33, s23
	s_mul_i32 s64, s30, s29
	s_cvt_f32_u32 s2, s33
	s_mul_i32 s31, s64, s24
	s_delay_alu instid0(SALU_CYCLE_2) | instskip(NEXT) | instid1(TRANS32_DEP_1)
	v_rcp_iflag_f32_e32 v1, s2
	v_readfirstlane_b32 s2, v1
	v_cmpx_gt_i32_e64 s31, v0
	s_cbranch_execz .LBB47_18
; %bb.1:
	s_mul_f32 s2, s2, 0x4f7ffffe
	s_sub_co_i32 s3, 0, s33
	s_ashr_i32 s24, ttmp9, 31
	s_clause 0x1
	s_load_b64 s[62:63], s[0:1], 0x20
	s_load_b64 s[66:67], s[0:1], 0x98
	s_cvt_u32_f32 s4, s2
	s_abs_i32 s2, ttmp9
	s_delay_alu instid0(SALU_CYCLE_2)
	s_mul_i32 s5, s3, s4
	s_mov_b32 s3, 0
	s_mul_hi_u32 s6, s4, s5
	s_wait_alu 0xfffe
	s_mov_b32 s5, s3
	s_add_co_i32 s4, s4, s6
	s_delay_alu instid0(SALU_CYCLE_1)
	s_mul_u64 s[34:35], s[2:3], s[4:5]
	s_ashr_i32 s34, s23, 31
	s_mul_i32 s36, s35, s33
	s_clause 0x2
	s_load_b512 s[4:19], s[0:1], 0x28
	s_load_b128 s[52:55], s[0:1], 0x88
	s_load_b256 s[44:51], s[0:1], 0x68
	s_sub_co_i32 s2, s2, s36
	s_xor_b32 s24, s24, s34
	s_add_co_i32 s34, s35, 1
	s_wait_alu 0xfffe
	s_sub_co_i32 s36, s2, s33
	s_cmp_ge_u32 s2, s33
	s_cselect_b32 s34, s34, s35
	s_cselect_b32 s2, s36, s2
	s_add_co_i32 s35, s34, 1
	s_wait_alu 0xfffe
	s_cmp_ge_u32 s2, s33
	s_load_b256 s[36:43], s[0:1], 0x0
	s_cselect_b32 s2, s35, s34
	s_wait_alu 0xfffe
	s_xor_b32 s2, s2, s24
	s_wait_alu 0xfffe
	s_sub_co_i32 s34, s2, s24
	s_delay_alu instid0(SALU_CYCLE_1)
	s_mul_i32 s2, s34, s23
	s_ashr_i32 s35, s34, 31
	s_wait_alu 0xfffe
	s_sub_co_i32 s56, ttmp9, s2
	s_wait_kmcnt 0x0
	s_mul_u64 s[46:47], s[46:47], s[34:35]
	s_ashr_i32 s57, s56, 31
	s_mul_u64 s[10:11], s[10:11], s[34:35]
	s_mul_u64 s[34:35], s[54:55], s[34:35]
	s_lshl_b64 s[54:55], s[46:47], 2
	s_mul_u64 s[44:45], s[44:45], s[56:57]
	s_mul_u64 s[46:47], s[52:53], s[56:57]
	s_lshl_b64 s[10:11], s[10:11], 2
	s_lshl_b64 s[34:35], s[34:35], 2
	;; [unrolled: 1-line block ×4, first 2 shown]
	s_cmp_lt_i32 s22, 1
	v_cmp_neq_f64_e64 s68, s[42:43], 0
	s_cselect_b32 s23, -1, 0
	s_cmp_gt_i32 s25, 0
	s_load_b32 s2, s[0:1], 0xec
	s_cselect_b32 s33, -1, 0
	s_cmp_gt_i32 s26, 0
	s_add_nc_u64 s[10:11], s[36:37], s[10:11]
	s_cselect_b32 s56, -1, 0
	s_abs_i32 s57, s30
	s_abs_i32 s58, s29
	s_cvt_f32_u32 s24, s57
	s_abs_i32 s59, s64
	s_cvt_f32_u32 s29, s58
	s_cvt_f32_u32 s44, s59
	v_rcp_iflag_f32_e32 v1, s24
	v_cmp_neq_f64_e64 s24, s[40:41], 1.0
	v_rcp_iflag_f32_e32 v2, s29
	v_rcp_iflag_f32_e32 v3, s44
	s_load_b128 s[44:47], s[0:1], 0xc0
	s_add_nc_u64 s[0:1], s[38:39], s[54:55]
	s_add_nc_u64 s[36:37], s[62:63], s[34:35]
	;; [unrolled: 1-line block ×4, first 2 shown]
	s_wait_kmcnt 0x0
	s_and_b32 s60, s2, 0xffff
	v_readfirstlane_b32 s0, v1
	s_sub_co_i32 s29, 0, s57
	v_readfirstlane_b32 s1, v2
	v_readfirstlane_b32 s2, v3
	s_sub_co_i32 s38, 0, s58
	s_mul_f32 s0, s0, 0x4f7ffffe
	s_ashr_i32 s61, s30, 31
	s_mul_f32 s1, s1, 0x4f7ffffe
	s_mul_f32 s2, s2, 0x4f7ffffe
	s_cvt_u32_f32 s0, s0
	s_ashr_i32 s64, s64, 31
	s_cvt_u32_f32 s1, s1
	s_wait_alu 0xfffe
	s_cvt_u32_f32 s2, s2
	s_mul_i32 s29, s29, s0
	s_lshl_b64 s[50:51], s[50:51], 2
	s_wait_alu 0xfffe
	s_mul_hi_u32 s29, s0, s29
	s_mul_i32 s38, s38, s1
	s_wait_alu 0xfffe
	s_add_co_i32 s62, s0, s29
	s_sub_co_i32 s0, 0, s59
	s_mul_hi_u32 s29, s1, s38
	s_mul_i32 s0, s0, s2
	s_wait_alu 0xfffe
	s_add_co_i32 s63, s1, s29
	s_mul_hi_u32 s0, s2, s0
	s_lshl_b64 s[38:39], s[66:67], 2
	s_add_co_i32 s65, s2, s0
	s_lshl_b64 s[48:49], s[48:49], 2
	s_mov_b32 s67, 0
	s_or_b32 s66, s24, s68
	s_sub_co_i32 s24, 0, s28
	s_branch .LBB47_3
.LBB47_2:                               ;   in Loop: Header=BB47_3 Depth=1
	s_delay_alu instid0(VALU_DEP_1) | instskip(SKIP_1) | instid1(VALU_DEP_1)
	v_cvt_f32_f64_e32 v1, v[1:2]
	v_add_nc_u32_e32 v0, s60, v0
	v_cmp_le_i32_e32 vcc_lo, s31, v0
	s_or_b32 s67, vcc_lo, s67
	global_store_b32 v[3:4], v1, off
	s_and_not1_b32 exec_lo, exec_lo, s67
	s_cbranch_execz .LBB47_18
.LBB47_3:                               ; =>This Loop Header: Depth=1
                                        ;     Child Loop BB47_8 Depth 2
                                        ;       Child Loop BB47_11 Depth 3
                                        ;         Child Loop BB47_14 Depth 4
	v_sub_nc_u32_e32 v1, 0, v0
	s_mov_b32 s1, -1
	s_delay_alu instid0(VALU_DEP_1) | instskip(NEXT) | instid1(VALU_DEP_1)
	v_max_i32_e32 v2, v0, v1
	v_mul_hi_u32 v1, v2, s62
	s_delay_alu instid0(VALU_DEP_1) | instskip(SKIP_1) | instid1(VALU_DEP_2)
	v_mul_lo_u32 v3, v1, s57
	v_add_nc_u32_e32 v4, 1, v1
	v_sub_nc_u32_e32 v3, v2, v3
	s_delay_alu instid0(VALU_DEP_1) | instskip(SKIP_3) | instid1(VALU_DEP_3)
	v_subrev_nc_u32_e32 v5, s57, v3
	v_cmp_le_u32_e32 vcc_lo, s57, v3
	s_wait_alu 0xfffd
	v_cndmask_b32_e32 v1, v1, v4, vcc_lo
	v_cndmask_b32_e32 v3, v3, v5, vcc_lo
	v_ashrrev_i32_e32 v4, 31, v0
	s_delay_alu instid0(VALU_DEP_3) | instskip(NEXT) | instid1(VALU_DEP_3)
	v_add_nc_u32_e32 v5, 1, v1
	v_cmp_le_u32_e32 vcc_lo, s57, v3
	s_delay_alu instid0(VALU_DEP_3) | instskip(SKIP_4) | instid1(VALU_DEP_3)
	v_xor_b32_e32 v6, s61, v4
	v_mul_hi_u32 v3, v2, s65
	v_xor_b32_e32 v4, s64, v4
	s_wait_alu 0xfffd
	v_cndmask_b32_e32 v1, v1, v5, vcc_lo
	v_add_nc_u32_e32 v7, 1, v3
	s_delay_alu instid0(VALU_DEP_2) | instskip(NEXT) | instid1(VALU_DEP_1)
	v_xor_b32_e32 v1, v1, v6
	v_sub_nc_u32_e32 v1, v1, v6
	v_mul_lo_u32 v6, v3, s59
	s_delay_alu instid0(VALU_DEP_2) | instskip(NEXT) | instid1(VALU_DEP_2)
	v_sub_nc_u32_e32 v5, 0, v1
	v_sub_nc_u32_e32 v2, v2, v6
	s_delay_alu instid0(VALU_DEP_2) | instskip(NEXT) | instid1(VALU_DEP_2)
	v_max_i32_e32 v5, v1, v5
	v_cmp_le_u32_e32 vcc_lo, s59, v2
	s_delay_alu instid0(VALU_DEP_2) | instskip(SKIP_3) | instid1(VALU_DEP_3)
	v_mul_hi_u32 v6, v5, s63
	s_wait_alu 0xfffd
	v_cndmask_b32_e32 v3, v3, v7, vcc_lo
	v_subrev_nc_u32_e32 v7, s59, v2
	v_mul_lo_u32 v6, v6, s58
	s_delay_alu instid0(VALU_DEP_2) | instskip(NEXT) | instid1(VALU_DEP_4)
	v_cndmask_b32_e32 v2, v2, v7, vcc_lo
	v_add_nc_u32_e32 v7, 1, v3
	s_delay_alu instid0(VALU_DEP_2) | instskip(NEXT) | instid1(VALU_DEP_4)
	v_cmp_le_u32_e32 vcc_lo, s59, v2
	v_sub_nc_u32_e32 v5, v5, v6
	s_wait_alu 0xfffd
	s_delay_alu instid0(VALU_DEP_3) | instskip(NEXT) | instid1(VALU_DEP_2)
	v_cndmask_b32_e32 v2, v3, v7, vcc_lo
	v_subrev_nc_u32_e32 v3, s58, v5
	v_cmp_le_u32_e32 vcc_lo, s58, v5
	s_delay_alu instid0(VALU_DEP_3) | instskip(SKIP_1) | instid1(VALU_DEP_3)
	v_xor_b32_e32 v6, v2, v4
	s_wait_alu 0xfffd
	v_cndmask_b32_e32 v2, v5, v3, vcc_lo
	s_and_not1_b32 vcc_lo, exec_lo, s23
	s_delay_alu instid0(VALU_DEP_2) | instskip(NEXT) | instid1(VALU_DEP_2)
	v_sub_nc_u32_e32 v5, v6, v4
	v_cmp_le_u32_e64 s0, s58, v2
	s_delay_alu instid0(VALU_DEP_2)
	v_ashrrev_i32_e32 v6, 31, v5
	s_wait_alu 0xfffe
	s_cbranch_vccnz .LBB47_5
; %bb.4:                                ;   in Loop: Header=BB47_3 Depth=1
	s_mov_b32 s1, 0
.LBB47_5:                               ;   in Loop: Header=BB47_3 Depth=1
	v_subrev_nc_u32_e32 v3, s58, v2
	v_mul_lo_u32 v4, v1, s30
	v_ashrrev_i32_e32 v8, 31, v1
	s_wait_alu 0xfffe
	s_and_not1_b32 vcc_lo, exec_lo, s1
	v_cndmask_b32_e64 v1, v2, v3, s0
	s_delay_alu instid0(VALU_DEP_3) | instskip(NEXT) | instid1(VALU_DEP_2)
	v_sub_nc_u32_e32 v7, v0, v4
	v_xor_b32_e32 v3, v1, v8
	v_mov_b32_e32 v1, 0
	v_mov_b32_e32 v2, 0
	s_delay_alu instid0(VALU_DEP_3)
	v_sub_nc_u32_e32 v8, v3, v8
	s_wait_alu 0xfffe
	s_cbranch_vccnz .LBB47_16
; %bb.6:                                ;   in Loop: Header=BB47_3 Depth=1
	v_mul_lo_u32 v3, s9, v5
	v_mul_lo_u32 v4, s8, v6
	v_mad_co_u64_u32 v[1:2], null, s8, v5, 0
	v_mul_lo_u32 v9, v8, s45
	s_mov_b32 s2, 0
	s_mov_b64 s[28:29], s[36:37]
	s_delay_alu instid0(VALU_DEP_2) | instskip(SKIP_1) | instid1(VALU_DEP_2)
	v_add3_u32 v2, v2, v4, v3
	v_mad_co_u64_u32 v[3:4], null, v7, s46, s[24:25]
	v_lshlrev_b64_e32 v[10:11], 2, v[1:2]
	v_mov_b32_e32 v1, 0
	v_mov_b32_e32 v2, 0
	s_delay_alu instid0(VALU_DEP_3) | instskip(SKIP_1) | instid1(VALU_DEP_4)
	v_add_co_u32 v4, vcc_lo, s10, v10
	s_wait_alu 0xfffd
	v_add_co_ci_u32_e64 v10, null, s11, v11, vcc_lo
	s_branch .LBB47_8
.LBB47_7:                               ;   in Loop: Header=BB47_8 Depth=2
	s_add_co_i32 s2, s2, 1
	s_add_nc_u64 s[28:29], s[28:29], s[38:39]
	s_wait_alu 0xfffe
	s_cmp_eq_u32 s2, s22
	s_cbranch_scc1 .LBB47_16
.LBB47_8:                               ;   Parent Loop BB47_3 Depth=1
                                        ; =>  This Loop Header: Depth=2
                                        ;       Child Loop BB47_11 Depth 3
                                        ;         Child Loop BB47_14 Depth 4
	s_and_not1_b32 vcc_lo, exec_lo, s33
	s_wait_alu 0xfffe
	s_cbranch_vccnz .LBB47_7
; %bb.9:                                ;   in Loop: Header=BB47_8 Depth=2
	s_mul_u64 s[0:1], s[12:13], s[2:3]
	s_mov_b32 s68, 0
	s_wait_alu 0xfffe
	s_lshl_b64 s[0:1], s[0:1], 2
	s_mov_b64 s[52:53], s[28:29]
	s_wait_alu 0xfffe
	v_add_co_u32 v11, vcc_lo, v4, s0
	s_wait_alu 0xfffd
	v_add_co_ci_u32_e64 v12, null, s1, v10, vcc_lo
	s_branch .LBB47_11
.LBB47_10:                              ;   in Loop: Header=BB47_11 Depth=3
	s_add_co_i32 s68, s68, 1
	s_add_nc_u64 s[52:53], s[52:53], s[50:51]
	s_cmp_eq_u32 s68, s25
	s_cbranch_scc1 .LBB47_7
.LBB47_11:                              ;   Parent Loop BB47_3 Depth=1
                                        ;     Parent Loop BB47_8 Depth=2
                                        ; =>    This Loop Header: Depth=3
                                        ;         Child Loop BB47_14 Depth 4
	s_and_not1_b32 vcc_lo, exec_lo, s56
	s_wait_alu 0xfffe
	s_cbranch_vccnz .LBB47_10
; %bb.12:                               ;   in Loop: Header=BB47_11 Depth=3
	s_mul_i32 s0, s68, s27
	s_mov_b64 s[54:55], s[52:53]
	s_wait_alu 0xfffe
	s_sub_co_i32 s0, s0, s47
	s_mov_b32 s69, s26
	s_wait_alu 0xfffe
	v_add_nc_u32_e32 v16, s0, v9
	s_delay_alu instid0(VALU_DEP_1) | instskip(NEXT) | instid1(VALU_DEP_1)
	v_mad_co_u64_u32 v[13:14], null, s6, v16, 0
	v_mad_co_u64_u32 v[14:15], null, s7, v16, v[14:15]
	v_mov_b32_e32 v15, v3
	v_cmp_gt_i32_e32 vcc_lo, 0, v16
	v_cmp_le_i32_e64 s0, s20, v16
	s_delay_alu instid0(VALU_DEP_4) | instskip(NEXT) | instid1(VALU_DEP_1)
	v_lshlrev_b64_e32 v[13:14], 2, v[13:14]
	v_add_co_u32 v13, s1, v11, v13
	s_wait_alu 0xf1ff
	s_delay_alu instid0(VALU_DEP_2)
	v_add_co_ci_u32_e64 v14, null, v12, v14, s1
	s_or_b32 s1, vcc_lo, s0
	s_branch .LBB47_14
.LBB47_13:                              ;   in Loop: Header=BB47_14 Depth=4
	s_wait_alu 0xfffe
	s_or_b32 exec_lo, exec_lo, s0
	v_add_nc_u32_e32 v15, s44, v15
	s_add_co_i32 s69, s69, -1
	s_add_nc_u64 s[54:55], s[54:55], s[48:49]
	s_cmp_eq_u32 s69, 0
	s_cbranch_scc1 .LBB47_10
.LBB47_14:                              ;   Parent Loop BB47_3 Depth=1
                                        ;     Parent Loop BB47_8 Depth=2
                                        ;       Parent Loop BB47_11 Depth=3
                                        ; =>      This Inner Loop Header: Depth=4
	v_cmp_gt_i32_e32 vcc_lo, 0, v15
	v_cmp_le_i32_e64 s0, s21, v15
	s_or_b32 s0, vcc_lo, s0
	s_wait_alu 0xfffe
	s_nor_b32 s70, s1, s0
	s_wait_alu 0xfffe
	s_and_saveexec_b32 s0, s70
	s_cbranch_execz .LBB47_13
; %bb.15:                               ;   in Loop: Header=BB47_14 Depth=4
	v_mad_co_u64_u32 v[16:17], null, s4, v15, 0
	s_load_b32 s70, s[54:55], 0x0
	v_mad_co_u64_u32 v[17:18], null, s5, v15, v[17:18]
	s_delay_alu instid0(VALU_DEP_1) | instskip(SKIP_2) | instid1(VALU_DEP_1)
	v_lshlrev_b64_e32 v[16:17], 2, v[16:17]
	s_wait_kmcnt 0x0
	s_and_b32 s70, s70, 0xffffe000
	v_add_co_u32 v16, vcc_lo, v13, v16
	s_wait_alu 0xfffd
	s_delay_alu instid0(VALU_DEP_2)
	v_add_co_ci_u32_e64 v17, null, v14, v17, vcc_lo
	s_wait_alu 0xfffe
	v_cvt_f64_f32_e32 v[18:19], s70
	global_load_b32 v16, v[16:17], off
	s_wait_loadcnt 0x0
	v_and_b32_e32 v16, 0xffffe000, v16
	s_delay_alu instid0(VALU_DEP_1) | instskip(NEXT) | instid1(VALU_DEP_1)
	v_cvt_f64_f32_e32 v[16:17], v16
	v_fma_f64 v[1:2], v[16:17], v[18:19], v[1:2]
	s_branch .LBB47_13
.LBB47_16:                              ;   in Loop: Header=BB47_3 Depth=1
	v_mul_lo_u32 v6, v6, s18
	v_mul_lo_u32 v9, v5, s19
	v_mad_co_u64_u32 v[3:4], null, v5, s18, 0
	v_ashrrev_i32_e32 v5, 31, v8
	v_mul_lo_u32 v10, s17, v8
	v_ashrrev_i32_e32 v11, 31, v7
	s_delay_alu instid0(VALU_DEP_3)
	v_mul_lo_u32 v12, s16, v5
	v_add3_u32 v4, v4, v9, v6
	v_mad_co_u64_u32 v[5:6], null, s16, v8, 0
	v_mul_lo_u32 v9, s15, v7
	v_mul_lo_u32 v11, s14, v11
	v_mad_co_u64_u32 v[7:8], null, s14, v7, 0
	v_lshlrev_b64_e32 v[3:4], 2, v[3:4]
	v_add3_u32 v6, v6, v12, v10
	s_delay_alu instid0(VALU_DEP_3) | instskip(NEXT) | instid1(VALU_DEP_2)
	v_add3_u32 v8, v8, v11, v9
	v_lshlrev_b64_e32 v[5:6], 2, v[5:6]
	s_delay_alu instid0(VALU_DEP_4) | instskip(SKIP_3) | instid1(VALU_DEP_3)
	v_add_co_u32 v9, vcc_lo, s34, v3
	s_wait_alu 0xfffd
	v_add_co_ci_u32_e64 v10, null, s35, v4, vcc_lo
	v_lshlrev_b64_e32 v[3:4], 2, v[7:8]
	v_add_co_u32 v5, vcc_lo, v9, v5
	s_wait_alu 0xfffd
	s_delay_alu instid0(VALU_DEP_3) | instskip(NEXT) | instid1(VALU_DEP_2)
	v_add_co_ci_u32_e64 v6, null, v10, v6, vcc_lo
	v_add_co_u32 v3, vcc_lo, v5, v3
	s_wait_alu 0xfffd
	s_delay_alu instid0(VALU_DEP_2)
	v_add_co_ci_u32_e64 v4, null, v6, v4, vcc_lo
	s_and_not1_b32 vcc_lo, exec_lo, s66
	s_wait_alu 0xfffe
	s_cbranch_vccnz .LBB47_2
; %bb.17:                               ;   in Loop: Header=BB47_3 Depth=1
	global_load_b32 v5, v[3:4], off
	s_wait_loadcnt 0x0
	v_cvt_f64_f32_e32 v[5:6], v5
	s_delay_alu instid0(VALU_DEP_1) | instskip(NEXT) | instid1(VALU_DEP_1)
	v_mul_f64_e32 v[5:6], s[42:43], v[5:6]
	v_fma_f64 v[1:2], s[40:41], v[1:2], v[5:6]
	s_branch .LBB47_2
.LBB47_18:
	s_endpgm
	.section	.rodata,"a",@progbits
	.p2align	6, 0x0
	.amdhsa_kernel naive_conv_ab_nonpacked_wrw_nchw_float_double_float_1
		.amdhsa_group_segment_fixed_size 0
		.amdhsa_private_segment_fixed_size 0
		.amdhsa_kernarg_size 480
		.amdhsa_user_sgpr_count 2
		.amdhsa_user_sgpr_dispatch_ptr 0
		.amdhsa_user_sgpr_queue_ptr 0
		.amdhsa_user_sgpr_kernarg_segment_ptr 1
		.amdhsa_user_sgpr_dispatch_id 0
		.amdhsa_user_sgpr_private_segment_size 0
		.amdhsa_wavefront_size32 1
		.amdhsa_uses_dynamic_stack 0
		.amdhsa_enable_private_segment 0
		.amdhsa_system_sgpr_workgroup_id_x 1
		.amdhsa_system_sgpr_workgroup_id_y 0
		.amdhsa_system_sgpr_workgroup_id_z 0
		.amdhsa_system_sgpr_workgroup_info 0
		.amdhsa_system_vgpr_workitem_id 0
		.amdhsa_next_free_vgpr 20
		.amdhsa_next_free_sgpr 71
		.amdhsa_reserve_vcc 1
		.amdhsa_float_round_mode_32 0
		.amdhsa_float_round_mode_16_64 0
		.amdhsa_float_denorm_mode_32 3
		.amdhsa_float_denorm_mode_16_64 3
		.amdhsa_fp16_overflow 0
		.amdhsa_workgroup_processor_mode 1
		.amdhsa_memory_ordered 1
		.amdhsa_forward_progress 1
		.amdhsa_inst_pref_size 14
		.amdhsa_round_robin_scheduling 0
		.amdhsa_exception_fp_ieee_invalid_op 0
		.amdhsa_exception_fp_denorm_src 0
		.amdhsa_exception_fp_ieee_div_zero 0
		.amdhsa_exception_fp_ieee_overflow 0
		.amdhsa_exception_fp_ieee_underflow 0
		.amdhsa_exception_fp_ieee_inexact 0
		.amdhsa_exception_int_div_zero 0
	.end_amdhsa_kernel
	.text
.Lfunc_end47:
	.size	naive_conv_ab_nonpacked_wrw_nchw_float_double_float_1, .Lfunc_end47-naive_conv_ab_nonpacked_wrw_nchw_float_double_float_1
                                        ; -- End function
	.set naive_conv_ab_nonpacked_wrw_nchw_float_double_float_1.num_vgpr, 20
	.set naive_conv_ab_nonpacked_wrw_nchw_float_double_float_1.num_agpr, 0
	.set naive_conv_ab_nonpacked_wrw_nchw_float_double_float_1.numbered_sgpr, 71
	.set naive_conv_ab_nonpacked_wrw_nchw_float_double_float_1.num_named_barrier, 0
	.set naive_conv_ab_nonpacked_wrw_nchw_float_double_float_1.private_seg_size, 0
	.set naive_conv_ab_nonpacked_wrw_nchw_float_double_float_1.uses_vcc, 1
	.set naive_conv_ab_nonpacked_wrw_nchw_float_double_float_1.uses_flat_scratch, 0
	.set naive_conv_ab_nonpacked_wrw_nchw_float_double_float_1.has_dyn_sized_stack, 0
	.set naive_conv_ab_nonpacked_wrw_nchw_float_double_float_1.has_recursion, 0
	.set naive_conv_ab_nonpacked_wrw_nchw_float_double_float_1.has_indirect_call, 0
	.section	.AMDGPU.csdata,"",@progbits
; Kernel info:
; codeLenInByte = 1744
; TotalNumSgprs: 73
; NumVgprs: 20
; ScratchSize: 0
; MemoryBound: 0
; FloatMode: 240
; IeeeMode: 1
; LDSByteSize: 0 bytes/workgroup (compile time only)
; SGPRBlocks: 0
; VGPRBlocks: 2
; NumSGPRsForWavesPerEU: 73
; NumVGPRsForWavesPerEU: 20
; Occupancy: 16
; WaveLimiterHint : 0
; COMPUTE_PGM_RSRC2:SCRATCH_EN: 0
; COMPUTE_PGM_RSRC2:USER_SGPR: 2
; COMPUTE_PGM_RSRC2:TRAP_HANDLER: 0
; COMPUTE_PGM_RSRC2:TGID_X_EN: 1
; COMPUTE_PGM_RSRC2:TGID_Y_EN: 0
; COMPUTE_PGM_RSRC2:TGID_Z_EN: 0
; COMPUTE_PGM_RSRC2:TIDIG_COMP_CNT: 0
	.text
	.protected	naive_conv_ab_packed_wrw_nchw_half_double_half_0 ; -- Begin function naive_conv_ab_packed_wrw_nchw_half_double_half_0
	.globl	naive_conv_ab_packed_wrw_nchw_half_double_half_0
	.p2align	8
	.type	naive_conv_ab_packed_wrw_nchw_half_double_half_0,@function
naive_conv_ab_packed_wrw_nchw_half_double_half_0: ; @naive_conv_ab_packed_wrw_nchw_half_double_half_0
; %bb.0:
	s_load_b512 s[4:19], s[0:1], 0xa0
	s_mov_b32 s3, exec_lo
	s_wait_kmcnt 0x0
	s_abs_i32 s29, s7
	s_mul_i32 s38, s18, s17
	s_cvt_f32_u32 s2, s29
	s_mul_i32 s33, s38, s8
	s_delay_alu instid0(SALU_CYCLE_2) | instskip(NEXT) | instid1(TRANS32_DEP_1)
	v_rcp_iflag_f32_e32 v1, s2
	v_readfirstlane_b32 s2, v1
	v_cmpx_gt_i32_e64 s33, v0
	s_cbranch_execz .LBB48_20
; %bb.1:
	s_mul_f32 s2, s2, 0x4f7ffffe
	s_sub_co_i32 s3, 0, s29
	s_load_b256 s[20:27], s[0:1], 0x0
	s_ashr_i32 s34, ttmp9, 31
	s_cvt_u32_f32 s28, s2
	s_abs_i32 s2, ttmp9
	s_ashr_i32 s37, s7, 31
	s_mov_b32 s40, s8
	s_mul_i32 s30, s3, s28
	s_mov_b32 s3, 0
	s_mul_hi_u32 s30, s28, s30
	s_wait_alu 0xfffe
	s_mov_b32 s31, s3
	s_add_co_i32 s30, s28, s30
	s_xor_b32 s39, s34, s37
	s_mul_u64 s[30:31], s[2:3], s[30:31]
	s_mov_b32 s28, s4
	s_mul_i32 s35, s31, s29
	s_add_co_i32 s34, s31, 1
	s_sub_co_i32 s2, s2, s35
	s_mov_b32 s30, s5
	s_wait_alu 0xfffe
	s_sub_co_i32 s35, s2, s29
	s_cmp_ge_u32 s2, s29
	s_mov_b32 s36, s7
	s_cselect_b32 s31, s34, s31
	s_cselect_b32 s2, s35, s2
	s_add_co_i32 s35, s31, 1
	s_wait_alu 0xfffe
	s_cmp_ge_u32 s2, s29
	s_mov_b32 s34, s17
	s_cselect_b32 s2, s35, s31
	s_ashr_i32 s29, s4, 31
	s_wait_alu 0xfffe
	s_xor_b32 s2, s2, s39
	s_ashr_i32 s31, s5, 31
	s_wait_alu 0xfffe
	s_sub_co_i32 s42, s2, s39
	s_ashr_i32 s41, s8, 31
	s_mul_u64 s[4:5], s[30:31], s[28:29]
	s_mul_i32 s2, s42, s7
	s_ashr_i32 s35, s17, 31
	s_ashr_i32 s43, s42, 31
	s_mul_u64 s[4:5], s[4:5], s[40:41]
	s_wait_alu 0xfffe
	s_sub_co_i32 s44, ttmp9, s2
	s_mul_u64 s[46:47], s[4:5], s[42:43]
	s_mul_u64 s[36:37], s[42:43], s[36:37]
	;; [unrolled: 1-line block ×3, first 2 shown]
	s_ashr_i32 s5, s18, 31
	s_ashr_i32 s45, s44, 31
	s_mov_b32 s4, s18
	s_wait_kmcnt 0x0
	v_cmp_neq_f64_e64 s2, s[24:25], 1.0
	v_cmp_neq_f64_e64 s39, s[26:27], 0
	s_add_nc_u64 s[42:43], s[36:37], s[44:45]
	s_mul_u64 s[36:37], s[40:41], s[4:5]
	s_lshl_b64 s[40:41], s[46:47], 1
	s_mul_u64 s[36:37], s[36:37], s[42:43]
	s_ashr_i32 s57, s10, 31
	s_lshl_b64 s[50:51], s[36:37], 1
	s_ashr_i32 s37, s9, 31
	s_cmp_lt_i32 s6, 1
	s_mov_b32 s36, s9
	s_cselect_b32 s44, -1, 0
	s_cmp_gt_i32 s9, 0
	s_load_b32 s52, s[0:1], 0xec
	s_cselect_b32 s45, -1, 0
	s_cmp_gt_i32 s10, 0
	s_load_b64 s[0:1], s[0:1], 0x20
	s_cselect_b32 s46, -1, 0
	s_abs_i32 s47, s18
	s_abs_i32 s48, s17
	s_cvt_f32_u32 s18, s47
	s_cvt_f32_u32 s17, s48
	s_abs_i32 s49, s38
	s_add_nc_u64 s[22:23], s[22:23], s[50:51]
	v_rcp_iflag_f32_e32 v1, s18
	v_rcp_iflag_f32_e32 v2, s17
	s_cvt_f32_u32 s9, s49
	s_mul_i32 s50, s19, s8
	s_mov_b32 s56, s10
	s_add_nc_u64 s[20:21], s[20:21], s[40:41]
	s_mul_u64 s[40:41], s[56:57], s[36:37]
	s_mul_i32 s18, s19, s7
	v_mov_b32_e32 v12, 0x7e00
	s_wait_alu 0xfffe
	s_ashr_i32 s19, s18, 31
	v_readfirstlane_b32 s17, v1
	v_rcp_iflag_f32_e32 v1, s9
	v_readfirstlane_b32 s9, v2
	v_mov_b32_e32 v2, 0
	s_ashr_i32 s7, s50, 31
	s_mul_f32 s8, s17, 0x4f7ffffe
	s_or_b32 s51, s2, s39
	s_sub_co_i32 s39, 0, s48
	s_wait_kmcnt 0x0
	s_and_b32 s52, s52, 0xffff
	s_wait_alu 0xfffe
	s_cvt_u32_f32 s2, s8
	s_mul_f32 s8, s9, 0x4f7ffffe
	v_readfirstlane_b32 s17, v1
	s_sub_co_i32 s9, 0, s47
	s_ashr_i32 s54, s38, 31
	s_wait_alu 0xfffe
	s_cvt_u32_f32 s8, s8
	s_mul_i32 s9, s9, s2
	s_mul_f32 s17, s17, 0x4f7ffffe
	s_wait_alu 0xfffe
	s_mul_hi_u32 s9, s2, s9
	s_mul_i32 s39, s39, s8
	s_wait_alu 0xfffe
	s_add_co_i32 s53, s2, s9
	s_mul_hi_u32 s2, s8, s39
	s_cvt_u32_f32 s17, s17
	s_wait_alu 0xfffe
	s_add_co_i32 s37, s8, s2
	s_sub_co_i32 s2, 0, s49
	s_mul_u64 s[8:9], s[40:41], s[42:43]
	s_wait_alu 0xfffe
	s_mul_i32 s2, s2, s17
	s_lshl_b64 s[8:9], s[8:9], 1
	s_wait_alu 0xfffe
	s_mul_hi_u32 s2, s17, s2
	s_add_nc_u64 s[8:9], s[0:1], s[8:9]
	s_mul_u64 s[0:1], s[40:41], s[18:19]
	s_wait_alu 0xfffe
	s_add_co_i32 s55, s17, s2
	s_lshl_b64 s[18:19], s[0:1], 1
	s_lshl_b64 s[38:39], s[56:57], 1
	s_sub_co_i32 s2, 0, s16
	s_branch .LBB48_3
.LBB48_2:                               ;   in Loop: Header=BB48_3 Depth=1
	v_add_nc_u32_e32 v0, s52, v0
	s_delay_alu instid0(VALU_DEP_1)
	v_cmp_le_i32_e32 vcc_lo, s33, v0
	s_or_b32 s3, vcc_lo, s3
	s_wait_alu 0xfffe
	s_and_not1_b32 exec_lo, exec_lo, s3
	s_cbranch_execz .LBB48_20
.LBB48_3:                               ; =>This Loop Header: Depth=1
                                        ;     Child Loop BB48_8 Depth 2
                                        ;       Child Loop BB48_11 Depth 3
                                        ;         Child Loop BB48_14 Depth 4
	v_sub_nc_u32_e32 v1, 0, v0
	s_mov_b32 s1, -1
	s_delay_alu instid0(VALU_DEP_1) | instskip(NEXT) | instid1(VALU_DEP_1)
	v_max_i32_e32 v3, v0, v1
	v_mul_hi_u32 v1, v3, s53
	s_delay_alu instid0(VALU_DEP_1) | instskip(NEXT) | instid1(VALU_DEP_1)
	v_mul_lo_u32 v4, v1, s47
	v_sub_nc_u32_e32 v4, v3, v4
	s_delay_alu instid0(VALU_DEP_1) | instskip(SKIP_2) | instid1(VALU_DEP_2)
	v_subrev_nc_u32_e32 v6, s47, v4
	v_cmp_le_u32_e32 vcc_lo, s47, v4
	s_wait_alu 0xfffd
	v_dual_cndmask_b32 v4, v4, v6 :: v_dual_add_nc_u32 v5, 1, v1
	s_delay_alu instid0(VALU_DEP_1) | instskip(SKIP_1) | instid1(VALU_DEP_3)
	v_cndmask_b32_e32 v1, v1, v5, vcc_lo
	v_ashrrev_i32_e32 v5, 31, v0
	v_cmp_le_u32_e32 vcc_lo, s47, v4
	v_mul_hi_u32 v4, v3, s55
	s_delay_alu instid0(VALU_DEP_3) | instskip(SKIP_1) | instid1(VALU_DEP_3)
	v_xor_b32_e32 v7, s5, v5
	v_xor_b32_e32 v5, s54, v5
	v_add_nc_u32_e32 v8, 1, v4
	v_add_nc_u32_e32 v6, 1, v1
	s_wait_alu 0xfffd
	s_delay_alu instid0(VALU_DEP_1) | instskip(NEXT) | instid1(VALU_DEP_1)
	v_cndmask_b32_e32 v1, v1, v6, vcc_lo
	v_xor_b32_e32 v1, v1, v7
	s_delay_alu instid0(VALU_DEP_1) | instskip(SKIP_1) | instid1(VALU_DEP_2)
	v_sub_nc_u32_e32 v1, v1, v7
	v_mul_lo_u32 v7, v4, s49
	v_sub_nc_u32_e32 v6, 0, v1
	s_delay_alu instid0(VALU_DEP_2) | instskip(NEXT) | instid1(VALU_DEP_2)
	v_sub_nc_u32_e32 v3, v3, v7
	v_max_i32_e32 v6, v1, v6
	s_delay_alu instid0(VALU_DEP_2) | instskip(NEXT) | instid1(VALU_DEP_2)
	v_cmp_le_u32_e32 vcc_lo, s49, v3
	v_mul_hi_u32 v7, v6, s37
	s_wait_alu 0xfffd
	v_cndmask_b32_e32 v4, v4, v8, vcc_lo
	v_subrev_nc_u32_e32 v8, s49, v3
	s_delay_alu instid0(VALU_DEP_3) | instskip(NEXT) | instid1(VALU_DEP_2)
	v_mul_lo_u32 v7, v7, s48
	v_cndmask_b32_e32 v3, v3, v8, vcc_lo
	s_delay_alu instid0(VALU_DEP_4) | instskip(NEXT) | instid1(VALU_DEP_2)
	v_add_nc_u32_e32 v8, 1, v4
	v_cmp_le_u32_e32 vcc_lo, s49, v3
	s_delay_alu instid0(VALU_DEP_4) | instskip(SKIP_1) | instid1(VALU_DEP_3)
	v_sub_nc_u32_e32 v6, v6, v7
	s_wait_alu 0xfffd
	v_cndmask_b32_e32 v3, v4, v8, vcc_lo
	s_delay_alu instid0(VALU_DEP_2) | instskip(SKIP_1) | instid1(VALU_DEP_3)
	v_subrev_nc_u32_e32 v4, s48, v6
	v_cmp_le_u32_e32 vcc_lo, s48, v6
	v_xor_b32_e32 v7, v3, v5
	s_wait_alu 0xfffd
	s_delay_alu instid0(VALU_DEP_3) | instskip(SKIP_1) | instid1(VALU_DEP_2)
	v_cndmask_b32_e32 v3, v6, v4, vcc_lo
	s_and_not1_b32 vcc_lo, exec_lo, s44
	v_sub_nc_u32_e32 v5, v7, v5
	s_delay_alu instid0(VALU_DEP_2) | instskip(NEXT) | instid1(VALU_DEP_2)
	v_cmp_le_u32_e64 s0, s48, v3
	v_ashrrev_i32_e32 v6, 31, v5
	s_wait_alu 0xfffe
	s_cbranch_vccnz .LBB48_5
; %bb.4:                                ;   in Loop: Header=BB48_3 Depth=1
	s_mov_b32 s1, 0
.LBB48_5:                               ;   in Loop: Header=BB48_3 Depth=1
	v_subrev_nc_u32_e32 v4, s48, v3
	v_mul_lo_u32 v7, v1, s4
	v_ashrrev_i32_e32 v1, 31, v1
	s_wait_alu 0xfffe
	s_and_not1_b32 vcc_lo, exec_lo, s1
	v_cndmask_b32_e64 v3, v3, v4, s0
	s_delay_alu instid0(VALU_DEP_3) | instskip(NEXT) | instid1(VALU_DEP_2)
	v_sub_nc_u32_e32 v7, v0, v7
	v_xor_b32_e32 v8, v3, v1
	v_mov_b32_e32 v3, 0
	v_mov_b32_e32 v4, 0
	s_delay_alu instid0(VALU_DEP_3)
	v_sub_nc_u32_e32 v8, v8, v1
	s_wait_alu 0xfffe
	s_cbranch_vccnz .LBB48_16
; %bb.6:                                ;   in Loop: Header=BB48_3 Depth=1
	s_delay_alu instid0(VALU_DEP_1)
	v_mul_lo_u32 v13, v8, s13
	v_mad_co_u64_u32 v[9:10], null, v7, s14, s[2:3]
	v_mov_b32_e32 v3, 0
	v_mov_b32_e32 v4, 0
	s_mov_b32 s56, 0
	s_mov_b64 s[16:17], s[8:9]
	s_branch .LBB48_8
.LBB48_7:                               ;   in Loop: Header=BB48_8 Depth=2
	s_add_co_i32 s56, s56, 1
	s_add_nc_u64 s[16:17], s[16:17], s[18:19]
	s_wait_alu 0xfffe
	s_cmp_eq_u32 s56, s6
	s_cbranch_scc1 .LBB48_16
.LBB48_8:                               ;   Parent Loop BB48_3 Depth=1
                                        ; =>  This Loop Header: Depth=2
                                        ;       Child Loop BB48_11 Depth 3
                                        ;         Child Loop BB48_14 Depth 4
	s_and_not1_b32 vcc_lo, exec_lo, s45
	s_wait_alu 0xfffe
	s_cbranch_vccnz .LBB48_7
; %bb.9:                                ;   in Loop: Header=BB48_8 Depth=2
	v_mad_co_u64_u32 v[10:11], null, s56, s50, v[5:6]
	s_mov_b32 s57, 0
	s_mov_b64 s[40:41], s[16:17]
	v_mov_b32_e32 v1, v11
	s_delay_alu instid0(VALU_DEP_1) | instskip(SKIP_2) | instid1(VALU_DEP_3)
	v_mad_co_u64_u32 v[14:15], null, s56, s7, v[1:2]
	v_mul_lo_u32 v1, v10, s29
	v_mad_co_u64_u32 v[10:11], null, v10, s28, 0
	v_mul_lo_u32 v14, v14, s28
	s_delay_alu instid0(VALU_DEP_1)
	v_add3_u32 v11, v11, v1, v14
	s_branch .LBB48_11
.LBB48_10:                              ;   in Loop: Header=BB48_11 Depth=3
	s_add_co_i32 s57, s57, 1
	s_add_nc_u64 s[40:41], s[40:41], s[38:39]
	s_wait_alu 0xfffe
	s_cmp_eq_u32 s57, s36
	s_cbranch_scc1 .LBB48_7
.LBB48_11:                              ;   Parent Loop BB48_3 Depth=1
                                        ;     Parent Loop BB48_8 Depth=2
                                        ; =>    This Loop Header: Depth=3
                                        ;         Child Loop BB48_14 Depth 4
	s_and_not1_b32 vcc_lo, exec_lo, s46
	s_wait_alu 0xfffe
	s_cbranch_vccnz .LBB48_10
; %bb.12:                               ;   in Loop: Header=BB48_11 Depth=3
	s_mul_i32 s0, s57, s11
	s_mov_b64 s[42:43], s[40:41]
	s_wait_alu 0xfffe
	s_sub_co_i32 s0, s0, s15
	s_mov_b32 s58, s10
	s_wait_alu 0xfffe
	v_add_nc_u32_e32 v1, s0, v13
	s_delay_alu instid0(VALU_DEP_1) | instskip(SKIP_3) | instid1(VALU_DEP_3)
	v_add_co_u32 v14, vcc_lo, v10, v1
	s_wait_alu 0xfffd
	v_add_co_ci_u32_e64 v15, null, 0, v11, vcc_lo
	v_cmp_gt_i32_e32 vcc_lo, 0, v1
	v_mul_lo_u32 v17, v14, s31
	v_cmp_le_i32_e64 s0, s28, v1
	s_delay_alu instid0(VALU_DEP_4) | instskip(SKIP_2) | instid1(VALU_DEP_2)
	v_mul_lo_u32 v16, v15, s30
	v_mad_co_u64_u32 v[14:15], null, v14, s30, 0
	v_mov_b32_e32 v1, v9
	v_add3_u32 v15, v15, v17, v16
	s_delay_alu instid0(VALU_DEP_1) | instskip(NEXT) | instid1(VALU_DEP_1)
	v_lshlrev_b64_e32 v[14:15], 1, v[14:15]
	v_add_co_u32 v14, s1, s20, v14
	s_wait_alu 0xf1ff
	s_delay_alu instid0(VALU_DEP_2)
	v_add_co_ci_u32_e64 v15, null, s21, v15, s1
	s_or_b32 s1, vcc_lo, s0
	s_branch .LBB48_14
.LBB48_13:                              ;   in Loop: Header=BB48_14 Depth=4
	s_wait_alu 0xfffe
	s_or_b32 exec_lo, exec_lo, s0
	v_add_nc_u32_e32 v1, s12, v1
	s_add_co_i32 s58, s58, -1
	s_add_nc_u64 s[42:43], s[42:43], 2
	s_cmp_eq_u32 s58, 0
	s_cbranch_scc1 .LBB48_10
.LBB48_14:                              ;   Parent Loop BB48_3 Depth=1
                                        ;     Parent Loop BB48_8 Depth=2
                                        ;       Parent Loop BB48_11 Depth=3
                                        ; =>      This Inner Loop Header: Depth=4
	v_cmp_gt_i32_e32 vcc_lo, 0, v1
	v_cmp_le_i32_e64 s0, s30, v1
	s_or_b32 s0, vcc_lo, s0
	s_wait_alu 0xfffe
	s_nor_b32 s59, s1, s0
	s_delay_alu instid0(SALU_CYCLE_1)
	s_and_saveexec_b32 s0, s59
	s_cbranch_execz .LBB48_13
; %bb.15:                               ;   in Loop: Header=BB48_14 Depth=4
	v_lshlrev_b64_e32 v[16:17], 1, v[1:2]
	s_delay_alu instid0(VALU_DEP_1) | instskip(SKIP_1) | instid1(VALU_DEP_2)
	v_add_co_u32 v16, vcc_lo, v14, v16
	s_wait_alu 0xfffd
	v_add_co_ci_u32_e64 v17, null, v15, v17, vcc_lo
	global_load_u16 v16, v[16:17], off
	global_load_u16 v17, v2, s[42:43]
	s_wait_loadcnt 0x1
	v_cvt_f32_f16_e32 v16, v16
	s_wait_loadcnt 0x0
	v_cvt_f32_f16_e32 v18, v17
	s_delay_alu instid0(VALU_DEP_2) | instskip(NEXT) | instid1(VALU_DEP_2)
	v_cvt_f64_f32_e32 v[16:17], v16
	v_cvt_f64_f32_e32 v[18:19], v18
	s_delay_alu instid0(VALU_DEP_1)
	v_fma_f64 v[3:4], v[16:17], v[18:19], v[3:4]
	s_branch .LBB48_13
.LBB48_16:                              ;   in Loop: Header=BB48_3 Depth=1
	s_delay_alu instid0(VALU_DEP_1)
	v_ashrrev_i32_e32 v9, 31, v8
	v_mul_lo_u32 v1, v5, s35
	v_mul_lo_u32 v10, v6, s34
	s_and_b32 vcc_lo, exec_lo, s51
	s_mov_b32 s0, -1
	v_mad_co_u64_u32 v[5:6], null, v5, s34, v[8:9]
	v_ashrrev_i32_e32 v8, 31, v7
	s_delay_alu instid0(VALU_DEP_2) | instskip(NEXT) | instid1(VALU_DEP_2)
	v_add3_u32 v1, v10, v6, v1
	v_mad_co_u64_u32 v[6:7], null, v5, s4, v[7:8]
	v_mul_lo_u32 v5, v5, s5
	s_delay_alu instid0(VALU_DEP_3) | instskip(NEXT) | instid1(VALU_DEP_1)
	v_mul_lo_u32 v1, v1, s4
	v_add3_u32 v7, v1, v7, v5
	s_delay_alu instid0(VALU_DEP_1)
	v_lshlrev_b64_e32 v[5:6], 1, v[6:7]
	s_wait_alu 0xfffe
	s_cbranch_vccz .LBB48_18
; %bb.17:                               ;   in Loop: Header=BB48_3 Depth=1
	s_delay_alu instid0(VALU_DEP_1) | instskip(SKIP_1) | instid1(VALU_DEP_2)
	v_add_co_u32 v7, vcc_lo, s22, v5
	s_wait_alu 0xfffd
	v_add_co_ci_u32_e64 v8, null, s23, v6, vcc_lo
	s_mov_b32 s0, 0
	global_load_u16 v1, v[7:8], off
	s_wait_loadcnt 0x0
	v_cvt_f32_f16_e32 v1, v1
	s_delay_alu instid0(VALU_DEP_1) | instskip(NEXT) | instid1(VALU_DEP_1)
	v_cvt_f64_f32_e32 v[9:10], v1
	v_mul_f64_e32 v[9:10], s[26:27], v[9:10]
	s_delay_alu instid0(VALU_DEP_1) | instskip(NEXT) | instid1(VALU_DEP_1)
	v_fma_f64 v[9:10], s[24:25], v[3:4], v[9:10]
	v_and_or_b32 v1, 0x1ff, v10, v9
	v_lshrrev_b32_e32 v9, 8, v10
	v_bfe_u32 v11, v10, 20, 11
	s_delay_alu instid0(VALU_DEP_3) | instskip(NEXT) | instid1(VALU_DEP_2)
	v_cmp_ne_u32_e32 vcc_lo, 0, v1
	v_sub_nc_u32_e32 v13, 0x3f1, v11
	v_add_nc_u32_e32 v11, 0xfffffc10, v11
	s_wait_alu 0xfffd
	v_cndmask_b32_e64 v1, 0, 1, vcc_lo
	s_delay_alu instid0(VALU_DEP_1) | instskip(SKIP_1) | instid1(VALU_DEP_2)
	v_and_or_b32 v1, 0xffe, v9, v1
	v_med3_i32 v9, v13, 0, 13
	v_or_b32_e32 v13, 0x1000, v1
	s_delay_alu instid0(VALU_DEP_1) | instskip(NEXT) | instid1(VALU_DEP_1)
	v_lshrrev_b32_e32 v14, v9, v13
	v_lshlrev_b32_e32 v9, v9, v14
	s_delay_alu instid0(VALU_DEP_1) | instskip(SKIP_4) | instid1(VALU_DEP_2)
	v_cmp_ne_u32_e32 vcc_lo, v9, v13
	v_lshl_or_b32 v13, v11, 12, v1
	s_wait_alu 0xfffd
	v_cndmask_b32_e64 v9, 0, 1, vcc_lo
	v_cmp_gt_i32_e32 vcc_lo, 1, v11
	v_or_b32_e32 v9, v14, v9
	s_wait_alu 0xfffd
	s_delay_alu instid0(VALU_DEP_1) | instskip(NEXT) | instid1(VALU_DEP_1)
	v_cndmask_b32_e32 v9, v13, v9, vcc_lo
	v_and_b32_e32 v13, 7, v9
	v_lshrrev_b32_e32 v9, 2, v9
	s_delay_alu instid0(VALU_DEP_2)
	v_cmp_lt_i32_e32 vcc_lo, 5, v13
	s_wait_alu 0xfffd
	v_cndmask_b32_e64 v14, 0, 1, vcc_lo
	v_cmp_eq_u32_e32 vcc_lo, 3, v13
	s_wait_alu 0xfffd
	v_cndmask_b32_e64 v13, 0, 1, vcc_lo
	v_cmp_ne_u32_e32 vcc_lo, 0, v1
	s_delay_alu instid0(VALU_DEP_2) | instskip(SKIP_3) | instid1(VALU_DEP_3)
	v_or_b32_e32 v13, v13, v14
	s_wait_alu 0xfffd
	v_cndmask_b32_e32 v1, 0x7c00, v12, vcc_lo
	v_cmp_gt_i32_e32 vcc_lo, 31, v11
	v_add_nc_u32_e32 v9, v9, v13
	s_wait_alu 0xfffd
	s_delay_alu instid0(VALU_DEP_1) | instskip(SKIP_2) | instid1(VALU_DEP_2)
	v_cndmask_b32_e32 v9, 0x7c00, v9, vcc_lo
	v_cmp_eq_u32_e32 vcc_lo, 0x40f, v11
	s_wait_alu 0xfffd
	v_cndmask_b32_e32 v1, v9, v1, vcc_lo
	v_lshrrev_b32_e32 v9, 16, v10
	s_delay_alu instid0(VALU_DEP_1)
	v_and_or_b32 v1, 0x8000, v9, v1
	global_store_b16 v[7:8], v1, off
.LBB48_18:                              ;   in Loop: Header=BB48_3 Depth=1
	s_wait_alu 0xfffe
	s_and_not1_b32 vcc_lo, exec_lo, s0
	s_wait_alu 0xfffe
	s_cbranch_vccnz .LBB48_2
; %bb.19:                               ;   in Loop: Header=BB48_3 Depth=1
	v_and_or_b32 v1, 0x1ff, v4, v3
	v_lshrrev_b32_e32 v3, 8, v4
	v_bfe_u32 v7, v4, 20, 11
	v_lshrrev_b32_e32 v4, 16, v4
	s_delay_alu instid0(VALU_DEP_4) | instskip(NEXT) | instid1(VALU_DEP_3)
	v_cmp_ne_u32_e32 vcc_lo, 0, v1
	v_sub_nc_u32_e32 v8, 0x3f1, v7
	v_add_nc_u32_e32 v7, 0xfffffc10, v7
	s_wait_alu 0xfffd
	v_cndmask_b32_e64 v1, 0, 1, vcc_lo
	s_delay_alu instid0(VALU_DEP_1) | instskip(SKIP_1) | instid1(VALU_DEP_2)
	v_and_or_b32 v1, 0xffe, v3, v1
	v_med3_i32 v3, v8, 0, 13
	v_or_b32_e32 v8, 0x1000, v1
	s_delay_alu instid0(VALU_DEP_1) | instskip(NEXT) | instid1(VALU_DEP_1)
	v_lshrrev_b32_e32 v9, v3, v8
	v_lshlrev_b32_e32 v3, v3, v9
	s_delay_alu instid0(VALU_DEP_1) | instskip(SKIP_4) | instid1(VALU_DEP_2)
	v_cmp_ne_u32_e32 vcc_lo, v3, v8
	v_lshl_or_b32 v8, v7, 12, v1
	s_wait_alu 0xfffd
	v_cndmask_b32_e64 v3, 0, 1, vcc_lo
	v_cmp_gt_i32_e32 vcc_lo, 1, v7
	v_or_b32_e32 v3, v9, v3
	s_wait_alu 0xfffd
	s_delay_alu instid0(VALU_DEP_1) | instskip(NEXT) | instid1(VALU_DEP_1)
	v_cndmask_b32_e32 v3, v8, v3, vcc_lo
	v_and_b32_e32 v8, 7, v3
	v_lshrrev_b32_e32 v3, 2, v3
	s_delay_alu instid0(VALU_DEP_2)
	v_cmp_lt_i32_e32 vcc_lo, 5, v8
	s_wait_alu 0xfffd
	v_cndmask_b32_e64 v9, 0, 1, vcc_lo
	v_cmp_eq_u32_e32 vcc_lo, 3, v8
	s_wait_alu 0xfffd
	v_cndmask_b32_e64 v8, 0, 1, vcc_lo
	v_cmp_ne_u32_e32 vcc_lo, 0, v1
	s_delay_alu instid0(VALU_DEP_2) | instskip(SKIP_3) | instid1(VALU_DEP_3)
	v_or_b32_e32 v8, v8, v9
	s_wait_alu 0xfffd
	v_cndmask_b32_e32 v1, 0x7c00, v12, vcc_lo
	v_cmp_gt_i32_e32 vcc_lo, 31, v7
	v_add_nc_u32_e32 v3, v3, v8
	s_wait_alu 0xfffd
	s_delay_alu instid0(VALU_DEP_1) | instskip(SKIP_2) | instid1(VALU_DEP_2)
	v_cndmask_b32_e32 v3, 0x7c00, v3, vcc_lo
	v_cmp_eq_u32_e32 vcc_lo, 0x40f, v7
	s_wait_alu 0xfffd
	v_cndmask_b32_e32 v1, v3, v1, vcc_lo
	v_add_co_u32 v3, vcc_lo, s22, v5
	s_delay_alu instid0(VALU_DEP_2)
	v_and_or_b32 v1, 0x8000, v4, v1
	s_wait_alu 0xfffd
	v_add_co_ci_u32_e64 v4, null, s23, v6, vcc_lo
	global_store_b16 v[3:4], v1, off
	s_branch .LBB48_2
.LBB48_20:
	s_endpgm
	.section	.rodata,"a",@progbits
	.p2align	6, 0x0
	.amdhsa_kernel naive_conv_ab_packed_wrw_nchw_half_double_half_0
		.amdhsa_group_segment_fixed_size 0
		.amdhsa_private_segment_fixed_size 0
		.amdhsa_kernarg_size 480
		.amdhsa_user_sgpr_count 2
		.amdhsa_user_sgpr_dispatch_ptr 0
		.amdhsa_user_sgpr_queue_ptr 0
		.amdhsa_user_sgpr_kernarg_segment_ptr 1
		.amdhsa_user_sgpr_dispatch_id 0
		.amdhsa_user_sgpr_private_segment_size 0
		.amdhsa_wavefront_size32 1
		.amdhsa_uses_dynamic_stack 0
		.amdhsa_enable_private_segment 0
		.amdhsa_system_sgpr_workgroup_id_x 1
		.amdhsa_system_sgpr_workgroup_id_y 0
		.amdhsa_system_sgpr_workgroup_id_z 0
		.amdhsa_system_sgpr_workgroup_info 0
		.amdhsa_system_vgpr_workitem_id 0
		.amdhsa_next_free_vgpr 20
		.amdhsa_next_free_sgpr 60
		.amdhsa_reserve_vcc 1
		.amdhsa_float_round_mode_32 0
		.amdhsa_float_round_mode_16_64 0
		.amdhsa_float_denorm_mode_32 3
		.amdhsa_float_denorm_mode_16_64 3
		.amdhsa_fp16_overflow 0
		.amdhsa_workgroup_processor_mode 1
		.amdhsa_memory_ordered 1
		.amdhsa_forward_progress 1
		.amdhsa_inst_pref_size 18
		.amdhsa_round_robin_scheduling 0
		.amdhsa_exception_fp_ieee_invalid_op 0
		.amdhsa_exception_fp_denorm_src 0
		.amdhsa_exception_fp_ieee_div_zero 0
		.amdhsa_exception_fp_ieee_overflow 0
		.amdhsa_exception_fp_ieee_underflow 0
		.amdhsa_exception_fp_ieee_inexact 0
		.amdhsa_exception_int_div_zero 0
	.end_amdhsa_kernel
	.text
.Lfunc_end48:
	.size	naive_conv_ab_packed_wrw_nchw_half_double_half_0, .Lfunc_end48-naive_conv_ab_packed_wrw_nchw_half_double_half_0
                                        ; -- End function
	.set naive_conv_ab_packed_wrw_nchw_half_double_half_0.num_vgpr, 20
	.set naive_conv_ab_packed_wrw_nchw_half_double_half_0.num_agpr, 0
	.set naive_conv_ab_packed_wrw_nchw_half_double_half_0.numbered_sgpr, 60
	.set naive_conv_ab_packed_wrw_nchw_half_double_half_0.num_named_barrier, 0
	.set naive_conv_ab_packed_wrw_nchw_half_double_half_0.private_seg_size, 0
	.set naive_conv_ab_packed_wrw_nchw_half_double_half_0.uses_vcc, 1
	.set naive_conv_ab_packed_wrw_nchw_half_double_half_0.uses_flat_scratch, 0
	.set naive_conv_ab_packed_wrw_nchw_half_double_half_0.has_dyn_sized_stack, 0
	.set naive_conv_ab_packed_wrw_nchw_half_double_half_0.has_recursion, 0
	.set naive_conv_ab_packed_wrw_nchw_half_double_half_0.has_indirect_call, 0
	.section	.AMDGPU.csdata,"",@progbits
; Kernel info:
; codeLenInByte = 2304
; TotalNumSgprs: 62
; NumVgprs: 20
; ScratchSize: 0
; MemoryBound: 0
; FloatMode: 240
; IeeeMode: 1
; LDSByteSize: 0 bytes/workgroup (compile time only)
; SGPRBlocks: 0
; VGPRBlocks: 2
; NumSGPRsForWavesPerEU: 62
; NumVGPRsForWavesPerEU: 20
; Occupancy: 16
; WaveLimiterHint : 0
; COMPUTE_PGM_RSRC2:SCRATCH_EN: 0
; COMPUTE_PGM_RSRC2:USER_SGPR: 2
; COMPUTE_PGM_RSRC2:TRAP_HANDLER: 0
; COMPUTE_PGM_RSRC2:TGID_X_EN: 1
; COMPUTE_PGM_RSRC2:TGID_Y_EN: 0
; COMPUTE_PGM_RSRC2:TGID_Z_EN: 0
; COMPUTE_PGM_RSRC2:TIDIG_COMP_CNT: 0
	.text
	.protected	naive_conv_ab_nonpacked_wrw_nchw_half_double_half_0 ; -- Begin function naive_conv_ab_nonpacked_wrw_nchw_half_double_half_0
	.globl	naive_conv_ab_nonpacked_wrw_nchw_half_double_half_0
	.p2align	8
	.type	naive_conv_ab_nonpacked_wrw_nchw_half_double_half_0,@function
naive_conv_ab_nonpacked_wrw_nchw_half_double_half_0: ; @naive_conv_ab_nonpacked_wrw_nchw_half_double_half_0
; %bb.0:
	s_clause 0x1
	s_load_b256 s[20:27], s[0:1], 0xa0
	s_load_b128 s[28:31], s[0:1], 0xd0
	s_mov_b32 s3, exec_lo
	s_wait_kmcnt 0x0
	s_abs_i32 s33, s23
	s_mul_i32 s65, s30, s29
	s_cvt_f32_u32 s2, s33
	s_mul_i32 s31, s65, s24
	s_delay_alu instid0(SALU_CYCLE_2) | instskip(NEXT) | instid1(TRANS32_DEP_1)
	v_rcp_iflag_f32_e32 v1, s2
	v_readfirstlane_b32 s2, v1
	v_cmpx_gt_i32_e64 s31, v0
	s_cbranch_execz .LBB49_20
; %bb.1:
	s_mul_f32 s2, s2, 0x4f7ffffe
	s_sub_co_i32 s3, 0, s33
	s_load_b256 s[36:43], s[0:1], 0x0
	s_ashr_i32 s24, ttmp9, 31
	s_cvt_u32_f32 s4, s2
	s_abs_i32 s2, ttmp9
	s_clause 0x1
	s_load_b64 s[62:63], s[0:1], 0x20
	s_load_b64 s[68:69], s[0:1], 0x98
	s_mul_i32 s5, s3, s4
	s_mov_b32 s3, 0
	s_mul_hi_u32 s6, s4, s5
	s_wait_alu 0xfffe
	s_mov_b32 s5, s3
	s_add_co_i32 s4, s4, s6
	v_dual_mov_b32 v5, 0 :: v_dual_mov_b32 v6, 0x7e00
	s_mul_u64 s[34:35], s[2:3], s[4:5]
	s_ashr_i32 s34, s23, 31
	s_mul_i32 s56, s35, s33
	s_clause 0x2
	s_load_b512 s[4:19], s[0:1], 0x28
	s_load_b128 s[52:55], s[0:1], 0x88
	s_load_b256 s[44:51], s[0:1], 0x68
	s_sub_co_i32 s2, s2, s56
	s_xor_b32 s24, s24, s34
	s_add_co_i32 s34, s35, 1
	s_wait_alu 0xfffe
	s_sub_co_i32 s56, s2, s33
	s_cmp_ge_u32 s2, s33
	s_wait_kmcnt 0x0
	v_cmp_neq_f64_e64 s64, s[40:41], 1.0
	s_cselect_b32 s34, s34, s35
	s_cselect_b32 s2, s56, s2
	s_add_co_i32 s35, s34, 1
	s_wait_alu 0xfffe
	s_cmp_ge_u32 s2, s33
	s_mov_b32 s67, 0
	s_cselect_b32 s2, s35, s34
	s_wait_alu 0xfffe
	s_xor_b32 s2, s2, s24
	s_wait_alu 0xfffe
	s_sub_co_i32 s34, s2, s24
	v_cmp_neq_f64_e64 s2, s[42:43], 0
	s_mul_i32 s23, s34, s23
	s_ashr_i32 s35, s34, 31
	s_sub_co_i32 s56, ttmp9, s23
	s_mul_u64 s[46:47], s[46:47], s[34:35]
	s_ashr_i32 s57, s56, 31
	s_mul_u64 s[10:11], s[10:11], s[34:35]
	s_mul_u64 s[34:35], s[54:55], s[34:35]
	s_lshl_b64 s[54:55], s[46:47], 1
	s_mul_u64 s[44:45], s[44:45], s[56:57]
	s_mul_u64 s[46:47], s[52:53], s[56:57]
	s_lshl_b64 s[10:11], s[10:11], 1
	s_lshl_b64 s[34:35], s[34:35], 1
	;; [unrolled: 1-line block ×4, first 2 shown]
	s_cmp_lt_i32 s22, 1
	s_load_b32 s24, s[0:1], 0xec
	s_cselect_b32 s23, -1, 0
	s_cmp_gt_i32 s25, 0
	s_add_nc_u64 s[10:11], s[36:37], s[10:11]
	s_cselect_b32 s33, -1, 0
	s_cmp_gt_i32 s26, 0
	s_add_nc_u64 s[36:37], s[62:63], s[34:35]
	s_cselect_b32 s56, -1, 0
	s_abs_i32 s57, s30
	s_abs_i32 s58, s29
	s_cvt_f32_u32 s44, s57
	s_abs_i32 s59, s65
	s_cvt_f32_u32 s29, s58
	s_cvt_f32_u32 s66, s59
	v_rcp_iflag_f32_e32 v1, s44
	s_load_b128 s[44:47], s[0:1], 0xc0
	v_rcp_iflag_f32_e32 v2, s29
	v_rcp_iflag_f32_e32 v3, s66
	s_add_nc_u64 s[0:1], s[38:39], s[54:55]
	s_add_nc_u64 s[36:37], s[36:37], s[60:61]
	;; [unrolled: 1-line block ×3, first 2 shown]
	s_wait_kmcnt 0x0
	s_and_b32 s60, s24, 0xffff
	s_sub_co_i32 s24, 0, s57
	s_or_b32 s62, s64, s2
	v_readfirstlane_b32 s0, v1
	s_sub_co_i32 s38, 0, s58
	v_readfirstlane_b32 s1, v2
	v_readfirstlane_b32 s29, v3
	s_ashr_i32 s61, s30, 31
	s_mul_f32 s0, s0, 0x4f7ffffe
	s_ashr_i32 s65, s65, 31
	s_mul_f32 s1, s1, 0x4f7ffffe
	s_mul_f32 s2, s29, 0x4f7ffffe
	s_cvt_u32_f32 s0, s0
	s_lshl_b64 s[50:51], s[50:51], 1
	s_cvt_u32_f32 s1, s1
	s_wait_alu 0xfffe
	s_cvt_u32_f32 s2, s2
	s_mul_i32 s24, s24, s0
	s_lshl_b64 s[48:49], s[48:49], 1
	s_mul_hi_u32 s24, s0, s24
	s_mul_i32 s38, s38, s1
	s_add_co_i32 s63, s0, s24
	s_sub_co_i32 s0, 0, s59
	s_mul_hi_u32 s24, s1, s38
	s_wait_alu 0xfffe
	s_mul_i32 s0, s0, s2
	s_add_co_i32 s64, s1, s24
	s_mul_hi_u32 s0, s2, s0
	s_lshl_b64 s[38:39], s[68:69], 1
	s_add_co_i32 s66, s2, s0
	s_sub_co_i32 s24, 0, s28
	s_branch .LBB49_3
.LBB49_2:                               ;   in Loop: Header=BB49_3 Depth=1
	v_add_nc_u32_e32 v0, s60, v0
	s_delay_alu instid0(VALU_DEP_1)
	v_cmp_le_i32_e32 vcc_lo, s31, v0
	s_or_b32 s67, vcc_lo, s67
	s_wait_alu 0xfffe
	s_and_not1_b32 exec_lo, exec_lo, s67
	s_cbranch_execz .LBB49_20
.LBB49_3:                               ; =>This Loop Header: Depth=1
                                        ;     Child Loop BB49_8 Depth 2
                                        ;       Child Loop BB49_11 Depth 3
                                        ;         Child Loop BB49_14 Depth 4
	v_sub_nc_u32_e32 v1, 0, v0
	s_mov_b32 s1, -1
	s_delay_alu instid0(VALU_DEP_1) | instskip(NEXT) | instid1(VALU_DEP_1)
	v_max_i32_e32 v2, v0, v1
	v_mul_hi_u32 v1, v2, s63
	s_delay_alu instid0(VALU_DEP_1) | instskip(NEXT) | instid1(VALU_DEP_1)
	v_mul_lo_u32 v3, v1, s57
	v_sub_nc_u32_e32 v3, v2, v3
	s_delay_alu instid0(VALU_DEP_1) | instskip(SKIP_2) | instid1(VALU_DEP_2)
	v_subrev_nc_u32_e32 v7, s57, v3
	v_cmp_le_u32_e32 vcc_lo, s57, v3
	s_wait_alu 0xfffd
	v_dual_cndmask_b32 v3, v3, v7 :: v_dual_add_nc_u32 v4, 1, v1
	s_delay_alu instid0(VALU_DEP_1) | instskip(SKIP_1) | instid1(VALU_DEP_3)
	v_cndmask_b32_e32 v1, v1, v4, vcc_lo
	v_ashrrev_i32_e32 v4, 31, v0
	v_cmp_le_u32_e32 vcc_lo, s57, v3
	s_delay_alu instid0(VALU_DEP_3) | instskip(NEXT) | instid1(VALU_DEP_3)
	v_add_nc_u32_e32 v7, 1, v1
	v_xor_b32_e32 v8, s61, v4
	s_wait_alu 0xfffe
	v_mul_hi_u32 v3, v2, s66
	v_xor_b32_e32 v4, s65, v4
	s_wait_alu 0xfffd
	v_cndmask_b32_e32 v1, v1, v7, vcc_lo
	s_delay_alu instid0(VALU_DEP_3) | instskip(NEXT) | instid1(VALU_DEP_2)
	v_add_nc_u32_e32 v9, 1, v3
	v_xor_b32_e32 v1, v1, v8
	s_delay_alu instid0(VALU_DEP_1) | instskip(SKIP_1) | instid1(VALU_DEP_2)
	v_sub_nc_u32_e32 v1, v1, v8
	v_mul_lo_u32 v8, v3, s59
	v_sub_nc_u32_e32 v7, 0, v1
	s_delay_alu instid0(VALU_DEP_2) | instskip(NEXT) | instid1(VALU_DEP_2)
	v_sub_nc_u32_e32 v2, v2, v8
	v_max_i32_e32 v7, v1, v7
	s_delay_alu instid0(VALU_DEP_2) | instskip(NEXT) | instid1(VALU_DEP_2)
	v_cmp_le_u32_e32 vcc_lo, s59, v2
	v_mul_hi_u32 v8, v7, s64
	s_wait_alu 0xfffd
	v_cndmask_b32_e32 v3, v3, v9, vcc_lo
	v_subrev_nc_u32_e32 v9, s59, v2
	s_delay_alu instid0(VALU_DEP_3) | instskip(NEXT) | instid1(VALU_DEP_2)
	v_mul_lo_u32 v8, v8, s58
	v_dual_cndmask_b32 v2, v2, v9 :: v_dual_add_nc_u32 v9, 1, v3
	s_delay_alu instid0(VALU_DEP_1) | instskip(NEXT) | instid1(VALU_DEP_3)
	v_cmp_le_u32_e32 vcc_lo, s59, v2
	v_sub_nc_u32_e32 v7, v7, v8
	s_wait_alu 0xfffd
	s_delay_alu instid0(VALU_DEP_3) | instskip(NEXT) | instid1(VALU_DEP_2)
	v_cndmask_b32_e32 v2, v3, v9, vcc_lo
	v_subrev_nc_u32_e32 v3, s58, v7
	v_cmp_le_u32_e32 vcc_lo, s58, v7
	s_delay_alu instid0(VALU_DEP_3) | instskip(SKIP_1) | instid1(VALU_DEP_3)
	v_xor_b32_e32 v8, v2, v4
	s_wait_alu 0xfffd
	v_cndmask_b32_e32 v2, v7, v3, vcc_lo
	s_and_not1_b32 vcc_lo, exec_lo, s23
	s_delay_alu instid0(VALU_DEP_2) | instskip(NEXT) | instid1(VALU_DEP_2)
	v_sub_nc_u32_e32 v7, v8, v4
	v_cmp_le_u32_e64 s0, s58, v2
	s_delay_alu instid0(VALU_DEP_2)
	v_ashrrev_i32_e32 v8, 31, v7
	s_wait_alu 0xfffe
	s_cbranch_vccnz .LBB49_5
; %bb.4:                                ;   in Loop: Header=BB49_3 Depth=1
	s_mov_b32 s1, 0
.LBB49_5:                               ;   in Loop: Header=BB49_3 Depth=1
	v_subrev_nc_u32_e32 v3, s58, v2
	v_mul_lo_u32 v4, v1, s30
	v_ashrrev_i32_e32 v9, 31, v1
	s_wait_alu 0xfffe
	s_and_not1_b32 vcc_lo, exec_lo, s1
	v_cndmask_b32_e64 v1, v2, v3, s0
	s_delay_alu instid0(VALU_DEP_3) | instskip(NEXT) | instid1(VALU_DEP_2)
	v_sub_nc_u32_e32 v10, v0, v4
	v_xor_b32_e32 v3, v1, v9
	v_mov_b32_e32 v1, 0
	v_mov_b32_e32 v2, 0
	s_delay_alu instid0(VALU_DEP_3)
	v_sub_nc_u32_e32 v9, v3, v9
	s_wait_alu 0xfffe
	s_cbranch_vccnz .LBB49_16
; %bb.6:                                ;   in Loop: Header=BB49_3 Depth=1
	v_mul_lo_u32 v3, s9, v7
	v_mul_lo_u32 v4, s8, v8
	v_mad_co_u64_u32 v[1:2], null, s8, v7, 0
	v_mul_lo_u32 v11, v9, s45
	s_mov_b32 s2, 0
	s_mov_b64 s[28:29], s[36:37]
	s_delay_alu instid0(VALU_DEP_2) | instskip(SKIP_1) | instid1(VALU_DEP_2)
	v_add3_u32 v2, v2, v4, v3
	v_mad_co_u64_u32 v[3:4], null, v10, s46, s[24:25]
	v_lshlrev_b64_e32 v[12:13], 1, v[1:2]
	v_mov_b32_e32 v1, 0
	v_mov_b32_e32 v2, 0
	s_delay_alu instid0(VALU_DEP_3) | instskip(SKIP_1) | instid1(VALU_DEP_4)
	v_add_co_u32 v4, vcc_lo, s10, v12
	s_wait_alu 0xfffd
	v_add_co_ci_u32_e64 v12, null, s11, v13, vcc_lo
	s_branch .LBB49_8
.LBB49_7:                               ;   in Loop: Header=BB49_8 Depth=2
	s_add_co_i32 s2, s2, 1
	s_add_nc_u64 s[28:29], s[28:29], s[38:39]
	s_wait_alu 0xfffe
	s_cmp_eq_u32 s2, s22
	s_cbranch_scc1 .LBB49_16
.LBB49_8:                               ;   Parent Loop BB49_3 Depth=1
                                        ; =>  This Loop Header: Depth=2
                                        ;       Child Loop BB49_11 Depth 3
                                        ;         Child Loop BB49_14 Depth 4
	s_and_not1_b32 vcc_lo, exec_lo, s33
	s_wait_alu 0xfffe
	s_cbranch_vccnz .LBB49_7
; %bb.9:                                ;   in Loop: Header=BB49_8 Depth=2
	s_mul_u64 s[0:1], s[12:13], s[2:3]
	s_mov_b32 s68, 0
	s_wait_alu 0xfffe
	s_lshl_b64 s[0:1], s[0:1], 1
	s_mov_b64 s[52:53], s[28:29]
	s_wait_alu 0xfffe
	v_add_co_u32 v13, vcc_lo, v4, s0
	s_wait_alu 0xfffd
	v_add_co_ci_u32_e64 v14, null, s1, v12, vcc_lo
	s_branch .LBB49_11
.LBB49_10:                              ;   in Loop: Header=BB49_11 Depth=3
	s_add_co_i32 s68, s68, 1
	s_add_nc_u64 s[52:53], s[52:53], s[50:51]
	s_cmp_eq_u32 s68, s25
	s_cbranch_scc1 .LBB49_7
.LBB49_11:                              ;   Parent Loop BB49_3 Depth=1
                                        ;     Parent Loop BB49_8 Depth=2
                                        ; =>    This Loop Header: Depth=3
                                        ;         Child Loop BB49_14 Depth 4
	s_and_not1_b32 vcc_lo, exec_lo, s56
	s_wait_alu 0xfffe
	s_cbranch_vccnz .LBB49_10
; %bb.12:                               ;   in Loop: Header=BB49_11 Depth=3
	s_mul_i32 s0, s68, s27
	s_mov_b64 s[54:55], s[52:53]
	s_wait_alu 0xfffe
	s_sub_co_i32 s0, s0, s47
	s_mov_b32 s69, s26
	s_wait_alu 0xfffe
	v_add_nc_u32_e32 v18, s0, v11
	s_delay_alu instid0(VALU_DEP_1) | instskip(NEXT) | instid1(VALU_DEP_1)
	v_mad_co_u64_u32 v[15:16], null, s6, v18, 0
	v_mad_co_u64_u32 v[16:17], null, s7, v18, v[16:17]
	v_mov_b32_e32 v17, v3
	v_cmp_gt_i32_e32 vcc_lo, 0, v18
	v_cmp_le_i32_e64 s0, s20, v18
	s_delay_alu instid0(VALU_DEP_4) | instskip(NEXT) | instid1(VALU_DEP_1)
	v_lshlrev_b64_e32 v[15:16], 1, v[15:16]
	v_add_co_u32 v15, s1, v13, v15
	s_wait_alu 0xf1ff
	s_delay_alu instid0(VALU_DEP_2)
	v_add_co_ci_u32_e64 v16, null, v14, v16, s1
	s_or_b32 s1, vcc_lo, s0
	s_branch .LBB49_14
.LBB49_13:                              ;   in Loop: Header=BB49_14 Depth=4
	s_wait_alu 0xfffe
	s_or_b32 exec_lo, exec_lo, s0
	v_add_nc_u32_e32 v17, s44, v17
	s_add_co_i32 s69, s69, -1
	s_add_nc_u64 s[54:55], s[54:55], s[48:49]
	s_cmp_eq_u32 s69, 0
	s_cbranch_scc1 .LBB49_10
.LBB49_14:                              ;   Parent Loop BB49_3 Depth=1
                                        ;     Parent Loop BB49_8 Depth=2
                                        ;       Parent Loop BB49_11 Depth=3
                                        ; =>      This Inner Loop Header: Depth=4
	v_cmp_gt_i32_e32 vcc_lo, 0, v17
	v_cmp_le_i32_e64 s0, s21, v17
	s_or_b32 s0, vcc_lo, s0
	s_wait_alu 0xfffe
	s_nor_b32 s70, s1, s0
	s_delay_alu instid0(SALU_CYCLE_1)
	s_and_saveexec_b32 s0, s70
	s_cbranch_execz .LBB49_13
; %bb.15:                               ;   in Loop: Header=BB49_14 Depth=4
	v_mad_co_u64_u32 v[18:19], null, s4, v17, 0
	s_delay_alu instid0(VALU_DEP_1) | instskip(NEXT) | instid1(VALU_DEP_1)
	v_mad_co_u64_u32 v[19:20], null, s5, v17, v[19:20]
	v_lshlrev_b64_e32 v[18:19], 1, v[18:19]
	s_delay_alu instid0(VALU_DEP_1) | instskip(SKIP_1) | instid1(VALU_DEP_2)
	v_add_co_u32 v18, vcc_lo, v15, v18
	s_wait_alu 0xfffd
	v_add_co_ci_u32_e64 v19, null, v16, v19, vcc_lo
	global_load_u16 v18, v[18:19], off
	global_load_u16 v19, v5, s[54:55]
	s_wait_loadcnt 0x1
	v_cvt_f32_f16_e32 v18, v18
	s_wait_loadcnt 0x0
	v_cvt_f32_f16_e32 v20, v19
	s_delay_alu instid0(VALU_DEP_2) | instskip(NEXT) | instid1(VALU_DEP_2)
	v_cvt_f64_f32_e32 v[18:19], v18
	v_cvt_f64_f32_e32 v[20:21], v20
	s_delay_alu instid0(VALU_DEP_1)
	v_fma_f64 v[1:2], v[18:19], v[20:21], v[1:2]
	s_branch .LBB49_13
.LBB49_16:                              ;   in Loop: Header=BB49_3 Depth=1
	v_ashrrev_i32_e32 v11, 31, v10
	v_mul_lo_u32 v12, s15, v10
	v_mad_co_u64_u32 v[3:4], null, s14, v10, 0
	s_and_b32 vcc_lo, exec_lo, s62
	v_mul_lo_u32 v10, s14, v11
	v_ashrrev_i32_e32 v11, 31, v9
	s_mov_b32 s0, -1
	s_delay_alu instid0(VALU_DEP_1) | instskip(NEXT) | instid1(VALU_DEP_3)
	v_mul_lo_u32 v11, s16, v11
	v_add3_u32 v4, v4, v10, v12
	v_mul_lo_u32 v10, s17, v9
	s_delay_alu instid0(VALU_DEP_2) | instskip(SKIP_1) | instid1(VALU_DEP_2)
	v_mad_co_u64_u32 v[3:4], null, s16, v9, v[3:4]
	v_mul_lo_u32 v9, v7, s19
	v_add3_u32 v4, v10, v4, v11
	s_delay_alu instid0(VALU_DEP_1) | instskip(SKIP_1) | instid1(VALU_DEP_1)
	v_mad_co_u64_u32 v[3:4], null, v7, s18, v[3:4]
	v_mul_lo_u32 v7, v8, s18
	v_add3_u32 v4, v7, v4, v9
	s_delay_alu instid0(VALU_DEP_1)
	v_lshlrev_b64_e32 v[3:4], 1, v[3:4]
	s_wait_alu 0xfffe
	s_cbranch_vccz .LBB49_18
; %bb.17:                               ;   in Loop: Header=BB49_3 Depth=1
	s_delay_alu instid0(VALU_DEP_1) | instskip(SKIP_1) | instid1(VALU_DEP_2)
	v_add_co_u32 v7, vcc_lo, s34, v3
	s_wait_alu 0xfffd
	v_add_co_ci_u32_e64 v8, null, s35, v4, vcc_lo
	s_mov_b32 s0, 0
	global_load_u16 v9, v[7:8], off
	s_wait_loadcnt 0x0
	v_cvt_f32_f16_e32 v9, v9
	s_delay_alu instid0(VALU_DEP_1) | instskip(NEXT) | instid1(VALU_DEP_1)
	v_cvt_f64_f32_e32 v[9:10], v9
	v_mul_f64_e32 v[9:10], s[42:43], v[9:10]
	s_delay_alu instid0(VALU_DEP_1) | instskip(NEXT) | instid1(VALU_DEP_1)
	v_fma_f64 v[9:10], s[40:41], v[1:2], v[9:10]
	v_and_or_b32 v9, 0x1ff, v10, v9
	v_lshrrev_b32_e32 v11, 8, v10
	v_bfe_u32 v12, v10, 20, 11
	v_lshrrev_b32_e32 v10, 16, v10
	s_delay_alu instid0(VALU_DEP_4) | instskip(NEXT) | instid1(VALU_DEP_3)
	v_cmp_ne_u32_e32 vcc_lo, 0, v9
	v_sub_nc_u32_e32 v13, 0x3f1, v12
	s_wait_alu 0xfffd
	v_cndmask_b32_e64 v9, 0, 1, vcc_lo
	s_delay_alu instid0(VALU_DEP_1) | instskip(NEXT) | instid1(VALU_DEP_3)
	v_and_or_b32 v9, 0xffe, v11, v9
	v_med3_i32 v11, v13, 0, 13
	s_delay_alu instid0(VALU_DEP_2) | instskip(NEXT) | instid1(VALU_DEP_1)
	v_or_b32_e32 v13, 0x1000, v9
	v_lshrrev_b32_e32 v14, v11, v13
	s_delay_alu instid0(VALU_DEP_1) | instskip(NEXT) | instid1(VALU_DEP_1)
	v_lshlrev_b32_e32 v11, v11, v14
	v_cmp_ne_u32_e32 vcc_lo, v11, v13
	s_wait_alu 0xfffd
	v_cndmask_b32_e64 v11, 0, 1, vcc_lo
	s_delay_alu instid0(VALU_DEP_1) | instskip(SKIP_1) | instid1(VALU_DEP_1)
	v_or_b32_e32 v11, v14, v11
	v_add_nc_u32_e32 v12, 0xfffffc10, v12
	v_lshl_or_b32 v13, v12, 12, v9
	v_cmp_gt_i32_e32 vcc_lo, 1, v12
	s_wait_alu 0xfffd
	s_delay_alu instid0(VALU_DEP_2) | instskip(NEXT) | instid1(VALU_DEP_1)
	v_cndmask_b32_e32 v11, v13, v11, vcc_lo
	v_and_b32_e32 v13, 7, v11
	v_lshrrev_b32_e32 v11, 2, v11
	s_delay_alu instid0(VALU_DEP_2)
	v_cmp_lt_i32_e32 vcc_lo, 5, v13
	s_wait_alu 0xfffd
	v_cndmask_b32_e64 v14, 0, 1, vcc_lo
	v_cmp_eq_u32_e32 vcc_lo, 3, v13
	s_wait_alu 0xfffd
	v_cndmask_b32_e64 v13, 0, 1, vcc_lo
	v_cmp_ne_u32_e32 vcc_lo, 0, v9
	s_delay_alu instid0(VALU_DEP_2) | instskip(SKIP_3) | instid1(VALU_DEP_3)
	v_or_b32_e32 v13, v13, v14
	s_wait_alu 0xfffd
	v_cndmask_b32_e32 v9, 0x7c00, v6, vcc_lo
	v_cmp_gt_i32_e32 vcc_lo, 31, v12
	v_add_nc_u32_e32 v11, v11, v13
	s_wait_alu 0xfffd
	s_delay_alu instid0(VALU_DEP_1) | instskip(SKIP_2) | instid1(VALU_DEP_2)
	v_cndmask_b32_e32 v11, 0x7c00, v11, vcc_lo
	v_cmp_eq_u32_e32 vcc_lo, 0x40f, v12
	s_wait_alu 0xfffd
	v_cndmask_b32_e32 v9, v11, v9, vcc_lo
	s_delay_alu instid0(VALU_DEP_1)
	v_and_or_b32 v9, 0x8000, v10, v9
	global_store_b16 v[7:8], v9, off
.LBB49_18:                              ;   in Loop: Header=BB49_3 Depth=1
	s_wait_alu 0xfffe
	s_and_not1_b32 vcc_lo, exec_lo, s0
	s_wait_alu 0xfffe
	s_cbranch_vccnz .LBB49_2
; %bb.19:                               ;   in Loop: Header=BB49_3 Depth=1
	v_and_or_b32 v1, 0x1ff, v2, v1
	v_lshrrev_b32_e32 v7, 8, v2
	v_bfe_u32 v8, v2, 20, 11
	v_lshrrev_b32_e32 v2, 16, v2
	s_delay_alu instid0(VALU_DEP_4) | instskip(NEXT) | instid1(VALU_DEP_3)
	v_cmp_ne_u32_e32 vcc_lo, 0, v1
	v_sub_nc_u32_e32 v9, 0x3f1, v8
	s_wait_alu 0xfffd
	v_cndmask_b32_e64 v1, 0, 1, vcc_lo
	s_delay_alu instid0(VALU_DEP_1) | instskip(NEXT) | instid1(VALU_DEP_3)
	v_and_or_b32 v1, 0xffe, v7, v1
	v_med3_i32 v7, v9, 0, 13
	s_delay_alu instid0(VALU_DEP_2) | instskip(NEXT) | instid1(VALU_DEP_1)
	v_or_b32_e32 v9, 0x1000, v1
	v_lshrrev_b32_e32 v10, v7, v9
	s_delay_alu instid0(VALU_DEP_1) | instskip(NEXT) | instid1(VALU_DEP_1)
	v_lshlrev_b32_e32 v7, v7, v10
	v_cmp_ne_u32_e32 vcc_lo, v7, v9
	s_wait_alu 0xfffd
	v_cndmask_b32_e64 v7, 0, 1, vcc_lo
	s_delay_alu instid0(VALU_DEP_1) | instskip(SKIP_1) | instid1(VALU_DEP_1)
	v_or_b32_e32 v7, v10, v7
	v_add_nc_u32_e32 v8, 0xfffffc10, v8
	v_lshl_or_b32 v9, v8, 12, v1
	v_cmp_gt_i32_e32 vcc_lo, 1, v8
	s_wait_alu 0xfffd
	s_delay_alu instid0(VALU_DEP_2) | instskip(NEXT) | instid1(VALU_DEP_1)
	v_cndmask_b32_e32 v7, v9, v7, vcc_lo
	v_and_b32_e32 v9, 7, v7
	v_lshrrev_b32_e32 v7, 2, v7
	s_delay_alu instid0(VALU_DEP_2)
	v_cmp_lt_i32_e32 vcc_lo, 5, v9
	s_wait_alu 0xfffd
	v_cndmask_b32_e64 v10, 0, 1, vcc_lo
	v_cmp_eq_u32_e32 vcc_lo, 3, v9
	s_wait_alu 0xfffd
	v_cndmask_b32_e64 v9, 0, 1, vcc_lo
	v_cmp_ne_u32_e32 vcc_lo, 0, v1
	s_delay_alu instid0(VALU_DEP_2) | instskip(SKIP_3) | instid1(VALU_DEP_3)
	v_or_b32_e32 v9, v9, v10
	s_wait_alu 0xfffd
	v_cndmask_b32_e32 v1, 0x7c00, v6, vcc_lo
	v_cmp_gt_i32_e32 vcc_lo, 31, v8
	v_add_nc_u32_e32 v7, v7, v9
	s_wait_alu 0xfffd
	s_delay_alu instid0(VALU_DEP_1) | instskip(SKIP_2) | instid1(VALU_DEP_2)
	v_cndmask_b32_e32 v7, 0x7c00, v7, vcc_lo
	v_cmp_eq_u32_e32 vcc_lo, 0x40f, v8
	s_wait_alu 0xfffd
	v_cndmask_b32_e32 v1, v7, v1, vcc_lo
	s_delay_alu instid0(VALU_DEP_1)
	v_and_or_b32 v7, 0x8000, v2, v1
	v_add_co_u32 v1, vcc_lo, s34, v3
	s_wait_alu 0xfffd
	v_add_co_ci_u32_e64 v2, null, s35, v4, vcc_lo
	global_store_b16 v[1:2], v7, off
	s_branch .LBB49_2
.LBB49_20:
	s_endpgm
	.section	.rodata,"a",@progbits
	.p2align	6, 0x0
	.amdhsa_kernel naive_conv_ab_nonpacked_wrw_nchw_half_double_half_0
		.amdhsa_group_segment_fixed_size 0
		.amdhsa_private_segment_fixed_size 0
		.amdhsa_kernarg_size 480
		.amdhsa_user_sgpr_count 2
		.amdhsa_user_sgpr_dispatch_ptr 0
		.amdhsa_user_sgpr_queue_ptr 0
		.amdhsa_user_sgpr_kernarg_segment_ptr 1
		.amdhsa_user_sgpr_dispatch_id 0
		.amdhsa_user_sgpr_private_segment_size 0
		.amdhsa_wavefront_size32 1
		.amdhsa_uses_dynamic_stack 0
		.amdhsa_enable_private_segment 0
		.amdhsa_system_sgpr_workgroup_id_x 1
		.amdhsa_system_sgpr_workgroup_id_y 0
		.amdhsa_system_sgpr_workgroup_id_z 0
		.amdhsa_system_sgpr_workgroup_info 0
		.amdhsa_system_vgpr_workitem_id 0
		.amdhsa_next_free_vgpr 22
		.amdhsa_next_free_sgpr 71
		.amdhsa_reserve_vcc 1
		.amdhsa_float_round_mode_32 0
		.amdhsa_float_round_mode_16_64 0
		.amdhsa_float_denorm_mode_32 3
		.amdhsa_float_denorm_mode_16_64 3
		.amdhsa_fp16_overflow 0
		.amdhsa_workgroup_processor_mode 1
		.amdhsa_memory_ordered 1
		.amdhsa_forward_progress 1
		.amdhsa_inst_pref_size 19
		.amdhsa_round_robin_scheduling 0
		.amdhsa_exception_fp_ieee_invalid_op 0
		.amdhsa_exception_fp_denorm_src 0
		.amdhsa_exception_fp_ieee_div_zero 0
		.amdhsa_exception_fp_ieee_overflow 0
		.amdhsa_exception_fp_ieee_underflow 0
		.amdhsa_exception_fp_ieee_inexact 0
		.amdhsa_exception_int_div_zero 0
	.end_amdhsa_kernel
	.text
.Lfunc_end49:
	.size	naive_conv_ab_nonpacked_wrw_nchw_half_double_half_0, .Lfunc_end49-naive_conv_ab_nonpacked_wrw_nchw_half_double_half_0
                                        ; -- End function
	.set naive_conv_ab_nonpacked_wrw_nchw_half_double_half_0.num_vgpr, 22
	.set naive_conv_ab_nonpacked_wrw_nchw_half_double_half_0.num_agpr, 0
	.set naive_conv_ab_nonpacked_wrw_nchw_half_double_half_0.numbered_sgpr, 71
	.set naive_conv_ab_nonpacked_wrw_nchw_half_double_half_0.num_named_barrier, 0
	.set naive_conv_ab_nonpacked_wrw_nchw_half_double_half_0.private_seg_size, 0
	.set naive_conv_ab_nonpacked_wrw_nchw_half_double_half_0.uses_vcc, 1
	.set naive_conv_ab_nonpacked_wrw_nchw_half_double_half_0.uses_flat_scratch, 0
	.set naive_conv_ab_nonpacked_wrw_nchw_half_double_half_0.has_dyn_sized_stack, 0
	.set naive_conv_ab_nonpacked_wrw_nchw_half_double_half_0.has_recursion, 0
	.set naive_conv_ab_nonpacked_wrw_nchw_half_double_half_0.has_indirect_call, 0
	.section	.AMDGPU.csdata,"",@progbits
; Kernel info:
; codeLenInByte = 2316
; TotalNumSgprs: 73
; NumVgprs: 22
; ScratchSize: 0
; MemoryBound: 0
; FloatMode: 240
; IeeeMode: 1
; LDSByteSize: 0 bytes/workgroup (compile time only)
; SGPRBlocks: 0
; VGPRBlocks: 2
; NumSGPRsForWavesPerEU: 73
; NumVGPRsForWavesPerEU: 22
; Occupancy: 16
; WaveLimiterHint : 0
; COMPUTE_PGM_RSRC2:SCRATCH_EN: 0
; COMPUTE_PGM_RSRC2:USER_SGPR: 2
; COMPUTE_PGM_RSRC2:TRAP_HANDLER: 0
; COMPUTE_PGM_RSRC2:TGID_X_EN: 1
; COMPUTE_PGM_RSRC2:TGID_Y_EN: 0
; COMPUTE_PGM_RSRC2:TGID_Z_EN: 0
; COMPUTE_PGM_RSRC2:TIDIG_COMP_CNT: 0
	.text
	.protected	naive_conv_ab_packed_wrw_nchw_ushort_double_ushort_0 ; -- Begin function naive_conv_ab_packed_wrw_nchw_ushort_double_ushort_0
	.globl	naive_conv_ab_packed_wrw_nchw_ushort_double_ushort_0
	.p2align	8
	.type	naive_conv_ab_packed_wrw_nchw_ushort_double_ushort_0,@function
naive_conv_ab_packed_wrw_nchw_ushort_double_ushort_0: ; @naive_conv_ab_packed_wrw_nchw_ushort_double_ushort_0
; %bb.0:
	s_load_b512 s[4:19], s[0:1], 0xa0
	s_mov_b32 s3, exec_lo
	s_wait_kmcnt 0x0
	s_abs_i32 s29, s7
	s_mul_i32 s38, s18, s17
	s_cvt_f32_u32 s2, s29
	s_mul_i32 s33, s38, s8
	s_delay_alu instid0(SALU_CYCLE_2) | instskip(NEXT) | instid1(TRANS32_DEP_1)
	v_rcp_iflag_f32_e32 v1, s2
	v_readfirstlane_b32 s2, v1
	v_cmpx_gt_i32_e64 s33, v0
	s_cbranch_execz .LBB50_20
; %bb.1:
	s_mul_f32 s2, s2, 0x4f7ffffe
	s_sub_co_i32 s3, 0, s29
	s_load_b256 s[20:27], s[0:1], 0x0
	s_ashr_i32 s34, ttmp9, 31
	s_cvt_u32_f32 s28, s2
	s_abs_i32 s2, ttmp9
	s_ashr_i32 s37, s7, 31
	s_mov_b32 s40, s8
	s_mul_i32 s30, s3, s28
	s_mov_b32 s3, 0
	s_mul_hi_u32 s30, s28, s30
	s_wait_alu 0xfffe
	s_mov_b32 s31, s3
	s_add_co_i32 s30, s28, s30
	s_xor_b32 s39, s34, s37
	s_mul_u64 s[30:31], s[2:3], s[30:31]
	s_mov_b32 s28, s4
	s_mul_i32 s35, s31, s29
	s_add_co_i32 s34, s31, 1
	s_sub_co_i32 s2, s2, s35
	s_mov_b32 s30, s5
	s_wait_alu 0xfffe
	s_sub_co_i32 s35, s2, s29
	s_cmp_ge_u32 s2, s29
	s_mov_b32 s36, s7
	s_cselect_b32 s31, s34, s31
	s_cselect_b32 s2, s35, s2
	s_add_co_i32 s35, s31, 1
	s_wait_alu 0xfffe
	s_cmp_ge_u32 s2, s29
	s_mov_b32 s34, s17
	s_cselect_b32 s2, s35, s31
	s_ashr_i32 s29, s4, 31
	s_wait_alu 0xfffe
	s_xor_b32 s2, s2, s39
	s_ashr_i32 s31, s5, 31
	s_wait_alu 0xfffe
	s_sub_co_i32 s42, s2, s39
	s_ashr_i32 s41, s8, 31
	s_mul_u64 s[4:5], s[30:31], s[28:29]
	s_mul_i32 s2, s42, s7
	s_ashr_i32 s35, s17, 31
	s_ashr_i32 s43, s42, 31
	s_mul_u64 s[4:5], s[4:5], s[40:41]
	s_wait_alu 0xfffe
	s_sub_co_i32 s44, ttmp9, s2
	s_mul_u64 s[46:47], s[4:5], s[42:43]
	s_mul_u64 s[36:37], s[42:43], s[36:37]
	;; [unrolled: 1-line block ×3, first 2 shown]
	s_ashr_i32 s5, s18, 31
	s_ashr_i32 s45, s44, 31
	s_mov_b32 s4, s18
	s_wait_kmcnt 0x0
	v_cmp_neq_f64_e64 s2, s[24:25], 1.0
	v_cmp_neq_f64_e64 s39, s[26:27], 0
	s_add_nc_u64 s[42:43], s[36:37], s[44:45]
	s_mul_u64 s[36:37], s[40:41], s[4:5]
	s_lshl_b64 s[40:41], s[46:47], 1
	s_mul_u64 s[36:37], s[36:37], s[42:43]
	s_ashr_i32 s57, s10, 31
	s_lshl_b64 s[50:51], s[36:37], 1
	s_ashr_i32 s37, s9, 31
	s_cmp_lt_i32 s6, 1
	s_mov_b32 s36, s9
	s_cselect_b32 s44, -1, 0
	s_cmp_gt_i32 s9, 0
	s_load_b32 s52, s[0:1], 0xec
	s_cselect_b32 s45, -1, 0
	s_cmp_gt_i32 s10, 0
	s_load_b64 s[0:1], s[0:1], 0x20
	s_cselect_b32 s46, -1, 0
	s_abs_i32 s47, s18
	s_abs_i32 s48, s17
	s_cvt_f32_u32 s18, s47
	s_cvt_f32_u32 s17, s48
	s_abs_i32 s49, s38
	s_add_nc_u64 s[22:23], s[22:23], s[50:51]
	v_rcp_iflag_f32_e32 v1, s18
	v_rcp_iflag_f32_e32 v2, s17
	s_cvt_f32_u32 s9, s49
	s_mul_i32 s50, s19, s8
	s_mov_b32 s56, s10
	s_add_nc_u64 s[20:21], s[20:21], s[40:41]
	s_mul_u64 s[40:41], s[56:57], s[36:37]
	s_mul_i32 s18, s19, s7
	s_ashr_i32 s7, s50, 31
	s_wait_alu 0xfffe
	s_ashr_i32 s19, s18, 31
	v_readfirstlane_b32 s17, v1
	v_rcp_iflag_f32_e32 v1, s9
	v_readfirstlane_b32 s9, v2
	v_mov_b32_e32 v2, 0
	s_wait_kmcnt 0x0
	s_and_b32 s52, s52, 0xffff
	s_mul_f32 s8, s17, 0x4f7ffffe
	s_or_b32 s51, s2, s39
	s_sub_co_i32 s39, 0, s48
	s_ashr_i32 s54, s38, 31
	s_wait_alu 0xfffe
	s_cvt_u32_f32 s2, s8
	s_mul_f32 s8, s9, 0x4f7ffffe
	v_readfirstlane_b32 s17, v1
	s_sub_co_i32 s9, 0, s47
	s_wait_alu 0xfffe
	s_cvt_u32_f32 s8, s8
	s_mul_i32 s9, s9, s2
	s_mul_f32 s17, s17, 0x4f7ffffe
	s_wait_alu 0xfffe
	s_mul_hi_u32 s9, s2, s9
	s_mul_i32 s39, s39, s8
	s_wait_alu 0xfffe
	s_add_co_i32 s53, s2, s9
	s_mul_hi_u32 s2, s8, s39
	s_cvt_u32_f32 s17, s17
	s_wait_alu 0xfffe
	s_add_co_i32 s37, s8, s2
	s_sub_co_i32 s2, 0, s49
	s_mul_u64 s[8:9], s[40:41], s[42:43]
	s_wait_alu 0xfffe
	s_mul_i32 s2, s2, s17
	s_lshl_b64 s[8:9], s[8:9], 1
	s_wait_alu 0xfffe
	s_mul_hi_u32 s2, s17, s2
	s_add_nc_u64 s[8:9], s[0:1], s[8:9]
	s_mul_u64 s[0:1], s[40:41], s[18:19]
	s_wait_alu 0xfffe
	s_add_co_i32 s55, s17, s2
	s_lshl_b64 s[18:19], s[0:1], 1
	s_lshl_b64 s[38:39], s[56:57], 1
	s_sub_co_i32 s2, 0, s16
	s_branch .LBB50_3
.LBB50_2:                               ;   in Loop: Header=BB50_3 Depth=1
	v_add_nc_u32_e32 v0, s52, v0
	s_delay_alu instid0(VALU_DEP_1)
	v_cmp_le_i32_e32 vcc_lo, s33, v0
	s_or_b32 s3, vcc_lo, s3
	s_wait_alu 0xfffe
	s_and_not1_b32 exec_lo, exec_lo, s3
	s_cbranch_execz .LBB50_20
.LBB50_3:                               ; =>This Loop Header: Depth=1
                                        ;     Child Loop BB50_8 Depth 2
                                        ;       Child Loop BB50_11 Depth 3
                                        ;         Child Loop BB50_14 Depth 4
	v_sub_nc_u32_e32 v1, 0, v0
	s_mov_b32 s1, -1
	s_delay_alu instid0(VALU_DEP_1) | instskip(NEXT) | instid1(VALU_DEP_1)
	v_max_i32_e32 v3, v0, v1
	v_mul_hi_u32 v1, v3, s53
	s_delay_alu instid0(VALU_DEP_1) | instskip(NEXT) | instid1(VALU_DEP_1)
	v_mul_lo_u32 v4, v1, s47
	v_sub_nc_u32_e32 v4, v3, v4
	s_delay_alu instid0(VALU_DEP_1) | instskip(SKIP_2) | instid1(VALU_DEP_2)
	v_subrev_nc_u32_e32 v6, s47, v4
	v_cmp_le_u32_e32 vcc_lo, s47, v4
	s_wait_alu 0xfffd
	v_dual_cndmask_b32 v4, v4, v6 :: v_dual_add_nc_u32 v5, 1, v1
	s_delay_alu instid0(VALU_DEP_1) | instskip(SKIP_1) | instid1(VALU_DEP_3)
	v_cndmask_b32_e32 v1, v1, v5, vcc_lo
	v_ashrrev_i32_e32 v5, 31, v0
	v_cmp_le_u32_e32 vcc_lo, s47, v4
	v_mul_hi_u32 v4, v3, s55
	s_delay_alu instid0(VALU_DEP_3) | instskip(SKIP_1) | instid1(VALU_DEP_3)
	v_xor_b32_e32 v7, s5, v5
	v_xor_b32_e32 v5, s54, v5
	v_add_nc_u32_e32 v8, 1, v4
	v_add_nc_u32_e32 v6, 1, v1
	s_wait_alu 0xfffd
	s_delay_alu instid0(VALU_DEP_1) | instskip(NEXT) | instid1(VALU_DEP_1)
	v_cndmask_b32_e32 v1, v1, v6, vcc_lo
	v_xor_b32_e32 v1, v1, v7
	s_delay_alu instid0(VALU_DEP_1) | instskip(SKIP_1) | instid1(VALU_DEP_2)
	v_sub_nc_u32_e32 v1, v1, v7
	v_mul_lo_u32 v7, v4, s49
	v_sub_nc_u32_e32 v6, 0, v1
	s_delay_alu instid0(VALU_DEP_2) | instskip(NEXT) | instid1(VALU_DEP_2)
	v_sub_nc_u32_e32 v3, v3, v7
	v_max_i32_e32 v6, v1, v6
	s_delay_alu instid0(VALU_DEP_2) | instskip(NEXT) | instid1(VALU_DEP_2)
	v_cmp_le_u32_e32 vcc_lo, s49, v3
	v_mul_hi_u32 v7, v6, s37
	s_wait_alu 0xfffd
	v_cndmask_b32_e32 v4, v4, v8, vcc_lo
	v_subrev_nc_u32_e32 v8, s49, v3
	s_delay_alu instid0(VALU_DEP_3) | instskip(NEXT) | instid1(VALU_DEP_2)
	v_mul_lo_u32 v7, v7, s48
	v_cndmask_b32_e32 v3, v3, v8, vcc_lo
	s_delay_alu instid0(VALU_DEP_4) | instskip(NEXT) | instid1(VALU_DEP_2)
	v_add_nc_u32_e32 v8, 1, v4
	v_cmp_le_u32_e32 vcc_lo, s49, v3
	s_delay_alu instid0(VALU_DEP_4) | instskip(SKIP_1) | instid1(VALU_DEP_3)
	v_sub_nc_u32_e32 v6, v6, v7
	s_wait_alu 0xfffd
	v_cndmask_b32_e32 v3, v4, v8, vcc_lo
	s_delay_alu instid0(VALU_DEP_2) | instskip(SKIP_1) | instid1(VALU_DEP_3)
	v_subrev_nc_u32_e32 v4, s48, v6
	v_cmp_le_u32_e32 vcc_lo, s48, v6
	v_xor_b32_e32 v7, v3, v5
	s_wait_alu 0xfffd
	s_delay_alu instid0(VALU_DEP_3) | instskip(SKIP_1) | instid1(VALU_DEP_2)
	v_cndmask_b32_e32 v3, v6, v4, vcc_lo
	s_and_not1_b32 vcc_lo, exec_lo, s44
	v_sub_nc_u32_e32 v5, v7, v5
	s_delay_alu instid0(VALU_DEP_2) | instskip(NEXT) | instid1(VALU_DEP_2)
	v_cmp_le_u32_e64 s0, s48, v3
	v_ashrrev_i32_e32 v6, 31, v5
	s_wait_alu 0xfffe
	s_cbranch_vccnz .LBB50_5
; %bb.4:                                ;   in Loop: Header=BB50_3 Depth=1
	s_mov_b32 s1, 0
.LBB50_5:                               ;   in Loop: Header=BB50_3 Depth=1
	v_subrev_nc_u32_e32 v4, s48, v3
	v_mul_lo_u32 v7, v1, s4
	v_ashrrev_i32_e32 v1, 31, v1
	s_wait_alu 0xfffe
	s_and_not1_b32 vcc_lo, exec_lo, s1
	v_cndmask_b32_e64 v3, v3, v4, s0
	s_delay_alu instid0(VALU_DEP_3) | instskip(NEXT) | instid1(VALU_DEP_2)
	v_sub_nc_u32_e32 v7, v0, v7
	v_xor_b32_e32 v8, v3, v1
	v_mov_b32_e32 v3, 0
	v_mov_b32_e32 v4, 0
	s_delay_alu instid0(VALU_DEP_3)
	v_sub_nc_u32_e32 v8, v8, v1
	s_wait_alu 0xfffe
	s_cbranch_vccnz .LBB50_16
; %bb.6:                                ;   in Loop: Header=BB50_3 Depth=1
	s_delay_alu instid0(VALU_DEP_1)
	v_mul_lo_u32 v12, v8, s13
	v_mad_co_u64_u32 v[9:10], null, v7, s14, s[2:3]
	v_mov_b32_e32 v3, 0
	v_mov_b32_e32 v4, 0
	s_mov_b32 s56, 0
	s_mov_b64 s[16:17], s[8:9]
	s_branch .LBB50_8
.LBB50_7:                               ;   in Loop: Header=BB50_8 Depth=2
	s_add_co_i32 s56, s56, 1
	s_add_nc_u64 s[16:17], s[16:17], s[18:19]
	s_wait_alu 0xfffe
	s_cmp_eq_u32 s56, s6
	s_cbranch_scc1 .LBB50_16
.LBB50_8:                               ;   Parent Loop BB50_3 Depth=1
                                        ; =>  This Loop Header: Depth=2
                                        ;       Child Loop BB50_11 Depth 3
                                        ;         Child Loop BB50_14 Depth 4
	s_and_not1_b32 vcc_lo, exec_lo, s45
	s_wait_alu 0xfffe
	s_cbranch_vccnz .LBB50_7
; %bb.9:                                ;   in Loop: Header=BB50_8 Depth=2
	v_mad_co_u64_u32 v[10:11], null, s56, s50, v[5:6]
	s_mov_b32 s57, 0
	s_mov_b64 s[40:41], s[16:17]
	v_mov_b32_e32 v1, v11
	s_delay_alu instid0(VALU_DEP_1) | instskip(SKIP_2) | instid1(VALU_DEP_3)
	v_mad_co_u64_u32 v[13:14], null, s56, s7, v[1:2]
	v_mul_lo_u32 v1, v10, s29
	v_mad_co_u64_u32 v[10:11], null, v10, s28, 0
	v_mul_lo_u32 v13, v13, s28
	s_delay_alu instid0(VALU_DEP_1)
	v_add3_u32 v11, v11, v1, v13
	s_branch .LBB50_11
.LBB50_10:                              ;   in Loop: Header=BB50_11 Depth=3
	s_add_co_i32 s57, s57, 1
	s_add_nc_u64 s[40:41], s[40:41], s[38:39]
	s_wait_alu 0xfffe
	s_cmp_eq_u32 s57, s36
	s_cbranch_scc1 .LBB50_7
.LBB50_11:                              ;   Parent Loop BB50_3 Depth=1
                                        ;     Parent Loop BB50_8 Depth=2
                                        ; =>    This Loop Header: Depth=3
                                        ;         Child Loop BB50_14 Depth 4
	s_and_not1_b32 vcc_lo, exec_lo, s46
	s_wait_alu 0xfffe
	s_cbranch_vccnz .LBB50_10
; %bb.12:                               ;   in Loop: Header=BB50_11 Depth=3
	s_mul_i32 s0, s57, s11
	s_mov_b64 s[42:43], s[40:41]
	s_wait_alu 0xfffe
	s_sub_co_i32 s0, s0, s15
	s_mov_b32 s58, s10
	s_wait_alu 0xfffe
	v_add_nc_u32_e32 v1, s0, v12
	s_delay_alu instid0(VALU_DEP_1) | instskip(SKIP_3) | instid1(VALU_DEP_3)
	v_add_co_u32 v13, vcc_lo, v10, v1
	s_wait_alu 0xfffd
	v_add_co_ci_u32_e64 v14, null, 0, v11, vcc_lo
	v_cmp_gt_i32_e32 vcc_lo, 0, v1
	v_mul_lo_u32 v16, v13, s31
	v_cmp_le_i32_e64 s0, s28, v1
	s_delay_alu instid0(VALU_DEP_4) | instskip(SKIP_2) | instid1(VALU_DEP_2)
	v_mul_lo_u32 v15, v14, s30
	v_mad_co_u64_u32 v[13:14], null, v13, s30, 0
	v_mov_b32_e32 v1, v9
	v_add3_u32 v14, v14, v16, v15
	s_delay_alu instid0(VALU_DEP_1) | instskip(NEXT) | instid1(VALU_DEP_1)
	v_lshlrev_b64_e32 v[13:14], 1, v[13:14]
	v_add_co_u32 v13, s1, s20, v13
	s_wait_alu 0xf1ff
	s_delay_alu instid0(VALU_DEP_2)
	v_add_co_ci_u32_e64 v14, null, s21, v14, s1
	s_or_b32 s1, vcc_lo, s0
	s_branch .LBB50_14
.LBB50_13:                              ;   in Loop: Header=BB50_14 Depth=4
	s_wait_alu 0xfffe
	s_or_b32 exec_lo, exec_lo, s0
	v_add_nc_u32_e32 v1, s12, v1
	s_add_co_i32 s58, s58, -1
	s_add_nc_u64 s[42:43], s[42:43], 2
	s_wait_alu 0xfffe
	s_cmp_eq_u32 s58, 0
	s_cbranch_scc1 .LBB50_10
.LBB50_14:                              ;   Parent Loop BB50_3 Depth=1
                                        ;     Parent Loop BB50_8 Depth=2
                                        ;       Parent Loop BB50_11 Depth=3
                                        ; =>      This Inner Loop Header: Depth=4
	v_cmp_gt_i32_e32 vcc_lo, 0, v1
	v_cmp_le_i32_e64 s0, s30, v1
	s_or_b32 s0, vcc_lo, s0
	s_wait_alu 0xfffe
	s_nor_b32 s59, s1, s0
	s_wait_alu 0xfffe
	s_and_saveexec_b32 s0, s59
	s_cbranch_execz .LBB50_13
; %bb.15:                               ;   in Loop: Header=BB50_14 Depth=4
	v_lshlrev_b64_e32 v[15:16], 1, v[1:2]
	s_load_u16 s59, s[42:43], 0x0
	s_delay_alu instid0(VALU_DEP_1) | instskip(SKIP_1) | instid1(VALU_DEP_2)
	v_add_co_u32 v15, vcc_lo, v13, v15
	s_wait_alu 0xfffd
	v_add_co_ci_u32_e64 v16, null, v14, v16, vcc_lo
	global_load_u16 v15, v[15:16], off
	s_wait_kmcnt 0x0
	s_lshl_b32 s59, s59, 16
	s_wait_loadcnt 0x0
	v_lshlrev_b32_e32 v17, 16, v15
	s_wait_alu 0xfffe
	v_cvt_f64_f32_e32 v[15:16], s59
	s_delay_alu instid0(VALU_DEP_2) | instskip(NEXT) | instid1(VALU_DEP_1)
	v_cvt_f64_f32_e32 v[17:18], v17
	v_fma_f64 v[3:4], v[17:18], v[15:16], v[3:4]
	s_branch .LBB50_13
.LBB50_16:                              ;   in Loop: Header=BB50_3 Depth=1
	s_delay_alu instid0(VALU_DEP_1)
	v_ashrrev_i32_e32 v9, 31, v8
	v_mul_lo_u32 v1, v5, s35
	v_mul_lo_u32 v10, v6, s34
	s_and_b32 vcc_lo, exec_lo, s51
	s_mov_b32 s0, -1
	v_mad_co_u64_u32 v[5:6], null, v5, s34, v[8:9]
	v_ashrrev_i32_e32 v8, 31, v7
	s_delay_alu instid0(VALU_DEP_2) | instskip(NEXT) | instid1(VALU_DEP_2)
	v_add3_u32 v1, v10, v6, v1
	v_mad_co_u64_u32 v[6:7], null, v5, s4, v[7:8]
	v_mul_lo_u32 v5, v5, s5
	s_delay_alu instid0(VALU_DEP_3) | instskip(NEXT) | instid1(VALU_DEP_1)
	v_mul_lo_u32 v1, v1, s4
	v_add3_u32 v7, v1, v7, v5
	s_delay_alu instid0(VALU_DEP_1)
	v_lshlrev_b64_e32 v[5:6], 1, v[6:7]
	s_wait_alu 0xfffe
	s_cbranch_vccz .LBB50_18
; %bb.17:                               ;   in Loop: Header=BB50_3 Depth=1
	s_delay_alu instid0(VALU_DEP_1) | instskip(SKIP_1) | instid1(VALU_DEP_2)
	v_add_co_u32 v7, vcc_lo, s22, v5
	s_wait_alu 0xfffd
	v_add_co_ci_u32_e64 v8, null, s23, v6, vcc_lo
	global_load_u16 v1, v[7:8], off
	s_wait_loadcnt 0x0
	v_lshlrev_b32_e32 v1, 16, v1
	s_delay_alu instid0(VALU_DEP_1) | instskip(NEXT) | instid1(VALU_DEP_1)
	v_cvt_f64_f32_e32 v[9:10], v1
	v_mul_f64_e32 v[9:10], s[26:27], v[9:10]
	s_delay_alu instid0(VALU_DEP_1) | instskip(NEXT) | instid1(VALU_DEP_1)
	v_fma_f64 v[9:10], s[24:25], v[3:4], v[9:10]
	v_cvt_f32_f64_e32 v1, v[9:10]
	s_delay_alu instid0(VALU_DEP_1) | instskip(SKIP_2) | instid1(VALU_DEP_3)
	v_and_b32_e32 v9, 0x7f800000, v1
	v_and_b32_e32 v10, 0xffff, v1
	v_lshrrev_b32_e32 v1, 16, v1
	v_cmp_eq_u32_e32 vcc_lo, 0x7f800000, v9
	s_delay_alu instid0(VALU_DEP_3) | instskip(SKIP_4) | instid1(VALU_DEP_1)
	v_cmp_ne_u32_e64 s0, 0, v10
	s_and_b32 s0, vcc_lo, s0
	s_wait_alu 0xfffe
	v_cndmask_b32_e64 v9, 0, 1, s0
	s_mov_b32 s0, 0
	v_or_b32_e32 v1, v1, v9
	global_store_b16 v[7:8], v1, off
.LBB50_18:                              ;   in Loop: Header=BB50_3 Depth=1
	s_wait_alu 0xfffe
	s_and_not1_b32 vcc_lo, exec_lo, s0
	s_wait_alu 0xfffe
	s_cbranch_vccnz .LBB50_2
; %bb.19:                               ;   in Loop: Header=BB50_3 Depth=1
	v_cvt_f32_f64_e32 v1, v[3:4]
	s_delay_alu instid0(VALU_DEP_1) | instskip(SKIP_2) | instid1(VALU_DEP_3)
	v_and_b32_e32 v3, 0x7f800000, v1
	v_and_b32_e32 v4, 0xffff, v1
	v_lshrrev_b32_e32 v1, 16, v1
	v_cmp_eq_u32_e32 vcc_lo, 0x7f800000, v3
	s_delay_alu instid0(VALU_DEP_3) | instskip(SKIP_3) | instid1(VALU_DEP_1)
	v_cmp_ne_u32_e64 s0, 0, v4
	s_and_b32 s0, vcc_lo, s0
	s_wait_alu 0xfffe
	v_cndmask_b32_e64 v3, 0, 1, s0
	v_or_b32_e32 v1, v1, v3
	v_add_co_u32 v3, vcc_lo, s22, v5
	s_wait_alu 0xfffd
	v_add_co_ci_u32_e64 v4, null, s23, v6, vcc_lo
	global_store_b16 v[3:4], v1, off
	s_branch .LBB50_2
.LBB50_20:
	s_endpgm
	.section	.rodata,"a",@progbits
	.p2align	6, 0x0
	.amdhsa_kernel naive_conv_ab_packed_wrw_nchw_ushort_double_ushort_0
		.amdhsa_group_segment_fixed_size 0
		.amdhsa_private_segment_fixed_size 0
		.amdhsa_kernarg_size 480
		.amdhsa_user_sgpr_count 2
		.amdhsa_user_sgpr_dispatch_ptr 0
		.amdhsa_user_sgpr_queue_ptr 0
		.amdhsa_user_sgpr_kernarg_segment_ptr 1
		.amdhsa_user_sgpr_dispatch_id 0
		.amdhsa_user_sgpr_private_segment_size 0
		.amdhsa_wavefront_size32 1
		.amdhsa_uses_dynamic_stack 0
		.amdhsa_enable_private_segment 0
		.amdhsa_system_sgpr_workgroup_id_x 1
		.amdhsa_system_sgpr_workgroup_id_y 0
		.amdhsa_system_sgpr_workgroup_id_z 0
		.amdhsa_system_sgpr_workgroup_info 0
		.amdhsa_system_vgpr_workitem_id 0
		.amdhsa_next_free_vgpr 19
		.amdhsa_next_free_sgpr 60
		.amdhsa_reserve_vcc 1
		.amdhsa_float_round_mode_32 0
		.amdhsa_float_round_mode_16_64 0
		.amdhsa_float_denorm_mode_32 3
		.amdhsa_float_denorm_mode_16_64 3
		.amdhsa_fp16_overflow 0
		.amdhsa_workgroup_processor_mode 1
		.amdhsa_memory_ordered 1
		.amdhsa_forward_progress 1
		.amdhsa_inst_pref_size 15
		.amdhsa_round_robin_scheduling 0
		.amdhsa_exception_fp_ieee_invalid_op 0
		.amdhsa_exception_fp_denorm_src 0
		.amdhsa_exception_fp_ieee_div_zero 0
		.amdhsa_exception_fp_ieee_overflow 0
		.amdhsa_exception_fp_ieee_underflow 0
		.amdhsa_exception_fp_ieee_inexact 0
		.amdhsa_exception_int_div_zero 0
	.end_amdhsa_kernel
	.text
.Lfunc_end50:
	.size	naive_conv_ab_packed_wrw_nchw_ushort_double_ushort_0, .Lfunc_end50-naive_conv_ab_packed_wrw_nchw_ushort_double_ushort_0
                                        ; -- End function
	.set naive_conv_ab_packed_wrw_nchw_ushort_double_ushort_0.num_vgpr, 19
	.set naive_conv_ab_packed_wrw_nchw_ushort_double_ushort_0.num_agpr, 0
	.set naive_conv_ab_packed_wrw_nchw_ushort_double_ushort_0.numbered_sgpr, 60
	.set naive_conv_ab_packed_wrw_nchw_ushort_double_ushort_0.num_named_barrier, 0
	.set naive_conv_ab_packed_wrw_nchw_ushort_double_ushort_0.private_seg_size, 0
	.set naive_conv_ab_packed_wrw_nchw_ushort_double_ushort_0.uses_vcc, 1
	.set naive_conv_ab_packed_wrw_nchw_ushort_double_ushort_0.uses_flat_scratch, 0
	.set naive_conv_ab_packed_wrw_nchw_ushort_double_ushort_0.has_dyn_sized_stack, 0
	.set naive_conv_ab_packed_wrw_nchw_ushort_double_ushort_0.has_recursion, 0
	.set naive_conv_ab_packed_wrw_nchw_ushort_double_ushort_0.has_indirect_call, 0
	.section	.AMDGPU.csdata,"",@progbits
; Kernel info:
; codeLenInByte = 1872
; TotalNumSgprs: 62
; NumVgprs: 19
; ScratchSize: 0
; MemoryBound: 0
; FloatMode: 240
; IeeeMode: 1
; LDSByteSize: 0 bytes/workgroup (compile time only)
; SGPRBlocks: 0
; VGPRBlocks: 2
; NumSGPRsForWavesPerEU: 62
; NumVGPRsForWavesPerEU: 19
; Occupancy: 16
; WaveLimiterHint : 0
; COMPUTE_PGM_RSRC2:SCRATCH_EN: 0
; COMPUTE_PGM_RSRC2:USER_SGPR: 2
; COMPUTE_PGM_RSRC2:TRAP_HANDLER: 0
; COMPUTE_PGM_RSRC2:TGID_X_EN: 1
; COMPUTE_PGM_RSRC2:TGID_Y_EN: 0
; COMPUTE_PGM_RSRC2:TGID_Z_EN: 0
; COMPUTE_PGM_RSRC2:TIDIG_COMP_CNT: 0
	.text
	.protected	naive_conv_ab_nonpacked_wrw_nchw_ushort_double_ushort_0 ; -- Begin function naive_conv_ab_nonpacked_wrw_nchw_ushort_double_ushort_0
	.globl	naive_conv_ab_nonpacked_wrw_nchw_ushort_double_ushort_0
	.p2align	8
	.type	naive_conv_ab_nonpacked_wrw_nchw_ushort_double_ushort_0,@function
naive_conv_ab_nonpacked_wrw_nchw_ushort_double_ushort_0: ; @naive_conv_ab_nonpacked_wrw_nchw_ushort_double_ushort_0
; %bb.0:
	s_clause 0x1
	s_load_b256 s[20:27], s[0:1], 0xa0
	s_load_b128 s[28:31], s[0:1], 0xd0
	s_mov_b32 s3, exec_lo
	s_wait_kmcnt 0x0
	s_abs_i32 s33, s23
	s_mul_i32 s65, s30, s29
	s_cvt_f32_u32 s2, s33
	s_mul_i32 s31, s65, s24
	s_delay_alu instid0(SALU_CYCLE_2) | instskip(NEXT) | instid1(TRANS32_DEP_1)
	v_rcp_iflag_f32_e32 v1, s2
	v_readfirstlane_b32 s2, v1
	v_cmpx_gt_i32_e64 s31, v0
	s_cbranch_execz .LBB51_20
; %bb.1:
	s_mul_f32 s2, s2, 0x4f7ffffe
	s_sub_co_i32 s3, 0, s33
	s_load_b256 s[36:43], s[0:1], 0x0
	s_ashr_i32 s24, ttmp9, 31
	s_cvt_u32_f32 s4, s2
	s_abs_i32 s2, ttmp9
	s_clause 0x1
	s_load_b64 s[62:63], s[0:1], 0x20
	s_load_b64 s[68:69], s[0:1], 0x98
	s_mul_i32 s5, s3, s4
	s_mov_b32 s3, 0
	s_mul_hi_u32 s6, s4, s5
	s_wait_alu 0xfffe
	s_mov_b32 s5, s3
	s_add_co_i32 s4, s4, s6
	s_mov_b32 s67, 0
	s_mul_u64 s[34:35], s[2:3], s[4:5]
	s_ashr_i32 s34, s23, 31
	s_mul_i32 s56, s35, s33
	s_clause 0x2
	s_load_b512 s[4:19], s[0:1], 0x28
	s_load_b128 s[52:55], s[0:1], 0x88
	s_load_b256 s[44:51], s[0:1], 0x68
	s_sub_co_i32 s2, s2, s56
	s_xor_b32 s24, s24, s34
	s_add_co_i32 s34, s35, 1
	s_wait_alu 0xfffe
	s_sub_co_i32 s56, s2, s33
	s_cmp_ge_u32 s2, s33
	s_wait_kmcnt 0x0
	v_cmp_neq_f64_e64 s64, s[40:41], 1.0
	s_cselect_b32 s34, s34, s35
	s_cselect_b32 s2, s56, s2
	s_add_co_i32 s35, s34, 1
	s_wait_alu 0xfffe
	s_cmp_ge_u32 s2, s33
	s_cselect_b32 s2, s35, s34
	s_wait_alu 0xfffe
	s_xor_b32 s2, s2, s24
	s_wait_alu 0xfffe
	s_sub_co_i32 s34, s2, s24
	v_cmp_neq_f64_e64 s2, s[42:43], 0
	s_mul_i32 s23, s34, s23
	s_ashr_i32 s35, s34, 31
	s_sub_co_i32 s56, ttmp9, s23
	s_mul_u64 s[46:47], s[46:47], s[34:35]
	s_ashr_i32 s57, s56, 31
	s_mul_u64 s[10:11], s[10:11], s[34:35]
	s_mul_u64 s[34:35], s[54:55], s[34:35]
	s_lshl_b64 s[54:55], s[46:47], 1
	s_mul_u64 s[44:45], s[44:45], s[56:57]
	s_mul_u64 s[46:47], s[52:53], s[56:57]
	s_lshl_b64 s[10:11], s[10:11], 1
	s_lshl_b64 s[34:35], s[34:35], 1
	;; [unrolled: 1-line block ×4, first 2 shown]
	s_cmp_lt_i32 s22, 1
	s_load_b32 s24, s[0:1], 0xec
	s_cselect_b32 s23, -1, 0
	s_cmp_gt_i32 s25, 0
	s_add_nc_u64 s[10:11], s[36:37], s[10:11]
	s_cselect_b32 s33, -1, 0
	s_cmp_gt_i32 s26, 0
	s_add_nc_u64 s[36:37], s[62:63], s[34:35]
	s_cselect_b32 s56, -1, 0
	s_abs_i32 s57, s30
	s_abs_i32 s58, s29
	s_cvt_f32_u32 s44, s57
	s_abs_i32 s59, s65
	s_cvt_f32_u32 s29, s58
	s_cvt_f32_u32 s66, s59
	v_rcp_iflag_f32_e32 v1, s44
	s_load_b128 s[44:47], s[0:1], 0xc0
	v_rcp_iflag_f32_e32 v2, s29
	v_rcp_iflag_f32_e32 v3, s66
	s_add_nc_u64 s[0:1], s[38:39], s[54:55]
	s_add_nc_u64 s[36:37], s[36:37], s[60:61]
	;; [unrolled: 1-line block ×3, first 2 shown]
	s_wait_kmcnt 0x0
	s_and_b32 s60, s24, 0xffff
	s_sub_co_i32 s24, 0, s57
	s_or_b32 s62, s64, s2
	v_readfirstlane_b32 s0, v1
	s_sub_co_i32 s38, 0, s58
	v_readfirstlane_b32 s1, v2
	v_readfirstlane_b32 s29, v3
	s_ashr_i32 s61, s30, 31
	s_mul_f32 s0, s0, 0x4f7ffffe
	s_ashr_i32 s65, s65, 31
	s_mul_f32 s1, s1, 0x4f7ffffe
	s_mul_f32 s2, s29, 0x4f7ffffe
	s_cvt_u32_f32 s0, s0
	s_lshl_b64 s[50:51], s[50:51], 1
	s_cvt_u32_f32 s1, s1
	s_wait_alu 0xfffe
	s_cvt_u32_f32 s2, s2
	s_mul_i32 s24, s24, s0
	s_lshl_b64 s[48:49], s[48:49], 1
	s_mul_hi_u32 s24, s0, s24
	s_mul_i32 s38, s38, s1
	s_add_co_i32 s63, s0, s24
	s_sub_co_i32 s0, 0, s59
	s_mul_hi_u32 s24, s1, s38
	s_wait_alu 0xfffe
	s_mul_i32 s0, s0, s2
	s_add_co_i32 s64, s1, s24
	s_mul_hi_u32 s0, s2, s0
	s_lshl_b64 s[38:39], s[68:69], 1
	s_add_co_i32 s66, s2, s0
	s_sub_co_i32 s24, 0, s28
	s_branch .LBB51_3
.LBB51_2:                               ;   in Loop: Header=BB51_3 Depth=1
	v_add_nc_u32_e32 v0, s60, v0
	s_delay_alu instid0(VALU_DEP_1)
	v_cmp_le_i32_e32 vcc_lo, s31, v0
	s_or_b32 s67, vcc_lo, s67
	s_wait_alu 0xfffe
	s_and_not1_b32 exec_lo, exec_lo, s67
	s_cbranch_execz .LBB51_20
.LBB51_3:                               ; =>This Loop Header: Depth=1
                                        ;     Child Loop BB51_8 Depth 2
                                        ;       Child Loop BB51_11 Depth 3
                                        ;         Child Loop BB51_14 Depth 4
	v_sub_nc_u32_e32 v1, 0, v0
	s_mov_b32 s1, -1
	s_delay_alu instid0(VALU_DEP_1) | instskip(NEXT) | instid1(VALU_DEP_1)
	v_max_i32_e32 v2, v0, v1
	v_mul_hi_u32 v1, v2, s63
	s_delay_alu instid0(VALU_DEP_1) | instskip(SKIP_1) | instid1(VALU_DEP_2)
	v_mul_lo_u32 v3, v1, s57
	v_add_nc_u32_e32 v4, 1, v1
	v_sub_nc_u32_e32 v3, v2, v3
	s_delay_alu instid0(VALU_DEP_1) | instskip(SKIP_3) | instid1(VALU_DEP_3)
	v_subrev_nc_u32_e32 v5, s57, v3
	v_cmp_le_u32_e32 vcc_lo, s57, v3
	s_wait_alu 0xfffd
	v_cndmask_b32_e32 v1, v1, v4, vcc_lo
	v_cndmask_b32_e32 v3, v3, v5, vcc_lo
	v_ashrrev_i32_e32 v4, 31, v0
	s_delay_alu instid0(VALU_DEP_3) | instskip(NEXT) | instid1(VALU_DEP_3)
	v_add_nc_u32_e32 v5, 1, v1
	v_cmp_le_u32_e32 vcc_lo, s57, v3
	s_delay_alu instid0(VALU_DEP_3)
	v_xor_b32_e32 v6, s61, v4
	s_wait_alu 0xfffe
	v_mul_hi_u32 v3, v2, s66
	v_xor_b32_e32 v4, s65, v4
	s_wait_alu 0xfffd
	v_cndmask_b32_e32 v1, v1, v5, vcc_lo
	s_delay_alu instid0(VALU_DEP_3) | instskip(NEXT) | instid1(VALU_DEP_2)
	v_add_nc_u32_e32 v7, 1, v3
	v_xor_b32_e32 v1, v1, v6
	s_delay_alu instid0(VALU_DEP_1) | instskip(SKIP_1) | instid1(VALU_DEP_2)
	v_sub_nc_u32_e32 v1, v1, v6
	v_mul_lo_u32 v6, v3, s59
	v_sub_nc_u32_e32 v5, 0, v1
	s_delay_alu instid0(VALU_DEP_2) | instskip(NEXT) | instid1(VALU_DEP_2)
	v_sub_nc_u32_e32 v2, v2, v6
	v_max_i32_e32 v5, v1, v5
	s_delay_alu instid0(VALU_DEP_2) | instskip(NEXT) | instid1(VALU_DEP_2)
	v_cmp_le_u32_e32 vcc_lo, s59, v2
	v_mul_hi_u32 v6, v5, s64
	s_wait_alu 0xfffd
	v_cndmask_b32_e32 v3, v3, v7, vcc_lo
	v_subrev_nc_u32_e32 v7, s59, v2
	s_delay_alu instid0(VALU_DEP_3) | instskip(NEXT) | instid1(VALU_DEP_2)
	v_mul_lo_u32 v6, v6, s58
	v_cndmask_b32_e32 v2, v2, v7, vcc_lo
	s_delay_alu instid0(VALU_DEP_4) | instskip(NEXT) | instid1(VALU_DEP_2)
	v_add_nc_u32_e32 v7, 1, v3
	v_cmp_le_u32_e32 vcc_lo, s59, v2
	s_delay_alu instid0(VALU_DEP_4) | instskip(SKIP_1) | instid1(VALU_DEP_3)
	v_sub_nc_u32_e32 v5, v5, v6
	s_wait_alu 0xfffd
	v_cndmask_b32_e32 v2, v3, v7, vcc_lo
	s_delay_alu instid0(VALU_DEP_2) | instskip(SKIP_1) | instid1(VALU_DEP_3)
	v_subrev_nc_u32_e32 v3, s58, v5
	v_cmp_le_u32_e32 vcc_lo, s58, v5
	v_xor_b32_e32 v6, v2, v4
	s_wait_alu 0xfffd
	s_delay_alu instid0(VALU_DEP_3) | instskip(SKIP_1) | instid1(VALU_DEP_2)
	v_cndmask_b32_e32 v2, v5, v3, vcc_lo
	s_and_not1_b32 vcc_lo, exec_lo, s23
	v_sub_nc_u32_e32 v5, v6, v4
	s_delay_alu instid0(VALU_DEP_2) | instskip(NEXT) | instid1(VALU_DEP_2)
	v_cmp_le_u32_e64 s0, s58, v2
	v_ashrrev_i32_e32 v6, 31, v5
	s_wait_alu 0xfffe
	s_cbranch_vccnz .LBB51_5
; %bb.4:                                ;   in Loop: Header=BB51_3 Depth=1
	s_mov_b32 s1, 0
.LBB51_5:                               ;   in Loop: Header=BB51_3 Depth=1
	v_subrev_nc_u32_e32 v3, s58, v2
	v_mul_lo_u32 v4, v1, s30
	v_ashrrev_i32_e32 v7, 31, v1
	s_wait_alu 0xfffe
	s_and_not1_b32 vcc_lo, exec_lo, s1
	v_cndmask_b32_e64 v1, v2, v3, s0
	s_delay_alu instid0(VALU_DEP_3) | instskip(NEXT) | instid1(VALU_DEP_2)
	v_sub_nc_u32_e32 v8, v0, v4
	v_xor_b32_e32 v3, v1, v7
	v_mov_b32_e32 v1, 0
	v_mov_b32_e32 v2, 0
	s_delay_alu instid0(VALU_DEP_3)
	v_sub_nc_u32_e32 v7, v3, v7
	s_wait_alu 0xfffe
	s_cbranch_vccnz .LBB51_16
; %bb.6:                                ;   in Loop: Header=BB51_3 Depth=1
	v_mul_lo_u32 v3, s9, v5
	v_mul_lo_u32 v4, s8, v6
	v_mad_co_u64_u32 v[1:2], null, s8, v5, 0
	v_mul_lo_u32 v9, v7, s45
	s_mov_b32 s2, 0
	s_mov_b64 s[28:29], s[36:37]
	s_delay_alu instid0(VALU_DEP_2) | instskip(SKIP_1) | instid1(VALU_DEP_2)
	v_add3_u32 v2, v2, v4, v3
	v_mad_co_u64_u32 v[3:4], null, v8, s46, s[24:25]
	v_lshlrev_b64_e32 v[10:11], 1, v[1:2]
	v_mov_b32_e32 v1, 0
	v_mov_b32_e32 v2, 0
	s_delay_alu instid0(VALU_DEP_3) | instskip(SKIP_1) | instid1(VALU_DEP_4)
	v_add_co_u32 v4, vcc_lo, s10, v10
	s_wait_alu 0xfffd
	v_add_co_ci_u32_e64 v10, null, s11, v11, vcc_lo
	s_branch .LBB51_8
.LBB51_7:                               ;   in Loop: Header=BB51_8 Depth=2
	s_add_co_i32 s2, s2, 1
	s_add_nc_u64 s[28:29], s[28:29], s[38:39]
	s_wait_alu 0xfffe
	s_cmp_eq_u32 s2, s22
	s_cbranch_scc1 .LBB51_16
.LBB51_8:                               ;   Parent Loop BB51_3 Depth=1
                                        ; =>  This Loop Header: Depth=2
                                        ;       Child Loop BB51_11 Depth 3
                                        ;         Child Loop BB51_14 Depth 4
	s_and_not1_b32 vcc_lo, exec_lo, s33
	s_wait_alu 0xfffe
	s_cbranch_vccnz .LBB51_7
; %bb.9:                                ;   in Loop: Header=BB51_8 Depth=2
	s_mul_u64 s[0:1], s[12:13], s[2:3]
	s_mov_b32 s68, 0
	s_wait_alu 0xfffe
	s_lshl_b64 s[0:1], s[0:1], 1
	s_mov_b64 s[52:53], s[28:29]
	s_wait_alu 0xfffe
	v_add_co_u32 v11, vcc_lo, v4, s0
	s_wait_alu 0xfffd
	v_add_co_ci_u32_e64 v12, null, s1, v10, vcc_lo
	s_branch .LBB51_11
.LBB51_10:                              ;   in Loop: Header=BB51_11 Depth=3
	s_add_co_i32 s68, s68, 1
	s_add_nc_u64 s[52:53], s[52:53], s[50:51]
	s_cmp_eq_u32 s68, s25
	s_cbranch_scc1 .LBB51_7
.LBB51_11:                              ;   Parent Loop BB51_3 Depth=1
                                        ;     Parent Loop BB51_8 Depth=2
                                        ; =>    This Loop Header: Depth=3
                                        ;         Child Loop BB51_14 Depth 4
	s_and_not1_b32 vcc_lo, exec_lo, s56
	s_wait_alu 0xfffe
	s_cbranch_vccnz .LBB51_10
; %bb.12:                               ;   in Loop: Header=BB51_11 Depth=3
	s_mul_i32 s0, s68, s27
	s_mov_b64 s[54:55], s[52:53]
	s_wait_alu 0xfffe
	s_sub_co_i32 s0, s0, s47
	s_mov_b32 s69, s26
	s_wait_alu 0xfffe
	v_add_nc_u32_e32 v16, s0, v9
	s_delay_alu instid0(VALU_DEP_1) | instskip(NEXT) | instid1(VALU_DEP_1)
	v_mad_co_u64_u32 v[13:14], null, s6, v16, 0
	v_mad_co_u64_u32 v[14:15], null, s7, v16, v[14:15]
	v_mov_b32_e32 v15, v3
	v_cmp_gt_i32_e32 vcc_lo, 0, v16
	v_cmp_le_i32_e64 s0, s20, v16
	s_delay_alu instid0(VALU_DEP_4) | instskip(NEXT) | instid1(VALU_DEP_1)
	v_lshlrev_b64_e32 v[13:14], 1, v[13:14]
	v_add_co_u32 v13, s1, v11, v13
	s_wait_alu 0xf1ff
	s_delay_alu instid0(VALU_DEP_2)
	v_add_co_ci_u32_e64 v14, null, v12, v14, s1
	s_or_b32 s1, vcc_lo, s0
	s_branch .LBB51_14
.LBB51_13:                              ;   in Loop: Header=BB51_14 Depth=4
	s_wait_alu 0xfffe
	s_or_b32 exec_lo, exec_lo, s0
	v_add_nc_u32_e32 v15, s44, v15
	s_add_co_i32 s69, s69, -1
	s_add_nc_u64 s[54:55], s[54:55], s[48:49]
	s_cmp_eq_u32 s69, 0
	s_cbranch_scc1 .LBB51_10
.LBB51_14:                              ;   Parent Loop BB51_3 Depth=1
                                        ;     Parent Loop BB51_8 Depth=2
                                        ;       Parent Loop BB51_11 Depth=3
                                        ; =>      This Inner Loop Header: Depth=4
	v_cmp_gt_i32_e32 vcc_lo, 0, v15
	v_cmp_le_i32_e64 s0, s21, v15
	s_or_b32 s0, vcc_lo, s0
	s_wait_alu 0xfffe
	s_nor_b32 s70, s1, s0
	s_wait_alu 0xfffe
	s_and_saveexec_b32 s0, s70
	s_cbranch_execz .LBB51_13
; %bb.15:                               ;   in Loop: Header=BB51_14 Depth=4
	v_mad_co_u64_u32 v[16:17], null, s4, v15, 0
	s_load_u16 s70, s[54:55], 0x0
	v_mad_co_u64_u32 v[17:18], null, s5, v15, v[17:18]
	s_delay_alu instid0(VALU_DEP_1) | instskip(SKIP_2) | instid1(VALU_DEP_1)
	v_lshlrev_b64_e32 v[16:17], 1, v[16:17]
	s_wait_kmcnt 0x0
	s_lshl_b32 s70, s70, 16
	v_add_co_u32 v16, vcc_lo, v13, v16
	s_wait_alu 0xfffd
	s_delay_alu instid0(VALU_DEP_2)
	v_add_co_ci_u32_e64 v17, null, v14, v17, vcc_lo
	s_wait_alu 0xfffe
	v_cvt_f64_f32_e32 v[18:19], s70
	global_load_u16 v16, v[16:17], off
	s_wait_loadcnt 0x0
	v_lshlrev_b32_e32 v16, 16, v16
	s_delay_alu instid0(VALU_DEP_1) | instskip(NEXT) | instid1(VALU_DEP_1)
	v_cvt_f64_f32_e32 v[16:17], v16
	v_fma_f64 v[1:2], v[16:17], v[18:19], v[1:2]
	s_branch .LBB51_13
.LBB51_16:                              ;   in Loop: Header=BB51_3 Depth=1
	v_ashrrev_i32_e32 v9, 31, v8
	v_mul_lo_u32 v10, s15, v8
	v_mad_co_u64_u32 v[3:4], null, s14, v8, 0
	s_and_b32 vcc_lo, exec_lo, s62
	v_mul_lo_u32 v8, s14, v9
	v_ashrrev_i32_e32 v9, 31, v7
	s_mov_b32 s0, -1
	s_delay_alu instid0(VALU_DEP_1) | instskip(NEXT) | instid1(VALU_DEP_3)
	v_mul_lo_u32 v9, s16, v9
	v_add3_u32 v4, v4, v8, v10
	v_mul_lo_u32 v8, s17, v7
	s_delay_alu instid0(VALU_DEP_2) | instskip(SKIP_1) | instid1(VALU_DEP_2)
	v_mad_co_u64_u32 v[3:4], null, s16, v7, v[3:4]
	v_mul_lo_u32 v7, v5, s19
	v_add3_u32 v4, v8, v4, v9
	s_delay_alu instid0(VALU_DEP_1) | instskip(SKIP_1) | instid1(VALU_DEP_1)
	v_mad_co_u64_u32 v[3:4], null, v5, s18, v[3:4]
	v_mul_lo_u32 v5, v6, s18
	v_add3_u32 v4, v5, v4, v7
	s_delay_alu instid0(VALU_DEP_1)
	v_lshlrev_b64_e32 v[3:4], 1, v[3:4]
	s_wait_alu 0xfffe
	s_cbranch_vccz .LBB51_18
; %bb.17:                               ;   in Loop: Header=BB51_3 Depth=1
	s_delay_alu instid0(VALU_DEP_1) | instskip(SKIP_1) | instid1(VALU_DEP_2)
	v_add_co_u32 v5, vcc_lo, s34, v3
	s_wait_alu 0xfffd
	v_add_co_ci_u32_e64 v6, null, s35, v4, vcc_lo
	global_load_u16 v7, v[5:6], off
	s_wait_loadcnt 0x0
	v_lshlrev_b32_e32 v7, 16, v7
	s_delay_alu instid0(VALU_DEP_1) | instskip(NEXT) | instid1(VALU_DEP_1)
	v_cvt_f64_f32_e32 v[7:8], v7
	v_mul_f64_e32 v[7:8], s[42:43], v[7:8]
	s_delay_alu instid0(VALU_DEP_1) | instskip(NEXT) | instid1(VALU_DEP_1)
	v_fma_f64 v[7:8], s[40:41], v[1:2], v[7:8]
	v_cvt_f32_f64_e32 v7, v[7:8]
	s_delay_alu instid0(VALU_DEP_1) | instskip(SKIP_2) | instid1(VALU_DEP_3)
	v_and_b32_e32 v8, 0x7f800000, v7
	v_and_b32_e32 v9, 0xffff, v7
	v_lshrrev_b32_e32 v7, 16, v7
	v_cmp_eq_u32_e32 vcc_lo, 0x7f800000, v8
	s_delay_alu instid0(VALU_DEP_3) | instskip(SKIP_4) | instid1(VALU_DEP_1)
	v_cmp_ne_u32_e64 s0, 0, v9
	s_and_b32 s0, vcc_lo, s0
	s_wait_alu 0xfffe
	v_cndmask_b32_e64 v8, 0, 1, s0
	s_mov_b32 s0, 0
	v_or_b32_e32 v7, v7, v8
	global_store_b16 v[5:6], v7, off
.LBB51_18:                              ;   in Loop: Header=BB51_3 Depth=1
	s_wait_alu 0xfffe
	s_and_not1_b32 vcc_lo, exec_lo, s0
	s_wait_alu 0xfffe
	s_cbranch_vccnz .LBB51_2
; %bb.19:                               ;   in Loop: Header=BB51_3 Depth=1
	v_cvt_f32_f64_e32 v1, v[1:2]
	s_delay_alu instid0(VALU_DEP_1) | instskip(SKIP_2) | instid1(VALU_DEP_3)
	v_and_b32_e32 v2, 0x7f800000, v1
	v_and_b32_e32 v5, 0xffff, v1
	v_lshrrev_b32_e32 v1, 16, v1
	v_cmp_eq_u32_e32 vcc_lo, 0x7f800000, v2
	s_delay_alu instid0(VALU_DEP_3) | instskip(SKIP_3) | instid1(VALU_DEP_1)
	v_cmp_ne_u32_e64 s0, 0, v5
	s_and_b32 s0, vcc_lo, s0
	s_wait_alu 0xfffe
	v_cndmask_b32_e64 v2, 0, 1, s0
	v_or_b32_e32 v5, v1, v2
	v_add_co_u32 v1, vcc_lo, s34, v3
	s_wait_alu 0xfffd
	v_add_co_ci_u32_e64 v2, null, s35, v4, vcc_lo
	global_store_b16 v[1:2], v5, off
	s_branch .LBB51_2
.LBB51_20:
	s_endpgm
	.section	.rodata,"a",@progbits
	.p2align	6, 0x0
	.amdhsa_kernel naive_conv_ab_nonpacked_wrw_nchw_ushort_double_ushort_0
		.amdhsa_group_segment_fixed_size 0
		.amdhsa_private_segment_fixed_size 0
		.amdhsa_kernarg_size 480
		.amdhsa_user_sgpr_count 2
		.amdhsa_user_sgpr_dispatch_ptr 0
		.amdhsa_user_sgpr_queue_ptr 0
		.amdhsa_user_sgpr_kernarg_segment_ptr 1
		.amdhsa_user_sgpr_dispatch_id 0
		.amdhsa_user_sgpr_private_segment_size 0
		.amdhsa_wavefront_size32 1
		.amdhsa_uses_dynamic_stack 0
		.amdhsa_enable_private_segment 0
		.amdhsa_system_sgpr_workgroup_id_x 1
		.amdhsa_system_sgpr_workgroup_id_y 0
		.amdhsa_system_sgpr_workgroup_id_z 0
		.amdhsa_system_sgpr_workgroup_info 0
		.amdhsa_system_vgpr_workitem_id 0
		.amdhsa_next_free_vgpr 20
		.amdhsa_next_free_sgpr 71
		.amdhsa_reserve_vcc 1
		.amdhsa_float_round_mode_32 0
		.amdhsa_float_round_mode_16_64 0
		.amdhsa_float_denorm_mode_32 3
		.amdhsa_float_denorm_mode_16_64 3
		.amdhsa_fp16_overflow 0
		.amdhsa_workgroup_processor_mode 1
		.amdhsa_memory_ordered 1
		.amdhsa_forward_progress 1
		.amdhsa_inst_pref_size 15
		.amdhsa_round_robin_scheduling 0
		.amdhsa_exception_fp_ieee_invalid_op 0
		.amdhsa_exception_fp_denorm_src 0
		.amdhsa_exception_fp_ieee_div_zero 0
		.amdhsa_exception_fp_ieee_overflow 0
		.amdhsa_exception_fp_ieee_underflow 0
		.amdhsa_exception_fp_ieee_inexact 0
		.amdhsa_exception_int_div_zero 0
	.end_amdhsa_kernel
	.text
.Lfunc_end51:
	.size	naive_conv_ab_nonpacked_wrw_nchw_ushort_double_ushort_0, .Lfunc_end51-naive_conv_ab_nonpacked_wrw_nchw_ushort_double_ushort_0
                                        ; -- End function
	.set naive_conv_ab_nonpacked_wrw_nchw_ushort_double_ushort_0.num_vgpr, 20
	.set naive_conv_ab_nonpacked_wrw_nchw_ushort_double_ushort_0.num_agpr, 0
	.set naive_conv_ab_nonpacked_wrw_nchw_ushort_double_ushort_0.numbered_sgpr, 71
	.set naive_conv_ab_nonpacked_wrw_nchw_ushort_double_ushort_0.num_named_barrier, 0
	.set naive_conv_ab_nonpacked_wrw_nchw_ushort_double_ushort_0.private_seg_size, 0
	.set naive_conv_ab_nonpacked_wrw_nchw_ushort_double_ushort_0.uses_vcc, 1
	.set naive_conv_ab_nonpacked_wrw_nchw_ushort_double_ushort_0.uses_flat_scratch, 0
	.set naive_conv_ab_nonpacked_wrw_nchw_ushort_double_ushort_0.has_dyn_sized_stack, 0
	.set naive_conv_ab_nonpacked_wrw_nchw_ushort_double_ushort_0.has_recursion, 0
	.set naive_conv_ab_nonpacked_wrw_nchw_ushort_double_ushort_0.has_indirect_call, 0
	.section	.AMDGPU.csdata,"",@progbits
; Kernel info:
; codeLenInByte = 1868
; TotalNumSgprs: 73
; NumVgprs: 20
; ScratchSize: 0
; MemoryBound: 0
; FloatMode: 240
; IeeeMode: 1
; LDSByteSize: 0 bytes/workgroup (compile time only)
; SGPRBlocks: 0
; VGPRBlocks: 2
; NumSGPRsForWavesPerEU: 73
; NumVGPRsForWavesPerEU: 20
; Occupancy: 16
; WaveLimiterHint : 0
; COMPUTE_PGM_RSRC2:SCRATCH_EN: 0
; COMPUTE_PGM_RSRC2:USER_SGPR: 2
; COMPUTE_PGM_RSRC2:TRAP_HANDLER: 0
; COMPUTE_PGM_RSRC2:TGID_X_EN: 1
; COMPUTE_PGM_RSRC2:TGID_Y_EN: 0
; COMPUTE_PGM_RSRC2:TGID_Z_EN: 0
; COMPUTE_PGM_RSRC2:TIDIG_COMP_CNT: 0
	.text
	.protected	naive_conv_ab_packed_wrw_nhwc_float_double_float_0 ; -- Begin function naive_conv_ab_packed_wrw_nhwc_float_double_float_0
	.globl	naive_conv_ab_packed_wrw_nhwc_float_double_float_0
	.p2align	8
	.type	naive_conv_ab_packed_wrw_nhwc_float_double_float_0,@function
naive_conv_ab_packed_wrw_nhwc_float_double_float_0: ; @naive_conv_ab_packed_wrw_nhwc_float_double_float_0
; %bb.0:
	s_load_b512 s[4:19], s[0:1], 0xa0
	s_mov_b32 s3, exec_lo
	s_wait_kmcnt 0x0
	s_abs_i32 s29, s7
	s_mul_i32 s38, s18, s8
	s_cvt_f32_u32 s2, s29
	s_mul_i32 s33, s38, s17
	s_delay_alu instid0(SALU_CYCLE_2) | instskip(NEXT) | instid1(TRANS32_DEP_1)
	v_rcp_iflag_f32_e32 v1, s2
	v_readfirstlane_b32 s2, v1
	v_cmpx_gt_i32_e64 s33, v0
	s_cbranch_execz .LBB52_18
; %bb.1:
	s_mul_f32 s2, s2, 0x4f7ffffe
	s_sub_co_i32 s3, 0, s29
	s_ashr_i32 s37, s7, 31
	s_load_b64 s[34:35], s[0:1], 0x20
	s_cvt_u32_f32 s28, s2
	s_abs_i32 s2, ttmp9
	s_load_b256 s[20:27], s[0:1], 0x0
	s_mov_b32 s36, s7
	s_mul_i32 s30, s3, s28
	s_mov_b32 s3, 0
	s_mul_hi_u32 s30, s28, s30
	s_wait_alu 0xfffe
	s_mov_b32 s31, s3
	s_add_co_i32 s30, s28, s30
	s_mov_b32 s28, s8
	s_mul_u64 s[30:31], s[2:3], s[30:31]
	s_ashr_i32 s30, ttmp9, 31
	s_mul_i32 s39, s31, s29
	s_xor_b32 s42, s30, s37
	s_sub_co_i32 s2, s2, s39
	s_add_co_i32 s30, s31, 1
	s_wait_alu 0xfffe
	s_sub_co_i32 s39, s2, s29
	s_cmp_ge_u32 s2, s29
	s_mov_b32 s40, s17
	s_cselect_b32 s31, s30, s31
	s_cselect_b32 s2, s39, s2
	s_add_co_i32 s39, s31, 1
	s_wait_alu 0xfffe
	s_cmp_ge_u32 s2, s29
	s_mov_b32 s30, s18
	s_cselect_b32 s2, s39, s31
	s_ashr_i32 s29, s8, 31
	s_wait_alu 0xfffe
	s_xor_b32 s2, s2, s42
	s_ashr_i32 s41, s17, 31
	s_wait_alu 0xfffe
	s_sub_co_i32 s42, s2, s42
	s_ashr_i32 s31, s18, 31
	s_mul_i32 s2, s42, s7
	s_ashr_i32 s43, s42, 31
	s_wait_alu 0xfffe
	s_sub_co_i32 s44, ttmp9, s2
	s_mul_u64 s[40:41], s[40:41], s[28:29]
	s_mul_u64 s[36:37], s[42:43], s[36:37]
	s_ashr_i32 s45, s44, 31
	s_mul_u64 s[46:47], s[42:43], s[28:29]
	s_mul_u64 s[40:41], s[40:41], s[30:31]
	s_lshl_b64 s[42:43], s[44:45], 2
	s_add_nc_u64 s[44:45], s[36:37], s[44:45]
	s_lshl_b64 s[46:47], s[46:47], 2
	s_mul_u64 s[40:41], s[40:41], s[44:45]
	s_lshl_b64 s[36:37], s[36:37], 2
	s_lshl_b64 s[40:41], s[40:41], 2
	s_cmp_lt_i32 s6, 1
	s_load_b32 s2, s[0:1], 0xec
	s_cselect_b32 s31, -1, 0
	s_cmp_gt_i32 s9, 0
	s_wait_kmcnt 0x0
	s_add_nc_u64 s[0:1], s[34:35], s[36:37]
	s_cselect_b32 s48, -1, 0
	s_cmp_gt_i32 s10, 0
	s_add_nc_u64 s[34:35], s[0:1], s[42:43]
	s_cselect_b32 s49, -1, 0
	s_abs_i32 s50, s8
	s_mul_i32 s51, s19, s8
	s_cvt_f32_u32 s1, s50
	v_cmp_neq_f64_e64 s8, s[24:25], 1.0
	v_cmp_neq_f64_e64 s17, s[26:27], 0
	s_mul_i32 s0, s19, s7
	v_rcp_iflag_f32_e32 v1, s1
	s_abs_i32 s7, s18
	s_abs_i32 s55, s38
	s_cvt_f32_u32 s1, s7
	s_sub_co_i32 s44, 0, s7
	s_add_nc_u64 s[22:23], s[22:23], s[40:41]
	s_and_b32 s56, s2, 0xffff
	s_wait_alu 0xfffe
	v_rcp_iflag_f32_e32 v2, s1
	s_cvt_f32_u32 s1, s55
	s_ashr_i32 s41, s10, 31
	v_readfirstlane_b32 s39, v1
	s_mov_b32 s40, s10
	s_wait_alu 0xfffe
	v_rcp_iflag_f32_e32 v1, s1
	s_ashr_i32 s1, s0, 31
	s_ashr_i32 s19, s9, 31
	s_mul_f32 s39, s39, 0x4f7ffffe
	s_mov_b32 s18, s9
	v_readfirstlane_b32 s42, v2
	s_wait_alu 0xfffe
	s_mul_u64 s[40:41], s[40:41], s[0:1]
	s_cvt_u32_f32 s2, s39
	s_mul_u64 s[18:19], s[40:41], s[18:19]
	s_add_nc_u64 s[20:21], s[20:21], s[46:47]
	v_readfirstlane_b32 s43, v1
	s_mul_f32 s39, s42, 0x4f7ffffe
	s_sub_co_i32 s42, 0, s50
	s_ashr_i32 s37, s4, 31
	s_wait_alu 0xfffe
	s_mul_i32 s42, s42, s2
	s_mul_f32 s43, s43, 0x4f7ffffe
	s_cvt_u32_f32 s39, s39
	s_mul_hi_u32 s42, s2, s42
	s_mov_b32 s36, s4
	s_add_co_i32 s57, s2, s42
	s_cvt_u32_f32 s42, s43
	s_mul_i32 s44, s44, s39
	s_sub_co_i32 s43, 0, s55
	s_mul_hi_u32 s2, s39, s44
	s_mul_i32 s43, s43, s42
	s_wait_alu 0xfffe
	s_add_co_i32 s58, s39, s2
	s_mul_hi_u32 s2, s42, s43
	s_ashr_i32 s52, s5, 31
	s_mov_b32 s53, s5
	s_ashr_i32 s54, s51, 31
	s_ashr_i32 s59, s38, 31
	s_wait_alu 0xfffe
	s_add_co_i32 s60, s42, s2
	s_lshl_b64 s[18:19], s[18:19], 2
	s_lshl_b64 s[38:39], s[40:41], 2
	s_or_b32 s61, s8, s17
	s_lshl_b64 s[40:41], s[0:1], 2
	s_sub_co_i32 s8, 0, s16
	s_mov_b32 s62, 0
	s_branch .LBB52_3
.LBB52_2:                               ;   in Loop: Header=BB52_3 Depth=1
	s_delay_alu instid0(VALU_DEP_1) | instskip(SKIP_1) | instid1(VALU_DEP_1)
	v_cvt_f32_f64_e32 v3, v[3:4]
	v_add_nc_u32_e32 v0, s56, v0
	v_cmp_le_i32_e32 vcc_lo, s33, v0
	s_or_b32 s62, vcc_lo, s62
	global_store_b32 v[1:2], v3, off
	s_and_not1_b32 exec_lo, exec_lo, s62
	s_cbranch_execz .LBB52_18
.LBB52_3:                               ; =>This Loop Header: Depth=1
                                        ;     Child Loop BB52_8 Depth 2
                                        ;       Child Loop BB52_11 Depth 3
                                        ;         Child Loop BB52_14 Depth 4
	v_sub_nc_u32_e32 v1, 0, v0
	s_mov_b32 s16, -1
	s_delay_alu instid0(VALU_DEP_1) | instskip(NEXT) | instid1(VALU_DEP_1)
	v_max_i32_e32 v1, v0, v1
	v_mul_hi_u32 v2, v1, s57
	s_delay_alu instid0(VALU_DEP_1) | instskip(NEXT) | instid1(VALU_DEP_1)
	v_mul_lo_u32 v3, v2, s50
	v_sub_nc_u32_e32 v4, v1, v3
	s_delay_alu instid0(VALU_DEP_1) | instskip(SKIP_2) | instid1(VALU_DEP_2)
	v_subrev_nc_u32_e32 v5, s50, v4
	v_cmp_le_u32_e32 vcc_lo, s50, v4
	s_wait_alu 0xfffd
	v_dual_cndmask_b32 v4, v4, v5 :: v_dual_add_nc_u32 v3, 1, v2
	s_delay_alu instid0(VALU_DEP_1) | instskip(SKIP_1) | instid1(VALU_DEP_3)
	v_cndmask_b32_e32 v2, v2, v3, vcc_lo
	v_ashrrev_i32_e32 v3, 31, v0
	v_cmp_le_u32_e32 vcc_lo, s50, v4
	s_delay_alu instid0(VALU_DEP_3) | instskip(NEXT) | instid1(VALU_DEP_3)
	v_add_nc_u32_e32 v5, 1, v2
	v_xor_b32_e32 v6, s29, v3
	s_wait_alu 0xfffd
	s_delay_alu instid0(VALU_DEP_2) | instskip(SKIP_1) | instid1(VALU_DEP_2)
	v_cndmask_b32_e32 v2, v2, v5, vcc_lo
	v_mul_hi_u32 v5, v1, s60
	v_xor_b32_e32 v2, v2, v6
	s_delay_alu instid0(VALU_DEP_2) | instskip(NEXT) | instid1(VALU_DEP_2)
	v_mul_lo_u32 v7, v5, s55
	v_sub_nc_u32_e32 v4, v2, v6
	s_delay_alu instid0(VALU_DEP_1) | instskip(NEXT) | instid1(VALU_DEP_3)
	v_sub_nc_u32_e32 v2, 0, v4
	v_sub_nc_u32_e32 v1, v1, v7
	v_mul_lo_u32 v7, v4, s28
	s_delay_alu instid0(VALU_DEP_3) | instskip(NEXT) | instid1(VALU_DEP_3)
	v_max_i32_e32 v2, v4, v2
	v_cmp_le_u32_e64 s0, s55, v1
	s_delay_alu instid0(VALU_DEP_2) | instskip(NEXT) | instid1(VALU_DEP_1)
	v_mul_hi_u32 v6, v2, s58
	v_mul_lo_u32 v6, v6, s7
	s_delay_alu instid0(VALU_DEP_1) | instskip(SKIP_1) | instid1(VALU_DEP_2)
	v_sub_nc_u32_e32 v2, v2, v6
	v_subrev_nc_u32_e32 v6, s55, v1
	v_subrev_nc_u32_e32 v8, s7, v2
	v_cmp_le_u32_e32 vcc_lo, s7, v2
	s_wait_alu 0xf1ff
	s_delay_alu instid0(VALU_DEP_3) | instskip(SKIP_3) | instid1(VALU_DEP_3)
	v_cndmask_b32_e64 v9, v1, v6, s0
	v_sub_nc_u32_e32 v1, v0, v7
	s_wait_alu 0xfffd
	v_cndmask_b32_e32 v6, v2, v8, vcc_lo
	v_cmp_le_u32_e64 s1, s55, v9
	s_delay_alu instid0(VALU_DEP_3)
	v_ashrrev_i32_e32 v2, 31, v1
	s_and_not1_b32 vcc_lo, exec_lo, s31
	v_cmp_le_u32_e64 s2, s7, v6
	s_wait_alu 0xfffe
	s_cbranch_vccnz .LBB52_5
; %bb.4:                                ;   in Loop: Header=BB52_3 Depth=1
	s_mov_b32 s16, 0
.LBB52_5:                               ;   in Loop: Header=BB52_3 Depth=1
	v_add_nc_u32_e32 v7, 1, v5
	v_ashrrev_i32_e32 v4, 31, v4
	s_and_not1_b32 vcc_lo, exec_lo, s16
	s_delay_alu instid0(VALU_DEP_2) | instskip(SKIP_1) | instid1(VALU_DEP_2)
	v_cndmask_b32_e64 v5, v5, v7, s0
	v_subrev_nc_u32_e32 v7, s7, v6
	v_add_nc_u32_e32 v8, 1, v5
	s_wait_alu 0xf1ff
	s_delay_alu instid0(VALU_DEP_2) | instskip(SKIP_1) | instid1(VALU_DEP_3)
	v_cndmask_b32_e64 v6, v6, v7, s2
	v_xor_b32_e32 v7, s59, v3
	v_cndmask_b32_e64 v3, v5, v8, s1
	s_delay_alu instid0(VALU_DEP_3) | instskip(NEXT) | instid1(VALU_DEP_2)
	v_xor_b32_e32 v5, v6, v4
	v_xor_b32_e32 v6, v3, v7
	s_delay_alu instid0(VALU_DEP_2) | instskip(SKIP_2) | instid1(VALU_DEP_4)
	v_sub_nc_u32_e32 v5, v5, v4
	v_mov_b32_e32 v3, 0
	v_mov_b32_e32 v4, 0
	v_sub_nc_u32_e32 v9, v6, v7
	s_wait_alu 0xfffe
	s_cbranch_vccnz .LBB52_16
; %bb.6:                                ;   in Loop: Header=BB52_3 Depth=1
	v_lshlrev_b64_e32 v[11:12], 2, v[1:2]
	s_delay_alu instid0(VALU_DEP_2)
	v_mul_lo_u32 v10, v9, s13
	v_mad_co_u64_u32 v[6:7], null, v5, s14, s[8:9]
	v_mov_b32_e32 v3, 0
	v_mov_b32_e32 v4, 0
	v_add_co_u32 v11, vcc_lo, s20, v11
	s_wait_alu 0xfffd
	v_add_co_ci_u32_e64 v12, null, s21, v12, vcc_lo
	s_mov_b32 s2, 0
	s_mov_b64 s[16:17], s[34:35]
	s_branch .LBB52_8
.LBB52_7:                               ;   in Loop: Header=BB52_8 Depth=2
	s_add_co_i32 s2, s2, 1
	s_add_nc_u64 s[16:17], s[16:17], s[18:19]
	s_wait_alu 0xfffe
	s_cmp_eq_u32 s2, s6
	s_cbranch_scc1 .LBB52_16
.LBB52_8:                               ;   Parent Loop BB52_3 Depth=1
                                        ; =>  This Loop Header: Depth=2
                                        ;       Child Loop BB52_11 Depth 3
                                        ;         Child Loop BB52_14 Depth 4
	s_and_not1_b32 vcc_lo, exec_lo, s48
	s_wait_alu 0xfffe
	s_cbranch_vccnz .LBB52_7
; %bb.9:                                ;   in Loop: Header=BB52_8 Depth=2
	s_mul_u64 s[42:43], s[2:3], s[36:37]
	s_mov_b32 s1, 0
	s_mov_b64 s[44:45], s[16:17]
	s_branch .LBB52_11
.LBB52_10:                              ;   in Loop: Header=BB52_11 Depth=3
	s_add_co_i32 s1, s1, 1
	s_add_nc_u64 s[44:45], s[44:45], s[38:39]
	s_wait_alu 0xfffe
	s_cmp_eq_u32 s1, s9
	s_cbranch_scc1 .LBB52_7
.LBB52_11:                              ;   Parent Loop BB52_3 Depth=1
                                        ;     Parent Loop BB52_8 Depth=2
                                        ; =>    This Loop Header: Depth=3
                                        ;         Child Loop BB52_14 Depth 4
	s_and_not1_b32 vcc_lo, exec_lo, s49
	s_wait_alu 0xfffe
	s_cbranch_vccnz .LBB52_10
; %bb.12:                               ;   in Loop: Header=BB52_11 Depth=3
	s_mul_i32 s0, s1, s11
	s_mov_b64 s[46:47], s[44:45]
	s_wait_alu 0xfffe
	s_sub_co_i32 s0, s0, s15
	s_mov_b32 s64, s10
	s_wait_alu 0xfffe
	v_add_nc_u32_e32 v13, s0, v10
	s_delay_alu instid0(VALU_DEP_1) | instskip(SKIP_3) | instid1(VALU_DEP_3)
	v_add_co_u32 v7, s0, s42, v13
	s_wait_alu 0xf1ff
	v_add_co_ci_u32_e64 v8, null, s43, 0, s0
	v_cmp_gt_i32_e32 vcc_lo, 0, v13
	v_mul_lo_u32 v15, v7, s52
	v_cmp_le_i32_e64 s0, s4, v13
	s_delay_alu instid0(VALU_DEP_4) | instskip(SKIP_2) | instid1(VALU_DEP_4)
	v_mul_lo_u32 v14, v8, s53
	v_mad_co_u64_u32 v[7:8], null, v7, s53, 0
	v_mov_b32_e32 v13, v6
	s_or_b32 s63, vcc_lo, s0
	s_delay_alu instid0(VALU_DEP_2)
	v_add3_u32 v8, v8, v15, v14
	s_branch .LBB52_14
.LBB52_13:                              ;   in Loop: Header=BB52_14 Depth=4
	s_wait_alu 0xfffe
	s_or_b32 exec_lo, exec_lo, s0
	v_add_nc_u32_e32 v13, s12, v13
	s_add_co_i32 s64, s64, -1
	s_add_nc_u64 s[46:47], s[46:47], s[40:41]
	s_wait_alu 0xfffe
	s_cmp_eq_u32 s64, 0
	s_cbranch_scc1 .LBB52_10
.LBB52_14:                              ;   Parent Loop BB52_3 Depth=1
                                        ;     Parent Loop BB52_8 Depth=2
                                        ;       Parent Loop BB52_11 Depth=3
                                        ; =>      This Inner Loop Header: Depth=4
	s_delay_alu instid0(VALU_DEP_2)
	v_cmp_gt_i32_e32 vcc_lo, 0, v13
	v_cmp_le_i32_e64 s0, s5, v13
	s_or_b32 s0, vcc_lo, s0
	s_wait_alu 0xfffe
	s_nor_b32 s65, s63, s0
	s_wait_alu 0xfffe
	s_and_saveexec_b32 s0, s65
	s_cbranch_execz .LBB52_13
; %bb.15:                               ;   in Loop: Header=BB52_14 Depth=4
	v_add_co_u32 v14, vcc_lo, v7, v13
	s_wait_alu 0xfffd
	v_add_co_ci_u32_e64 v15, null, 0, v8, vcc_lo
	s_load_b32 s65, s[46:47], 0x0
	v_mul_lo_u32 v17, v14, s54
	v_mul_lo_u32 v16, v15, s51
	v_mad_co_u64_u32 v[14:15], null, v14, s51, 0
	s_delay_alu instid0(VALU_DEP_1) | instskip(NEXT) | instid1(VALU_DEP_1)
	v_add3_u32 v15, v15, v17, v16
	v_lshlrev_b64_e32 v[14:15], 2, v[14:15]
	s_wait_kmcnt 0x0
	v_cvt_f64_f32_e32 v[16:17], s65
	s_delay_alu instid0(VALU_DEP_2) | instskip(SKIP_1) | instid1(VALU_DEP_3)
	v_add_co_u32 v14, vcc_lo, v11, v14
	s_wait_alu 0xfffd
	v_add_co_ci_u32_e64 v15, null, v12, v15, vcc_lo
	global_load_b32 v14, v[14:15], off
	s_wait_loadcnt 0x0
	v_cvt_f64_f32_e32 v[14:15], v14
	s_delay_alu instid0(VALU_DEP_1)
	v_fma_f64 v[3:4], v[14:15], v[16:17], v[3:4]
	s_branch .LBB52_13
.LBB52_16:                              ;   in Loop: Header=BB52_3 Depth=1
	v_ashrrev_i32_e32 v6, 31, v5
	v_lshlrev_b64_e32 v[1:2], 2, v[1:2]
	s_delay_alu instid0(VALU_DEP_2) | instskip(NEXT) | instid1(VALU_DEP_1)
	v_mad_co_i64_i32 v[5:6], null, v9, s30, v[5:6]
	v_mul_lo_u32 v7, v6, s28
	s_delay_alu instid0(VALU_DEP_2) | instskip(SKIP_1) | instid1(VALU_DEP_1)
	v_mul_lo_u32 v8, v5, s29
	v_mad_co_u64_u32 v[5:6], null, v5, s28, 0
	v_add3_u32 v6, v6, v8, v7
	s_delay_alu instid0(VALU_DEP_1) | instskip(NEXT) | instid1(VALU_DEP_1)
	v_lshlrev_b64_e32 v[5:6], 2, v[5:6]
	v_add_co_u32 v5, vcc_lo, s22, v5
	s_wait_alu 0xfffd
	s_delay_alu instid0(VALU_DEP_2) | instskip(NEXT) | instid1(VALU_DEP_2)
	v_add_co_ci_u32_e64 v6, null, s23, v6, vcc_lo
	v_add_co_u32 v1, vcc_lo, v5, v1
	s_wait_alu 0xfffd
	s_delay_alu instid0(VALU_DEP_2)
	v_add_co_ci_u32_e64 v2, null, v6, v2, vcc_lo
	s_and_not1_b32 vcc_lo, exec_lo, s61
	s_wait_alu 0xfffe
	s_cbranch_vccnz .LBB52_2
; %bb.17:                               ;   in Loop: Header=BB52_3 Depth=1
	global_load_b32 v5, v[1:2], off
	s_wait_loadcnt 0x0
	v_cvt_f64_f32_e32 v[5:6], v5
	s_delay_alu instid0(VALU_DEP_1) | instskip(NEXT) | instid1(VALU_DEP_1)
	v_mul_f64_e32 v[5:6], s[26:27], v[5:6]
	v_fma_f64 v[3:4], s[24:25], v[3:4], v[5:6]
	s_branch .LBB52_2
.LBB52_18:
	s_endpgm
	.section	.rodata,"a",@progbits
	.p2align	6, 0x0
	.amdhsa_kernel naive_conv_ab_packed_wrw_nhwc_float_double_float_0
		.amdhsa_group_segment_fixed_size 0
		.amdhsa_private_segment_fixed_size 0
		.amdhsa_kernarg_size 480
		.amdhsa_user_sgpr_count 2
		.amdhsa_user_sgpr_dispatch_ptr 0
		.amdhsa_user_sgpr_queue_ptr 0
		.amdhsa_user_sgpr_kernarg_segment_ptr 1
		.amdhsa_user_sgpr_dispatch_id 0
		.amdhsa_user_sgpr_private_segment_size 0
		.amdhsa_wavefront_size32 1
		.amdhsa_uses_dynamic_stack 0
		.amdhsa_enable_private_segment 0
		.amdhsa_system_sgpr_workgroup_id_x 1
		.amdhsa_system_sgpr_workgroup_id_y 0
		.amdhsa_system_sgpr_workgroup_id_z 0
		.amdhsa_system_sgpr_workgroup_info 0
		.amdhsa_system_vgpr_workitem_id 0
		.amdhsa_next_free_vgpr 18
		.amdhsa_next_free_sgpr 66
		.amdhsa_reserve_vcc 1
		.amdhsa_float_round_mode_32 0
		.amdhsa_float_round_mode_16_64 0
		.amdhsa_float_denorm_mode_32 3
		.amdhsa_float_denorm_mode_16_64 3
		.amdhsa_fp16_overflow 0
		.amdhsa_workgroup_processor_mode 1
		.amdhsa_memory_ordered 1
		.amdhsa_forward_progress 1
		.amdhsa_inst_pref_size 13
		.amdhsa_round_robin_scheduling 0
		.amdhsa_exception_fp_ieee_invalid_op 0
		.amdhsa_exception_fp_denorm_src 0
		.amdhsa_exception_fp_ieee_div_zero 0
		.amdhsa_exception_fp_ieee_overflow 0
		.amdhsa_exception_fp_ieee_underflow 0
		.amdhsa_exception_fp_ieee_inexact 0
		.amdhsa_exception_int_div_zero 0
	.end_amdhsa_kernel
	.text
.Lfunc_end52:
	.size	naive_conv_ab_packed_wrw_nhwc_float_double_float_0, .Lfunc_end52-naive_conv_ab_packed_wrw_nhwc_float_double_float_0
                                        ; -- End function
	.set naive_conv_ab_packed_wrw_nhwc_float_double_float_0.num_vgpr, 18
	.set naive_conv_ab_packed_wrw_nhwc_float_double_float_0.num_agpr, 0
	.set naive_conv_ab_packed_wrw_nhwc_float_double_float_0.numbered_sgpr, 66
	.set naive_conv_ab_packed_wrw_nhwc_float_double_float_0.num_named_barrier, 0
	.set naive_conv_ab_packed_wrw_nhwc_float_double_float_0.private_seg_size, 0
	.set naive_conv_ab_packed_wrw_nhwc_float_double_float_0.uses_vcc, 1
	.set naive_conv_ab_packed_wrw_nhwc_float_double_float_0.uses_flat_scratch, 0
	.set naive_conv_ab_packed_wrw_nhwc_float_double_float_0.has_dyn_sized_stack, 0
	.set naive_conv_ab_packed_wrw_nhwc_float_double_float_0.has_recursion, 0
	.set naive_conv_ab_packed_wrw_nhwc_float_double_float_0.has_indirect_call, 0
	.section	.AMDGPU.csdata,"",@progbits
; Kernel info:
; codeLenInByte = 1656
; TotalNumSgprs: 68
; NumVgprs: 18
; ScratchSize: 0
; MemoryBound: 0
; FloatMode: 240
; IeeeMode: 1
; LDSByteSize: 0 bytes/workgroup (compile time only)
; SGPRBlocks: 0
; VGPRBlocks: 2
; NumSGPRsForWavesPerEU: 68
; NumVGPRsForWavesPerEU: 18
; Occupancy: 16
; WaveLimiterHint : 0
; COMPUTE_PGM_RSRC2:SCRATCH_EN: 0
; COMPUTE_PGM_RSRC2:USER_SGPR: 2
; COMPUTE_PGM_RSRC2:TRAP_HANDLER: 0
; COMPUTE_PGM_RSRC2:TGID_X_EN: 1
; COMPUTE_PGM_RSRC2:TGID_Y_EN: 0
; COMPUTE_PGM_RSRC2:TGID_Z_EN: 0
; COMPUTE_PGM_RSRC2:TIDIG_COMP_CNT: 0
	.text
	.protected	naive_conv_ab_nonpacked_wrw_nhwc_float_double_float_0 ; -- Begin function naive_conv_ab_nonpacked_wrw_nhwc_float_double_float_0
	.globl	naive_conv_ab_nonpacked_wrw_nhwc_float_double_float_0
	.p2align	8
	.type	naive_conv_ab_nonpacked_wrw_nhwc_float_double_float_0,@function
naive_conv_ab_nonpacked_wrw_nhwc_float_double_float_0: ; @naive_conv_ab_nonpacked_wrw_nhwc_float_double_float_0
; %bb.0:
	s_clause 0x1
	s_load_b256 s[20:27], s[0:1], 0xa0
	s_load_b128 s[52:55], s[0:1], 0xd0
	s_mov_b32 s3, exec_lo
	s_wait_kmcnt 0x0
	s_abs_i32 s28, s23
	s_mul_i32 s55, s54, s24
	s_cvt_f32_u32 s2, s28
	s_mul_i32 s33, s55, s53
	s_delay_alu instid0(SALU_CYCLE_2) | instskip(NEXT) | instid1(TRANS32_DEP_1)
	v_rcp_iflag_f32_e32 v1, s2
	v_readfirstlane_b32 s2, v1
	v_cmpx_gt_i32_e64 s33, v0
	s_cbranch_execz .LBB53_18
; %bb.1:
	s_mul_f32 s2, s2, 0x4f7ffffe
	s_sub_co_i32 s3, 0, s28
	s_ashr_i32 s29, ttmp9, 31
	s_load_b256 s[36:43], s[0:1], 0x0
	s_cvt_u32_f32 s4, s2
	s_abs_i32 s2, ttmp9
	s_load_b64 s[60:61], s[0:1], 0x20
	s_delay_alu instid0(SALU_CYCLE_1)
	s_mul_i32 s5, s3, s4
	s_mov_b32 s3, 0
	s_mul_hi_u32 s6, s4, s5
	s_wait_alu 0xfffe
	s_mov_b32 s5, s3
	s_add_co_i32 s4, s4, s6
	s_delay_alu instid0(SALU_CYCLE_1)
	s_mul_u64 s[30:31], s[2:3], s[4:5]
	s_ashr_i32 s30, s23, 31
	s_mul_i32 s34, s31, s28
	s_clause 0x1
	s_load_b512 s[4:19], s[0:1], 0x28
	s_load_b256 s[44:51], s[0:1], 0x68
	s_sub_co_i32 s2, s2, s34
	s_xor_b32 s29, s29, s30
	s_add_co_i32 s30, s31, 1
	s_wait_alu 0xfffe
	s_sub_co_i32 s34, s2, s28
	s_cmp_ge_u32 s2, s28
	s_cselect_b32 s30, s30, s31
	s_cselect_b32 s2, s34, s2
	s_add_co_i32 s31, s30, 1
	s_wait_alu 0xfffe
	s_cmp_ge_u32 s2, s28
	s_cselect_b32 s2, s31, s30
	s_wait_alu 0xfffe
	s_xor_b32 s2, s2, s29
	s_wait_alu 0xfffe
	s_sub_co_i32 s28, s2, s29
	s_delay_alu instid0(SALU_CYCLE_1)
	s_mul_i32 s2, s28, s23
	s_ashr_i32 s29, s28, 31
	s_wait_alu 0xfffe
	s_sub_co_i32 s30, ttmp9, s2
	s_wait_kmcnt 0x0
	s_mul_u64 s[6:7], s[6:7], s[28:29]
	s_mul_u64 s[34:35], s[46:47], s[28:29]
	;; [unrolled: 1-line block ×3, first 2 shown]
	s_ashr_i32 s31, s30, 31
	s_lshl_b64 s[46:47], s[28:29], 2
	s_mul_u64 s[28:29], s[44:45], s[30:31]
	s_mul_u64 s[30:31], s[48:49], s[30:31]
	s_lshl_b64 s[6:7], s[6:7], 2
	s_lshl_b64 s[34:35], s[34:35], 2
	;; [unrolled: 1-line block ×4, first 2 shown]
	s_cmp_lt_i32 s22, 1
	v_cmp_neq_f64_e64 s48, s[40:41], 1.0
	s_cselect_b32 s23, -1, 0
	s_cmp_gt_i32 s25, 0
	s_clause 0x1
	s_load_b128 s[28:31], s[0:1], 0xc0
	s_load_b32 s2, s[0:1], 0xec
	s_cselect_b32 s49, -1, 0
	s_cmp_gt_i32 s26, 0
	s_clause 0x1
	s_load_b64 s[66:67], s[0:1], 0x98
	s_load_b128 s[68:71], s[0:1], 0x88
	s_cselect_b32 s56, -1, 0
	s_abs_i32 s57, s24
	s_abs_i32 s58, s54
	s_cvt_f32_u32 s53, s57
	s_abs_i32 s59, s55
	s_cvt_f32_u32 s54, s58
	s_cvt_f32_u32 s62, s59
	v_rcp_iflag_f32_e32 v1, s53
	v_cmp_neq_f64_e64 s53, s[42:43], 0
	v_rcp_iflag_f32_e32 v2, s54
	v_rcp_iflag_f32_e32 v3, s62
	s_add_nc_u64 s[0:1], s[38:39], s[34:35]
	s_add_nc_u64 s[6:7], s[36:37], s[6:7]
	;; [unrolled: 1-line block ×4, first 2 shown]
	s_sub_co_i32 s38, 0, s57
	s_wait_kmcnt 0x0
	s_and_b32 s60, s2, 0xffff
	v_readfirstlane_b32 s0, v1
	s_sub_co_i32 s39, 0, s58
	v_readfirstlane_b32 s1, v2
	v_readfirstlane_b32 s2, v3
	s_add_nc_u64 s[36:37], s[36:37], s[50:51]
	s_mul_f32 s0, s0, 0x4f7ffffe
	s_ashr_i32 s61, s24, 31
	s_mul_f32 s1, s1, 0x4f7ffffe
	s_mul_f32 s2, s2, 0x4f7ffffe
	s_cvt_u32_f32 s0, s0
	s_ashr_i32 s64, s55, 31
	s_cvt_u32_f32 s1, s1
	s_wait_alu 0xfffe
	s_cvt_u32_f32 s2, s2
	s_mul_i32 s38, s38, s0
	s_lshl_b64 s[44:45], s[70:71], 2
	s_mul_hi_u32 s38, s0, s38
	s_mul_i32 s39, s39, s1
	s_add_co_i32 s62, s0, s38
	s_sub_co_i32 s0, 0, s59
	s_mul_hi_u32 s38, s1, s39
	s_wait_alu 0xfffe
	s_mul_i32 s0, s0, s2
	s_add_co_i32 s63, s1, s38
	s_mul_hi_u32 s0, s2, s0
	s_lshl_b64 s[38:39], s[66:67], 2
	s_add_co_i32 s65, s2, s0
	s_lshl_b64 s[46:47], s[68:69], 2
	s_mov_b32 s67, 0
	s_or_b32 s66, s48, s53
	s_sub_co_i32 s48, 0, s52
	s_branch .LBB53_3
.LBB53_2:                               ;   in Loop: Header=BB53_3 Depth=1
	s_delay_alu instid0(VALU_DEP_1) | instskip(SKIP_1) | instid1(VALU_DEP_1)
	v_cvt_f32_f64_e32 v1, v[1:2]
	v_add_nc_u32_e32 v0, s60, v0
	v_cmp_le_i32_e32 vcc_lo, s33, v0
	s_or_b32 s67, vcc_lo, s67
	global_store_b32 v[3:4], v1, off
	s_and_not1_b32 exec_lo, exec_lo, s67
	s_cbranch_execz .LBB53_18
.LBB53_3:                               ; =>This Loop Header: Depth=1
                                        ;     Child Loop BB53_8 Depth 2
                                        ;       Child Loop BB53_11 Depth 3
                                        ;         Child Loop BB53_14 Depth 4
	v_sub_nc_u32_e32 v1, 0, v0
	s_mov_b32 s50, -1
	s_delay_alu instid0(VALU_DEP_1) | instskip(NEXT) | instid1(VALU_DEP_1)
	v_max_i32_e32 v4, v0, v1
	v_mul_hi_u32 v1, v4, s62
	s_delay_alu instid0(VALU_DEP_1) | instskip(SKIP_1) | instid1(VALU_DEP_2)
	v_mul_lo_u32 v2, v1, s57
	v_add_nc_u32_e32 v3, 1, v1
	v_sub_nc_u32_e32 v2, v4, v2
	s_delay_alu instid0(VALU_DEP_1) | instskip(SKIP_2) | instid1(VALU_DEP_2)
	v_subrev_nc_u32_e32 v5, s57, v2
	v_cmp_le_u32_e32 vcc_lo, s57, v2
	s_wait_alu 0xfffd
	v_dual_cndmask_b32 v3, v1, v3 :: v_dual_cndmask_b32 v2, v2, v5
	v_ashrrev_i32_e32 v1, 31, v0
	s_delay_alu instid0(VALU_DEP_2) | instskip(NEXT) | instid1(VALU_DEP_3)
	v_add_nc_u32_e32 v5, 1, v3
	v_cmp_le_u32_e32 vcc_lo, s57, v2
	s_delay_alu instid0(VALU_DEP_3) | instskip(SKIP_1) | instid1(VALU_DEP_3)
	v_xor_b32_e32 v6, s61, v1
	s_wait_alu 0xfffd
	v_cndmask_b32_e32 v2, v3, v5, vcc_lo
	s_delay_alu instid0(VALU_DEP_1) | instskip(NEXT) | instid1(VALU_DEP_1)
	v_xor_b32_e32 v2, v2, v6
	v_sub_nc_u32_e32 v2, v2, v6
	s_delay_alu instid0(VALU_DEP_1) | instskip(NEXT) | instid1(VALU_DEP_1)
	v_sub_nc_u32_e32 v3, 0, v2
	v_max_i32_e32 v5, v2, v3
	v_mul_hi_u32 v3, v4, s65
	s_wait_alu 0xfffe
	s_delay_alu instid0(VALU_DEP_2) | instskip(NEXT) | instid1(VALU_DEP_2)
	v_mul_hi_u32 v6, v5, s63
	v_mul_lo_u32 v7, v3, s59
	s_delay_alu instid0(VALU_DEP_2) | instskip(NEXT) | instid1(VALU_DEP_2)
	v_mul_lo_u32 v6, v6, s58
	v_sub_nc_u32_e32 v4, v4, v7
	s_delay_alu instid0(VALU_DEP_2) | instskip(SKIP_1) | instid1(VALU_DEP_3)
	v_sub_nc_u32_e32 v5, v5, v6
	v_mul_lo_u32 v6, v2, s24
	v_subrev_nc_u32_e32 v7, s59, v4
	v_cmp_le_u32_e64 s0, s59, v4
	s_delay_alu instid0(VALU_DEP_4) | instskip(SKIP_2) | instid1(VALU_DEP_3)
	v_subrev_nc_u32_e32 v8, s58, v5
	v_cmp_le_u32_e32 vcc_lo, s58, v5
	s_wait_alu 0xf1ff
	v_cndmask_b32_e64 v7, v4, v7, s0
	s_wait_alu 0xfffd
	v_cndmask_b32_e32 v4, v5, v8, vcc_lo
	v_sub_nc_u32_e32 v5, v0, v6
	s_delay_alu instid0(VALU_DEP_3)
	v_cmp_le_u32_e64 s1, s59, v7
	s_and_not1_b32 vcc_lo, exec_lo, s23
	v_cmp_le_u32_e64 s2, s58, v4
	v_ashrrev_i32_e32 v6, 31, v5
	s_wait_alu 0xfffe
	s_cbranch_vccnz .LBB53_5
; %bb.4:                                ;   in Loop: Header=BB53_3 Depth=1
	s_mov_b32 s50, 0
.LBB53_5:                               ;   in Loop: Header=BB53_3 Depth=1
	v_add_nc_u32_e32 v7, 1, v3
	v_ashrrev_i32_e32 v2, 31, v2
	v_xor_b32_e32 v9, s64, v1
	s_and_not1_b32 vcc_lo, exec_lo, s50
	s_delay_alu instid0(VALU_DEP_3) | instskip(SKIP_1) | instid1(VALU_DEP_2)
	v_cndmask_b32_e64 v3, v3, v7, s0
	v_subrev_nc_u32_e32 v7, s58, v4
	v_add_nc_u32_e32 v8, 1, v3
	s_wait_alu 0xf1ff
	s_delay_alu instid0(VALU_DEP_2) | instskip(NEXT) | instid1(VALU_DEP_2)
	v_cndmask_b32_e64 v4, v4, v7, s2
	v_cndmask_b32_e64 v1, v3, v8, s1
	s_delay_alu instid0(VALU_DEP_2) | instskip(NEXT) | instid1(VALU_DEP_2)
	v_xor_b32_e32 v3, v4, v2
	v_xor_b32_e32 v4, v1, v9
	s_delay_alu instid0(VALU_DEP_2) | instskip(SKIP_2) | instid1(VALU_DEP_4)
	v_sub_nc_u32_e32 v7, v3, v2
	v_mov_b32_e32 v1, 0
	v_mov_b32_e32 v2, 0
	v_sub_nc_u32_e32 v8, v4, v9
	s_wait_alu 0xfffe
	s_cbranch_vccnz .LBB53_16
; %bb.6:                                ;   in Loop: Header=BB53_3 Depth=1
	v_mul_lo_u32 v3, s5, v5
	v_mul_lo_u32 v4, s4, v6
	v_mad_co_u64_u32 v[1:2], null, s4, v5, 0
	v_mul_lo_u32 v9, v8, s29
	s_mov_b32 s2, 0
	s_mov_b64 s[50:51], s[36:37]
	s_delay_alu instid0(VALU_DEP_2) | instskip(SKIP_1) | instid1(VALU_DEP_2)
	v_add3_u32 v2, v2, v4, v3
	v_mad_co_u64_u32 v[3:4], null, v7, s30, s[48:49]
	v_lshlrev_b64_e32 v[10:11], 2, v[1:2]
	v_mov_b32_e32 v1, 0
	v_mov_b32_e32 v2, 0
	s_delay_alu instid0(VALU_DEP_3) | instskip(SKIP_1) | instid1(VALU_DEP_4)
	v_add_co_u32 v4, vcc_lo, s6, v10
	s_wait_alu 0xfffd
	v_add_co_ci_u32_e64 v10, null, s7, v11, vcc_lo
	s_branch .LBB53_8
.LBB53_7:                               ;   in Loop: Header=BB53_8 Depth=2
	s_add_co_i32 s2, s2, 1
	s_add_nc_u64 s[50:51], s[50:51], s[38:39]
	s_wait_alu 0xfffe
	s_cmp_eq_u32 s2, s22
	s_cbranch_scc1 .LBB53_16
.LBB53_8:                               ;   Parent Loop BB53_3 Depth=1
                                        ; =>  This Loop Header: Depth=2
                                        ;       Child Loop BB53_11 Depth 3
                                        ;         Child Loop BB53_14 Depth 4
	s_and_not1_b32 vcc_lo, exec_lo, s49
	s_wait_alu 0xfffe
	s_cbranch_vccnz .LBB53_7
; %bb.9:                                ;   in Loop: Header=BB53_8 Depth=2
	s_mul_u64 s[0:1], s[12:13], s[2:3]
	s_mov_b32 s68, 0
	s_wait_alu 0xfffe
	s_lshl_b64 s[0:1], s[0:1], 2
	s_mov_b64 s[52:53], s[50:51]
	s_wait_alu 0xfffe
	v_add_co_u32 v11, vcc_lo, v4, s0
	s_wait_alu 0xfffd
	v_add_co_ci_u32_e64 v12, null, s1, v10, vcc_lo
	s_branch .LBB53_11
.LBB53_10:                              ;   in Loop: Header=BB53_11 Depth=3
	s_add_co_i32 s68, s68, 1
	s_add_nc_u64 s[52:53], s[52:53], s[44:45]
	s_cmp_eq_u32 s68, s25
	s_cbranch_scc1 .LBB53_7
.LBB53_11:                              ;   Parent Loop BB53_3 Depth=1
                                        ;     Parent Loop BB53_8 Depth=2
                                        ; =>    This Loop Header: Depth=3
                                        ;         Child Loop BB53_14 Depth 4
	s_and_not1_b32 vcc_lo, exec_lo, s56
	s_wait_alu 0xfffe
	s_cbranch_vccnz .LBB53_10
; %bb.12:                               ;   in Loop: Header=BB53_11 Depth=3
	s_mul_i32 s0, s68, s27
	s_mov_b64 s[54:55], s[52:53]
	s_wait_alu 0xfffe
	s_sub_co_i32 s0, s0, s31
	s_mov_b32 s69, s26
	s_wait_alu 0xfffe
	v_add_nc_u32_e32 v16, s0, v9
	s_delay_alu instid0(VALU_DEP_1) | instskip(NEXT) | instid1(VALU_DEP_1)
	v_mad_co_u64_u32 v[13:14], null, s10, v16, 0
	v_mad_co_u64_u32 v[14:15], null, s11, v16, v[14:15]
	v_mov_b32_e32 v15, v3
	v_cmp_gt_i32_e32 vcc_lo, 0, v16
	v_cmp_le_i32_e64 s0, s20, v16
	s_delay_alu instid0(VALU_DEP_4) | instskip(NEXT) | instid1(VALU_DEP_1)
	v_lshlrev_b64_e32 v[13:14], 2, v[13:14]
	v_add_co_u32 v13, s1, v11, v13
	s_wait_alu 0xf1ff
	s_delay_alu instid0(VALU_DEP_2)
	v_add_co_ci_u32_e64 v14, null, v12, v14, s1
	s_or_b32 s1, vcc_lo, s0
	s_branch .LBB53_14
.LBB53_13:                              ;   in Loop: Header=BB53_14 Depth=4
	s_wait_alu 0xfffe
	s_or_b32 exec_lo, exec_lo, s0
	v_add_nc_u32_e32 v15, s28, v15
	s_add_co_i32 s69, s69, -1
	s_add_nc_u64 s[54:55], s[54:55], s[46:47]
	s_cmp_eq_u32 s69, 0
	s_cbranch_scc1 .LBB53_10
.LBB53_14:                              ;   Parent Loop BB53_3 Depth=1
                                        ;     Parent Loop BB53_8 Depth=2
                                        ;       Parent Loop BB53_11 Depth=3
                                        ; =>      This Inner Loop Header: Depth=4
	v_cmp_gt_i32_e32 vcc_lo, 0, v15
	v_cmp_le_i32_e64 s0, s21, v15
	s_or_b32 s0, vcc_lo, s0
	s_wait_alu 0xfffe
	s_nor_b32 s70, s1, s0
	s_wait_alu 0xfffe
	s_and_saveexec_b32 s0, s70
	s_cbranch_execz .LBB53_13
; %bb.15:                               ;   in Loop: Header=BB53_14 Depth=4
	v_mad_co_u64_u32 v[16:17], null, s8, v15, 0
	s_load_b32 s70, s[54:55], 0x0
	v_mad_co_u64_u32 v[17:18], null, s9, v15, v[17:18]
	s_delay_alu instid0(VALU_DEP_1) | instskip(SKIP_2) | instid1(VALU_DEP_2)
	v_lshlrev_b64_e32 v[16:17], 2, v[16:17]
	s_wait_kmcnt 0x0
	v_cvt_f64_f32_e32 v[18:19], s70
	v_add_co_u32 v16, vcc_lo, v13, v16
	s_wait_alu 0xfffd
	s_delay_alu instid0(VALU_DEP_3) | instskip(SKIP_3) | instid1(VALU_DEP_1)
	v_add_co_ci_u32_e64 v17, null, v14, v17, vcc_lo
	global_load_b32 v16, v[16:17], off
	s_wait_loadcnt 0x0
	v_cvt_f64_f32_e32 v[16:17], v16
	v_fma_f64 v[1:2], v[16:17], v[18:19], v[1:2]
	s_branch .LBB53_13
.LBB53_16:                              ;   in Loop: Header=BB53_3 Depth=1
	s_delay_alu instid0(VALU_DEP_1) | instskip(SKIP_3) | instid1(VALU_DEP_4)
	v_ashrrev_i32_e32 v9, 31, v8
	v_mul_lo_u32 v10, s19, v8
	v_mad_co_u64_u32 v[3:4], null, s18, v8, 0
	v_ashrrev_i32_e32 v11, 31, v7
	v_mul_lo_u32 v9, s18, v9
	v_mul_lo_u32 v12, s17, v7
	v_mad_co_u64_u32 v[7:8], null, s16, v7, 0
	s_delay_alu instid0(VALU_DEP_4)
	v_mul_lo_u32 v11, s16, v11
	v_mul_lo_u32 v13, v6, s14
	;; [unrolled: 1-line block ×3, first 2 shown]
	v_mad_co_u64_u32 v[5:6], null, v5, s14, 0
	v_add3_u32 v4, v4, v9, v10
	v_add3_u32 v8, v8, v11, v12
	s_delay_alu instid0(VALU_DEP_2) | instskip(NEXT) | instid1(VALU_DEP_4)
	v_lshlrev_b64_e32 v[3:4], 2, v[3:4]
	v_add3_u32 v6, v6, v14, v13
	s_delay_alu instid0(VALU_DEP_3) | instskip(NEXT) | instid1(VALU_DEP_3)
	v_lshlrev_b64_e32 v[7:8], 2, v[7:8]
	v_add_co_u32 v9, vcc_lo, s34, v3
	s_wait_alu 0xfffd
	s_delay_alu instid0(VALU_DEP_4) | instskip(SKIP_1) | instid1(VALU_DEP_3)
	v_add_co_ci_u32_e64 v10, null, s35, v4, vcc_lo
	v_lshlrev_b64_e32 v[3:4], 2, v[5:6]
	v_add_co_u32 v5, vcc_lo, v9, v7
	s_wait_alu 0xfffd
	s_delay_alu instid0(VALU_DEP_3) | instskip(NEXT) | instid1(VALU_DEP_2)
	v_add_co_ci_u32_e64 v6, null, v10, v8, vcc_lo
	v_add_co_u32 v3, vcc_lo, v5, v3
	s_wait_alu 0xfffd
	s_delay_alu instid0(VALU_DEP_2)
	v_add_co_ci_u32_e64 v4, null, v6, v4, vcc_lo
	s_and_not1_b32 vcc_lo, exec_lo, s66
	s_wait_alu 0xfffe
	s_cbranch_vccnz .LBB53_2
; %bb.17:                               ;   in Loop: Header=BB53_3 Depth=1
	global_load_b32 v5, v[3:4], off
	s_wait_loadcnt 0x0
	v_cvt_f64_f32_e32 v[5:6], v5
	s_delay_alu instid0(VALU_DEP_1) | instskip(NEXT) | instid1(VALU_DEP_1)
	v_mul_f64_e32 v[5:6], s[42:43], v[5:6]
	v_fma_f64 v[1:2], s[40:41], v[1:2], v[5:6]
	s_branch .LBB53_2
.LBB53_18:
	s_endpgm
	.section	.rodata,"a",@progbits
	.p2align	6, 0x0
	.amdhsa_kernel naive_conv_ab_nonpacked_wrw_nhwc_float_double_float_0
		.amdhsa_group_segment_fixed_size 0
		.amdhsa_private_segment_fixed_size 0
		.amdhsa_kernarg_size 480
		.amdhsa_user_sgpr_count 2
		.amdhsa_user_sgpr_dispatch_ptr 0
		.amdhsa_user_sgpr_queue_ptr 0
		.amdhsa_user_sgpr_kernarg_segment_ptr 1
		.amdhsa_user_sgpr_dispatch_id 0
		.amdhsa_user_sgpr_private_segment_size 0
		.amdhsa_wavefront_size32 1
		.amdhsa_uses_dynamic_stack 0
		.amdhsa_enable_private_segment 0
		.amdhsa_system_sgpr_workgroup_id_x 1
		.amdhsa_system_sgpr_workgroup_id_y 0
		.amdhsa_system_sgpr_workgroup_id_z 0
		.amdhsa_system_sgpr_workgroup_info 0
		.amdhsa_system_vgpr_workitem_id 0
		.amdhsa_next_free_vgpr 20
		.amdhsa_next_free_sgpr 72
		.amdhsa_reserve_vcc 1
		.amdhsa_float_round_mode_32 0
		.amdhsa_float_round_mode_16_64 0
		.amdhsa_float_denorm_mode_32 3
		.amdhsa_float_denorm_mode_16_64 3
		.amdhsa_fp16_overflow 0
		.amdhsa_workgroup_processor_mode 1
		.amdhsa_memory_ordered 1
		.amdhsa_forward_progress 1
		.amdhsa_inst_pref_size 14
		.amdhsa_round_robin_scheduling 0
		.amdhsa_exception_fp_ieee_invalid_op 0
		.amdhsa_exception_fp_denorm_src 0
		.amdhsa_exception_fp_ieee_div_zero 0
		.amdhsa_exception_fp_ieee_overflow 0
		.amdhsa_exception_fp_ieee_underflow 0
		.amdhsa_exception_fp_ieee_inexact 0
		.amdhsa_exception_int_div_zero 0
	.end_amdhsa_kernel
	.text
.Lfunc_end53:
	.size	naive_conv_ab_nonpacked_wrw_nhwc_float_double_float_0, .Lfunc_end53-naive_conv_ab_nonpacked_wrw_nhwc_float_double_float_0
                                        ; -- End function
	.set naive_conv_ab_nonpacked_wrw_nhwc_float_double_float_0.num_vgpr, 20
	.set naive_conv_ab_nonpacked_wrw_nhwc_float_double_float_0.num_agpr, 0
	.set naive_conv_ab_nonpacked_wrw_nhwc_float_double_float_0.numbered_sgpr, 72
	.set naive_conv_ab_nonpacked_wrw_nhwc_float_double_float_0.num_named_barrier, 0
	.set naive_conv_ab_nonpacked_wrw_nhwc_float_double_float_0.private_seg_size, 0
	.set naive_conv_ab_nonpacked_wrw_nhwc_float_double_float_0.uses_vcc, 1
	.set naive_conv_ab_nonpacked_wrw_nhwc_float_double_float_0.uses_flat_scratch, 0
	.set naive_conv_ab_nonpacked_wrw_nhwc_float_double_float_0.has_dyn_sized_stack, 0
	.set naive_conv_ab_nonpacked_wrw_nhwc_float_double_float_0.has_recursion, 0
	.set naive_conv_ab_nonpacked_wrw_nhwc_float_double_float_0.has_indirect_call, 0
	.section	.AMDGPU.csdata,"",@progbits
; Kernel info:
; codeLenInByte = 1740
; TotalNumSgprs: 74
; NumVgprs: 20
; ScratchSize: 0
; MemoryBound: 0
; FloatMode: 240
; IeeeMode: 1
; LDSByteSize: 0 bytes/workgroup (compile time only)
; SGPRBlocks: 0
; VGPRBlocks: 2
; NumSGPRsForWavesPerEU: 74
; NumVGPRsForWavesPerEU: 20
; Occupancy: 16
; WaveLimiterHint : 0
; COMPUTE_PGM_RSRC2:SCRATCH_EN: 0
; COMPUTE_PGM_RSRC2:USER_SGPR: 2
; COMPUTE_PGM_RSRC2:TRAP_HANDLER: 0
; COMPUTE_PGM_RSRC2:TGID_X_EN: 1
; COMPUTE_PGM_RSRC2:TGID_Y_EN: 0
; COMPUTE_PGM_RSRC2:TGID_Z_EN: 0
; COMPUTE_PGM_RSRC2:TIDIG_COMP_CNT: 0
	.text
	.protected	naive_conv_ab_packed_wrw_nhwc_float_double_float_1 ; -- Begin function naive_conv_ab_packed_wrw_nhwc_float_double_float_1
	.globl	naive_conv_ab_packed_wrw_nhwc_float_double_float_1
	.p2align	8
	.type	naive_conv_ab_packed_wrw_nhwc_float_double_float_1,@function
naive_conv_ab_packed_wrw_nhwc_float_double_float_1: ; @naive_conv_ab_packed_wrw_nhwc_float_double_float_1
; %bb.0:
	s_load_b512 s[4:19], s[0:1], 0xa0
	s_mov_b32 s3, exec_lo
	s_wait_kmcnt 0x0
	s_abs_i32 s29, s7
	s_mul_i32 s38, s18, s8
	s_cvt_f32_u32 s2, s29
	s_mul_i32 s33, s38, s17
	s_delay_alu instid0(SALU_CYCLE_2) | instskip(NEXT) | instid1(TRANS32_DEP_1)
	v_rcp_iflag_f32_e32 v1, s2
	v_readfirstlane_b32 s2, v1
	v_cmpx_gt_i32_e64 s33, v0
	s_cbranch_execz .LBB54_18
; %bb.1:
	s_mul_f32 s2, s2, 0x4f7ffffe
	s_sub_co_i32 s3, 0, s29
	s_ashr_i32 s37, s7, 31
	s_load_b64 s[34:35], s[0:1], 0x20
	s_cvt_u32_f32 s28, s2
	s_abs_i32 s2, ttmp9
	s_load_b256 s[20:27], s[0:1], 0x0
	s_mov_b32 s36, s7
	s_mul_i32 s30, s3, s28
	s_mov_b32 s3, 0
	s_mul_hi_u32 s30, s28, s30
	s_wait_alu 0xfffe
	s_mov_b32 s31, s3
	s_add_co_i32 s30, s28, s30
	s_mov_b32 s28, s8
	s_mul_u64 s[30:31], s[2:3], s[30:31]
	s_ashr_i32 s30, ttmp9, 31
	s_mul_i32 s39, s31, s29
	s_xor_b32 s42, s30, s37
	s_sub_co_i32 s2, s2, s39
	s_add_co_i32 s30, s31, 1
	s_wait_alu 0xfffe
	s_sub_co_i32 s39, s2, s29
	s_cmp_ge_u32 s2, s29
	s_mov_b32 s40, s17
	s_cselect_b32 s31, s30, s31
	s_cselect_b32 s2, s39, s2
	s_add_co_i32 s39, s31, 1
	s_wait_alu 0xfffe
	s_cmp_ge_u32 s2, s29
	s_mov_b32 s30, s18
	s_cselect_b32 s2, s39, s31
	s_ashr_i32 s29, s8, 31
	s_wait_alu 0xfffe
	s_xor_b32 s2, s2, s42
	s_ashr_i32 s41, s17, 31
	s_wait_alu 0xfffe
	s_sub_co_i32 s42, s2, s42
	s_ashr_i32 s31, s18, 31
	s_mul_i32 s2, s42, s7
	s_ashr_i32 s43, s42, 31
	s_wait_alu 0xfffe
	s_sub_co_i32 s44, ttmp9, s2
	s_mul_u64 s[40:41], s[40:41], s[28:29]
	s_mul_u64 s[36:37], s[42:43], s[36:37]
	s_ashr_i32 s45, s44, 31
	s_mul_u64 s[46:47], s[42:43], s[28:29]
	s_mul_u64 s[40:41], s[40:41], s[30:31]
	s_lshl_b64 s[42:43], s[44:45], 2
	s_add_nc_u64 s[44:45], s[36:37], s[44:45]
	s_lshl_b64 s[46:47], s[46:47], 2
	s_mul_u64 s[40:41], s[40:41], s[44:45]
	s_lshl_b64 s[36:37], s[36:37], 2
	s_lshl_b64 s[40:41], s[40:41], 2
	s_cmp_lt_i32 s6, 1
	s_load_b32 s2, s[0:1], 0xec
	s_cselect_b32 s31, -1, 0
	s_cmp_gt_i32 s9, 0
	s_wait_kmcnt 0x0
	s_add_nc_u64 s[0:1], s[34:35], s[36:37]
	s_cselect_b32 s48, -1, 0
	s_cmp_gt_i32 s10, 0
	s_add_nc_u64 s[34:35], s[0:1], s[42:43]
	s_cselect_b32 s49, -1, 0
	s_abs_i32 s50, s8
	s_mul_i32 s51, s19, s8
	s_cvt_f32_u32 s1, s50
	v_cmp_neq_f64_e64 s8, s[24:25], 1.0
	v_cmp_neq_f64_e64 s17, s[26:27], 0
	s_mul_i32 s0, s19, s7
	v_rcp_iflag_f32_e32 v1, s1
	s_abs_i32 s7, s18
	s_abs_i32 s55, s38
	s_cvt_f32_u32 s1, s7
	s_sub_co_i32 s44, 0, s7
	s_add_nc_u64 s[22:23], s[22:23], s[40:41]
	s_and_b32 s56, s2, 0xffff
	s_wait_alu 0xfffe
	v_rcp_iflag_f32_e32 v2, s1
	s_cvt_f32_u32 s1, s55
	s_ashr_i32 s41, s10, 31
	v_readfirstlane_b32 s39, v1
	s_mov_b32 s40, s10
	s_wait_alu 0xfffe
	v_rcp_iflag_f32_e32 v1, s1
	s_ashr_i32 s1, s0, 31
	s_ashr_i32 s19, s9, 31
	s_mul_f32 s39, s39, 0x4f7ffffe
	s_mov_b32 s18, s9
	v_readfirstlane_b32 s42, v2
	s_wait_alu 0xfffe
	s_mul_u64 s[40:41], s[40:41], s[0:1]
	s_cvt_u32_f32 s2, s39
	s_mul_u64 s[18:19], s[40:41], s[18:19]
	s_add_nc_u64 s[20:21], s[20:21], s[46:47]
	v_readfirstlane_b32 s43, v1
	s_mul_f32 s39, s42, 0x4f7ffffe
	s_sub_co_i32 s42, 0, s50
	s_ashr_i32 s37, s4, 31
	s_wait_alu 0xfffe
	s_mul_i32 s42, s42, s2
	s_mul_f32 s43, s43, 0x4f7ffffe
	s_cvt_u32_f32 s39, s39
	s_mul_hi_u32 s42, s2, s42
	s_mov_b32 s36, s4
	s_add_co_i32 s57, s2, s42
	s_cvt_u32_f32 s42, s43
	s_mul_i32 s44, s44, s39
	s_sub_co_i32 s43, 0, s55
	s_mul_hi_u32 s2, s39, s44
	s_mul_i32 s43, s43, s42
	s_wait_alu 0xfffe
	s_add_co_i32 s58, s39, s2
	s_mul_hi_u32 s2, s42, s43
	s_ashr_i32 s52, s5, 31
	s_mov_b32 s53, s5
	s_ashr_i32 s54, s51, 31
	s_ashr_i32 s59, s38, 31
	s_wait_alu 0xfffe
	s_add_co_i32 s60, s42, s2
	s_lshl_b64 s[18:19], s[18:19], 2
	s_lshl_b64 s[38:39], s[40:41], 2
	s_or_b32 s61, s8, s17
	s_lshl_b64 s[40:41], s[0:1], 2
	s_sub_co_i32 s8, 0, s16
	s_mov_b32 s62, 0
	s_branch .LBB54_3
.LBB54_2:                               ;   in Loop: Header=BB54_3 Depth=1
	s_delay_alu instid0(VALU_DEP_1) | instskip(SKIP_1) | instid1(VALU_DEP_1)
	v_cvt_f32_f64_e32 v3, v[3:4]
	v_add_nc_u32_e32 v0, s56, v0
	v_cmp_le_i32_e32 vcc_lo, s33, v0
	s_or_b32 s62, vcc_lo, s62
	global_store_b32 v[1:2], v3, off
	s_and_not1_b32 exec_lo, exec_lo, s62
	s_cbranch_execz .LBB54_18
.LBB54_3:                               ; =>This Loop Header: Depth=1
                                        ;     Child Loop BB54_8 Depth 2
                                        ;       Child Loop BB54_11 Depth 3
                                        ;         Child Loop BB54_14 Depth 4
	v_sub_nc_u32_e32 v1, 0, v0
	s_mov_b32 s16, -1
	s_delay_alu instid0(VALU_DEP_1) | instskip(NEXT) | instid1(VALU_DEP_1)
	v_max_i32_e32 v1, v0, v1
	v_mul_hi_u32 v2, v1, s57
	s_delay_alu instid0(VALU_DEP_1) | instskip(NEXT) | instid1(VALU_DEP_1)
	v_mul_lo_u32 v3, v2, s50
	v_sub_nc_u32_e32 v4, v1, v3
	s_delay_alu instid0(VALU_DEP_1) | instskip(SKIP_2) | instid1(VALU_DEP_2)
	v_subrev_nc_u32_e32 v5, s50, v4
	v_cmp_le_u32_e32 vcc_lo, s50, v4
	s_wait_alu 0xfffd
	v_dual_cndmask_b32 v4, v4, v5 :: v_dual_add_nc_u32 v3, 1, v2
	s_delay_alu instid0(VALU_DEP_1) | instskip(SKIP_1) | instid1(VALU_DEP_3)
	v_cndmask_b32_e32 v2, v2, v3, vcc_lo
	v_ashrrev_i32_e32 v3, 31, v0
	v_cmp_le_u32_e32 vcc_lo, s50, v4
	s_delay_alu instid0(VALU_DEP_3) | instskip(NEXT) | instid1(VALU_DEP_3)
	v_add_nc_u32_e32 v5, 1, v2
	v_xor_b32_e32 v6, s29, v3
	s_wait_alu 0xfffd
	s_delay_alu instid0(VALU_DEP_2) | instskip(SKIP_1) | instid1(VALU_DEP_2)
	v_cndmask_b32_e32 v2, v2, v5, vcc_lo
	v_mul_hi_u32 v5, v1, s60
	v_xor_b32_e32 v2, v2, v6
	s_delay_alu instid0(VALU_DEP_2) | instskip(NEXT) | instid1(VALU_DEP_2)
	v_mul_lo_u32 v7, v5, s55
	v_sub_nc_u32_e32 v4, v2, v6
	s_delay_alu instid0(VALU_DEP_1) | instskip(NEXT) | instid1(VALU_DEP_3)
	v_sub_nc_u32_e32 v2, 0, v4
	v_sub_nc_u32_e32 v1, v1, v7
	v_mul_lo_u32 v7, v4, s28
	s_delay_alu instid0(VALU_DEP_3) | instskip(NEXT) | instid1(VALU_DEP_3)
	v_max_i32_e32 v2, v4, v2
	v_cmp_le_u32_e64 s0, s55, v1
	s_delay_alu instid0(VALU_DEP_2) | instskip(NEXT) | instid1(VALU_DEP_1)
	v_mul_hi_u32 v6, v2, s58
	v_mul_lo_u32 v6, v6, s7
	s_delay_alu instid0(VALU_DEP_1) | instskip(SKIP_1) | instid1(VALU_DEP_2)
	v_sub_nc_u32_e32 v2, v2, v6
	v_subrev_nc_u32_e32 v6, s55, v1
	v_subrev_nc_u32_e32 v8, s7, v2
	v_cmp_le_u32_e32 vcc_lo, s7, v2
	s_wait_alu 0xf1ff
	s_delay_alu instid0(VALU_DEP_3) | instskip(SKIP_3) | instid1(VALU_DEP_3)
	v_cndmask_b32_e64 v9, v1, v6, s0
	v_sub_nc_u32_e32 v1, v0, v7
	s_wait_alu 0xfffd
	v_cndmask_b32_e32 v6, v2, v8, vcc_lo
	v_cmp_le_u32_e64 s1, s55, v9
	s_delay_alu instid0(VALU_DEP_3)
	v_ashrrev_i32_e32 v2, 31, v1
	s_and_not1_b32 vcc_lo, exec_lo, s31
	v_cmp_le_u32_e64 s2, s7, v6
	s_wait_alu 0xfffe
	s_cbranch_vccnz .LBB54_5
; %bb.4:                                ;   in Loop: Header=BB54_3 Depth=1
	s_mov_b32 s16, 0
.LBB54_5:                               ;   in Loop: Header=BB54_3 Depth=1
	v_add_nc_u32_e32 v7, 1, v5
	v_ashrrev_i32_e32 v4, 31, v4
	s_and_not1_b32 vcc_lo, exec_lo, s16
	s_delay_alu instid0(VALU_DEP_2) | instskip(SKIP_1) | instid1(VALU_DEP_2)
	v_cndmask_b32_e64 v5, v5, v7, s0
	v_subrev_nc_u32_e32 v7, s7, v6
	v_add_nc_u32_e32 v8, 1, v5
	s_wait_alu 0xf1ff
	s_delay_alu instid0(VALU_DEP_2) | instskip(SKIP_1) | instid1(VALU_DEP_3)
	v_cndmask_b32_e64 v6, v6, v7, s2
	v_xor_b32_e32 v7, s59, v3
	v_cndmask_b32_e64 v3, v5, v8, s1
	s_delay_alu instid0(VALU_DEP_3) | instskip(NEXT) | instid1(VALU_DEP_2)
	v_xor_b32_e32 v5, v6, v4
	v_xor_b32_e32 v6, v3, v7
	s_delay_alu instid0(VALU_DEP_2) | instskip(SKIP_2) | instid1(VALU_DEP_4)
	v_sub_nc_u32_e32 v5, v5, v4
	v_mov_b32_e32 v3, 0
	v_mov_b32_e32 v4, 0
	v_sub_nc_u32_e32 v9, v6, v7
	s_wait_alu 0xfffe
	s_cbranch_vccnz .LBB54_16
; %bb.6:                                ;   in Loop: Header=BB54_3 Depth=1
	v_lshlrev_b64_e32 v[11:12], 2, v[1:2]
	s_delay_alu instid0(VALU_DEP_2)
	v_mul_lo_u32 v10, v9, s13
	v_mad_co_u64_u32 v[6:7], null, v5, s14, s[8:9]
	v_mov_b32_e32 v3, 0
	v_mov_b32_e32 v4, 0
	v_add_co_u32 v11, vcc_lo, s20, v11
	s_wait_alu 0xfffd
	v_add_co_ci_u32_e64 v12, null, s21, v12, vcc_lo
	s_mov_b32 s2, 0
	s_mov_b64 s[16:17], s[34:35]
	s_branch .LBB54_8
.LBB54_7:                               ;   in Loop: Header=BB54_8 Depth=2
	s_add_co_i32 s2, s2, 1
	s_add_nc_u64 s[16:17], s[16:17], s[18:19]
	s_wait_alu 0xfffe
	s_cmp_eq_u32 s2, s6
	s_cbranch_scc1 .LBB54_16
.LBB54_8:                               ;   Parent Loop BB54_3 Depth=1
                                        ; =>  This Loop Header: Depth=2
                                        ;       Child Loop BB54_11 Depth 3
                                        ;         Child Loop BB54_14 Depth 4
	s_and_not1_b32 vcc_lo, exec_lo, s48
	s_wait_alu 0xfffe
	s_cbranch_vccnz .LBB54_7
; %bb.9:                                ;   in Loop: Header=BB54_8 Depth=2
	s_mul_u64 s[42:43], s[2:3], s[36:37]
	s_mov_b32 s1, 0
	s_mov_b64 s[44:45], s[16:17]
	s_branch .LBB54_11
.LBB54_10:                              ;   in Loop: Header=BB54_11 Depth=3
	s_add_co_i32 s1, s1, 1
	s_add_nc_u64 s[44:45], s[44:45], s[38:39]
	s_wait_alu 0xfffe
	s_cmp_eq_u32 s1, s9
	s_cbranch_scc1 .LBB54_7
.LBB54_11:                              ;   Parent Loop BB54_3 Depth=1
                                        ;     Parent Loop BB54_8 Depth=2
                                        ; =>    This Loop Header: Depth=3
                                        ;         Child Loop BB54_14 Depth 4
	s_and_not1_b32 vcc_lo, exec_lo, s49
	s_wait_alu 0xfffe
	s_cbranch_vccnz .LBB54_10
; %bb.12:                               ;   in Loop: Header=BB54_11 Depth=3
	s_mul_i32 s0, s1, s11
	s_mov_b64 s[46:47], s[44:45]
	s_wait_alu 0xfffe
	s_sub_co_i32 s0, s0, s15
	s_mov_b32 s64, s10
	s_wait_alu 0xfffe
	v_add_nc_u32_e32 v13, s0, v10
	s_delay_alu instid0(VALU_DEP_1) | instskip(SKIP_3) | instid1(VALU_DEP_3)
	v_add_co_u32 v7, s0, s42, v13
	s_wait_alu 0xf1ff
	v_add_co_ci_u32_e64 v8, null, s43, 0, s0
	v_cmp_gt_i32_e32 vcc_lo, 0, v13
	v_mul_lo_u32 v15, v7, s52
	v_cmp_le_i32_e64 s0, s4, v13
	s_delay_alu instid0(VALU_DEP_4) | instskip(SKIP_2) | instid1(VALU_DEP_4)
	v_mul_lo_u32 v14, v8, s53
	v_mad_co_u64_u32 v[7:8], null, v7, s53, 0
	v_mov_b32_e32 v13, v6
	s_or_b32 s63, vcc_lo, s0
	s_delay_alu instid0(VALU_DEP_2)
	v_add3_u32 v8, v8, v15, v14
	s_branch .LBB54_14
.LBB54_13:                              ;   in Loop: Header=BB54_14 Depth=4
	s_wait_alu 0xfffe
	s_or_b32 exec_lo, exec_lo, s0
	v_add_nc_u32_e32 v13, s12, v13
	s_add_co_i32 s64, s64, -1
	s_add_nc_u64 s[46:47], s[46:47], s[40:41]
	s_wait_alu 0xfffe
	s_cmp_eq_u32 s64, 0
	s_cbranch_scc1 .LBB54_10
.LBB54_14:                              ;   Parent Loop BB54_3 Depth=1
                                        ;     Parent Loop BB54_8 Depth=2
                                        ;       Parent Loop BB54_11 Depth=3
                                        ; =>      This Inner Loop Header: Depth=4
	s_delay_alu instid0(VALU_DEP_2)
	v_cmp_gt_i32_e32 vcc_lo, 0, v13
	v_cmp_le_i32_e64 s0, s5, v13
	s_or_b32 s0, vcc_lo, s0
	s_wait_alu 0xfffe
	s_nor_b32 s65, s63, s0
	s_wait_alu 0xfffe
	s_and_saveexec_b32 s0, s65
	s_cbranch_execz .LBB54_13
; %bb.15:                               ;   in Loop: Header=BB54_14 Depth=4
	v_add_co_u32 v14, vcc_lo, v7, v13
	s_wait_alu 0xfffd
	v_add_co_ci_u32_e64 v15, null, 0, v8, vcc_lo
	s_load_b32 s65, s[46:47], 0x0
	v_mul_lo_u32 v17, v14, s54
	v_mul_lo_u32 v16, v15, s51
	v_mad_co_u64_u32 v[14:15], null, v14, s51, 0
	s_delay_alu instid0(VALU_DEP_1) | instskip(NEXT) | instid1(VALU_DEP_1)
	v_add3_u32 v15, v15, v17, v16
	v_lshlrev_b64_e32 v[14:15], 2, v[14:15]
	s_wait_kmcnt 0x0
	s_and_b32 s65, s65, 0xffffe000
	s_wait_alu 0xfffe
	v_cvt_f64_f32_e32 v[16:17], s65
	s_delay_alu instid0(VALU_DEP_2)
	v_add_co_u32 v14, vcc_lo, v11, v14
	s_wait_alu 0xfffd
	v_add_co_ci_u32_e64 v15, null, v12, v15, vcc_lo
	global_load_b32 v14, v[14:15], off
	s_wait_loadcnt 0x0
	v_and_b32_e32 v14, 0xffffe000, v14
	s_delay_alu instid0(VALU_DEP_1) | instskip(NEXT) | instid1(VALU_DEP_1)
	v_cvt_f64_f32_e32 v[14:15], v14
	v_fma_f64 v[3:4], v[14:15], v[16:17], v[3:4]
	s_branch .LBB54_13
.LBB54_16:                              ;   in Loop: Header=BB54_3 Depth=1
	v_ashrrev_i32_e32 v6, 31, v5
	v_lshlrev_b64_e32 v[1:2], 2, v[1:2]
	s_delay_alu instid0(VALU_DEP_2) | instskip(NEXT) | instid1(VALU_DEP_1)
	v_mad_co_i64_i32 v[5:6], null, v9, s30, v[5:6]
	v_mul_lo_u32 v7, v6, s28
	s_delay_alu instid0(VALU_DEP_2) | instskip(SKIP_1) | instid1(VALU_DEP_1)
	v_mul_lo_u32 v8, v5, s29
	v_mad_co_u64_u32 v[5:6], null, v5, s28, 0
	v_add3_u32 v6, v6, v8, v7
	s_delay_alu instid0(VALU_DEP_1) | instskip(NEXT) | instid1(VALU_DEP_1)
	v_lshlrev_b64_e32 v[5:6], 2, v[5:6]
	v_add_co_u32 v5, vcc_lo, s22, v5
	s_wait_alu 0xfffd
	s_delay_alu instid0(VALU_DEP_2) | instskip(NEXT) | instid1(VALU_DEP_2)
	v_add_co_ci_u32_e64 v6, null, s23, v6, vcc_lo
	v_add_co_u32 v1, vcc_lo, v5, v1
	s_wait_alu 0xfffd
	s_delay_alu instid0(VALU_DEP_2)
	v_add_co_ci_u32_e64 v2, null, v6, v2, vcc_lo
	s_and_not1_b32 vcc_lo, exec_lo, s61
	s_wait_alu 0xfffe
	s_cbranch_vccnz .LBB54_2
; %bb.17:                               ;   in Loop: Header=BB54_3 Depth=1
	global_load_b32 v5, v[1:2], off
	s_wait_loadcnt 0x0
	v_cvt_f64_f32_e32 v[5:6], v5
	s_delay_alu instid0(VALU_DEP_1) | instskip(NEXT) | instid1(VALU_DEP_1)
	v_mul_f64_e32 v[5:6], s[26:27], v[5:6]
	v_fma_f64 v[3:4], s[24:25], v[3:4], v[5:6]
	s_branch .LBB54_2
.LBB54_18:
	s_endpgm
	.section	.rodata,"a",@progbits
	.p2align	6, 0x0
	.amdhsa_kernel naive_conv_ab_packed_wrw_nhwc_float_double_float_1
		.amdhsa_group_segment_fixed_size 0
		.amdhsa_private_segment_fixed_size 0
		.amdhsa_kernarg_size 480
		.amdhsa_user_sgpr_count 2
		.amdhsa_user_sgpr_dispatch_ptr 0
		.amdhsa_user_sgpr_queue_ptr 0
		.amdhsa_user_sgpr_kernarg_segment_ptr 1
		.amdhsa_user_sgpr_dispatch_id 0
		.amdhsa_user_sgpr_private_segment_size 0
		.amdhsa_wavefront_size32 1
		.amdhsa_uses_dynamic_stack 0
		.amdhsa_enable_private_segment 0
		.amdhsa_system_sgpr_workgroup_id_x 1
		.amdhsa_system_sgpr_workgroup_id_y 0
		.amdhsa_system_sgpr_workgroup_id_z 0
		.amdhsa_system_sgpr_workgroup_info 0
		.amdhsa_system_vgpr_workitem_id 0
		.amdhsa_next_free_vgpr 18
		.amdhsa_next_free_sgpr 66
		.amdhsa_reserve_vcc 1
		.amdhsa_float_round_mode_32 0
		.amdhsa_float_round_mode_16_64 0
		.amdhsa_float_denorm_mode_32 3
		.amdhsa_float_denorm_mode_16_64 3
		.amdhsa_fp16_overflow 0
		.amdhsa_workgroup_processor_mode 1
		.amdhsa_memory_ordered 1
		.amdhsa_forward_progress 1
		.amdhsa_inst_pref_size 14
		.amdhsa_round_robin_scheduling 0
		.amdhsa_exception_fp_ieee_invalid_op 0
		.amdhsa_exception_fp_denorm_src 0
		.amdhsa_exception_fp_ieee_div_zero 0
		.amdhsa_exception_fp_ieee_overflow 0
		.amdhsa_exception_fp_ieee_underflow 0
		.amdhsa_exception_fp_ieee_inexact 0
		.amdhsa_exception_int_div_zero 0
	.end_amdhsa_kernel
	.text
.Lfunc_end54:
	.size	naive_conv_ab_packed_wrw_nhwc_float_double_float_1, .Lfunc_end54-naive_conv_ab_packed_wrw_nhwc_float_double_float_1
                                        ; -- End function
	.set naive_conv_ab_packed_wrw_nhwc_float_double_float_1.num_vgpr, 18
	.set naive_conv_ab_packed_wrw_nhwc_float_double_float_1.num_agpr, 0
	.set naive_conv_ab_packed_wrw_nhwc_float_double_float_1.numbered_sgpr, 66
	.set naive_conv_ab_packed_wrw_nhwc_float_double_float_1.num_named_barrier, 0
	.set naive_conv_ab_packed_wrw_nhwc_float_double_float_1.private_seg_size, 0
	.set naive_conv_ab_packed_wrw_nhwc_float_double_float_1.uses_vcc, 1
	.set naive_conv_ab_packed_wrw_nhwc_float_double_float_1.uses_flat_scratch, 0
	.set naive_conv_ab_packed_wrw_nhwc_float_double_float_1.has_dyn_sized_stack, 0
	.set naive_conv_ab_packed_wrw_nhwc_float_double_float_1.has_recursion, 0
	.set naive_conv_ab_packed_wrw_nhwc_float_double_float_1.has_indirect_call, 0
	.section	.AMDGPU.csdata,"",@progbits
; Kernel info:
; codeLenInByte = 1676
; TotalNumSgprs: 68
; NumVgprs: 18
; ScratchSize: 0
; MemoryBound: 0
; FloatMode: 240
; IeeeMode: 1
; LDSByteSize: 0 bytes/workgroup (compile time only)
; SGPRBlocks: 0
; VGPRBlocks: 2
; NumSGPRsForWavesPerEU: 68
; NumVGPRsForWavesPerEU: 18
; Occupancy: 16
; WaveLimiterHint : 0
; COMPUTE_PGM_RSRC2:SCRATCH_EN: 0
; COMPUTE_PGM_RSRC2:USER_SGPR: 2
; COMPUTE_PGM_RSRC2:TRAP_HANDLER: 0
; COMPUTE_PGM_RSRC2:TGID_X_EN: 1
; COMPUTE_PGM_RSRC2:TGID_Y_EN: 0
; COMPUTE_PGM_RSRC2:TGID_Z_EN: 0
; COMPUTE_PGM_RSRC2:TIDIG_COMP_CNT: 0
	.text
	.protected	naive_conv_ab_nonpacked_wrw_nhwc_float_double_float_1 ; -- Begin function naive_conv_ab_nonpacked_wrw_nhwc_float_double_float_1
	.globl	naive_conv_ab_nonpacked_wrw_nhwc_float_double_float_1
	.p2align	8
	.type	naive_conv_ab_nonpacked_wrw_nhwc_float_double_float_1,@function
naive_conv_ab_nonpacked_wrw_nhwc_float_double_float_1: ; @naive_conv_ab_nonpacked_wrw_nhwc_float_double_float_1
; %bb.0:
	s_clause 0x1
	s_load_b256 s[20:27], s[0:1], 0xa0
	s_load_b128 s[52:55], s[0:1], 0xd0
	s_mov_b32 s3, exec_lo
	s_wait_kmcnt 0x0
	s_abs_i32 s28, s23
	s_mul_i32 s55, s54, s24
	s_cvt_f32_u32 s2, s28
	s_mul_i32 s33, s55, s53
	s_delay_alu instid0(SALU_CYCLE_2) | instskip(NEXT) | instid1(TRANS32_DEP_1)
	v_rcp_iflag_f32_e32 v1, s2
	v_readfirstlane_b32 s2, v1
	v_cmpx_gt_i32_e64 s33, v0
	s_cbranch_execz .LBB55_18
; %bb.1:
	s_mul_f32 s2, s2, 0x4f7ffffe
	s_sub_co_i32 s3, 0, s28
	s_ashr_i32 s29, ttmp9, 31
	s_load_b256 s[36:43], s[0:1], 0x0
	s_cvt_u32_f32 s4, s2
	s_abs_i32 s2, ttmp9
	s_load_b64 s[60:61], s[0:1], 0x20
	s_delay_alu instid0(SALU_CYCLE_1)
	s_mul_i32 s5, s3, s4
	s_mov_b32 s3, 0
	s_mul_hi_u32 s6, s4, s5
	s_wait_alu 0xfffe
	s_mov_b32 s5, s3
	s_add_co_i32 s4, s4, s6
	s_delay_alu instid0(SALU_CYCLE_1)
	s_mul_u64 s[30:31], s[2:3], s[4:5]
	s_ashr_i32 s30, s23, 31
	s_mul_i32 s34, s31, s28
	s_clause 0x1
	s_load_b512 s[4:19], s[0:1], 0x28
	s_load_b256 s[44:51], s[0:1], 0x68
	s_sub_co_i32 s2, s2, s34
	s_xor_b32 s29, s29, s30
	s_add_co_i32 s30, s31, 1
	s_wait_alu 0xfffe
	s_sub_co_i32 s34, s2, s28
	s_cmp_ge_u32 s2, s28
	s_cselect_b32 s30, s30, s31
	s_cselect_b32 s2, s34, s2
	s_add_co_i32 s31, s30, 1
	s_wait_alu 0xfffe
	s_cmp_ge_u32 s2, s28
	s_cselect_b32 s2, s31, s30
	s_wait_alu 0xfffe
	s_xor_b32 s2, s2, s29
	s_wait_alu 0xfffe
	s_sub_co_i32 s28, s2, s29
	s_delay_alu instid0(SALU_CYCLE_1)
	s_mul_i32 s2, s28, s23
	s_ashr_i32 s29, s28, 31
	s_wait_alu 0xfffe
	s_sub_co_i32 s30, ttmp9, s2
	s_wait_kmcnt 0x0
	s_mul_u64 s[6:7], s[6:7], s[28:29]
	s_mul_u64 s[34:35], s[46:47], s[28:29]
	;; [unrolled: 1-line block ×3, first 2 shown]
	s_ashr_i32 s31, s30, 31
	s_lshl_b64 s[46:47], s[28:29], 2
	s_mul_u64 s[28:29], s[44:45], s[30:31]
	s_mul_u64 s[30:31], s[48:49], s[30:31]
	s_lshl_b64 s[6:7], s[6:7], 2
	s_lshl_b64 s[34:35], s[34:35], 2
	;; [unrolled: 1-line block ×4, first 2 shown]
	s_cmp_lt_i32 s22, 1
	v_cmp_neq_f64_e64 s48, s[40:41], 1.0
	s_cselect_b32 s23, -1, 0
	s_cmp_gt_i32 s25, 0
	s_clause 0x1
	s_load_b128 s[28:31], s[0:1], 0xc0
	s_load_b32 s2, s[0:1], 0xec
	s_cselect_b32 s49, -1, 0
	s_cmp_gt_i32 s26, 0
	s_clause 0x1
	s_load_b64 s[66:67], s[0:1], 0x98
	s_load_b128 s[68:71], s[0:1], 0x88
	s_cselect_b32 s56, -1, 0
	s_abs_i32 s57, s24
	s_abs_i32 s58, s54
	s_cvt_f32_u32 s53, s57
	s_abs_i32 s59, s55
	s_cvt_f32_u32 s54, s58
	s_cvt_f32_u32 s62, s59
	v_rcp_iflag_f32_e32 v1, s53
	v_cmp_neq_f64_e64 s53, s[42:43], 0
	v_rcp_iflag_f32_e32 v2, s54
	v_rcp_iflag_f32_e32 v3, s62
	s_add_nc_u64 s[0:1], s[38:39], s[34:35]
	s_add_nc_u64 s[6:7], s[36:37], s[6:7]
	;; [unrolled: 1-line block ×4, first 2 shown]
	s_sub_co_i32 s38, 0, s57
	s_wait_kmcnt 0x0
	s_and_b32 s60, s2, 0xffff
	v_readfirstlane_b32 s0, v1
	s_sub_co_i32 s39, 0, s58
	v_readfirstlane_b32 s1, v2
	v_readfirstlane_b32 s2, v3
	s_add_nc_u64 s[36:37], s[36:37], s[50:51]
	s_mul_f32 s0, s0, 0x4f7ffffe
	s_ashr_i32 s61, s24, 31
	s_mul_f32 s1, s1, 0x4f7ffffe
	s_mul_f32 s2, s2, 0x4f7ffffe
	s_cvt_u32_f32 s0, s0
	s_ashr_i32 s64, s55, 31
	s_cvt_u32_f32 s1, s1
	s_wait_alu 0xfffe
	s_cvt_u32_f32 s2, s2
	s_mul_i32 s38, s38, s0
	s_lshl_b64 s[44:45], s[70:71], 2
	s_mul_hi_u32 s38, s0, s38
	s_mul_i32 s39, s39, s1
	s_add_co_i32 s62, s0, s38
	s_sub_co_i32 s0, 0, s59
	s_mul_hi_u32 s38, s1, s39
	s_wait_alu 0xfffe
	s_mul_i32 s0, s0, s2
	s_add_co_i32 s63, s1, s38
	s_mul_hi_u32 s0, s2, s0
	s_lshl_b64 s[38:39], s[66:67], 2
	s_add_co_i32 s65, s2, s0
	s_lshl_b64 s[46:47], s[68:69], 2
	s_mov_b32 s67, 0
	s_or_b32 s66, s48, s53
	s_sub_co_i32 s48, 0, s52
	s_branch .LBB55_3
.LBB55_2:                               ;   in Loop: Header=BB55_3 Depth=1
	s_delay_alu instid0(VALU_DEP_1) | instskip(SKIP_1) | instid1(VALU_DEP_1)
	v_cvt_f32_f64_e32 v1, v[1:2]
	v_add_nc_u32_e32 v0, s60, v0
	v_cmp_le_i32_e32 vcc_lo, s33, v0
	s_or_b32 s67, vcc_lo, s67
	global_store_b32 v[3:4], v1, off
	s_and_not1_b32 exec_lo, exec_lo, s67
	s_cbranch_execz .LBB55_18
.LBB55_3:                               ; =>This Loop Header: Depth=1
                                        ;     Child Loop BB55_8 Depth 2
                                        ;       Child Loop BB55_11 Depth 3
                                        ;         Child Loop BB55_14 Depth 4
	v_sub_nc_u32_e32 v1, 0, v0
	s_mov_b32 s50, -1
	s_delay_alu instid0(VALU_DEP_1) | instskip(NEXT) | instid1(VALU_DEP_1)
	v_max_i32_e32 v4, v0, v1
	v_mul_hi_u32 v1, v4, s62
	s_delay_alu instid0(VALU_DEP_1) | instskip(SKIP_1) | instid1(VALU_DEP_2)
	v_mul_lo_u32 v2, v1, s57
	v_add_nc_u32_e32 v3, 1, v1
	v_sub_nc_u32_e32 v2, v4, v2
	s_delay_alu instid0(VALU_DEP_1) | instskip(SKIP_2) | instid1(VALU_DEP_2)
	v_subrev_nc_u32_e32 v5, s57, v2
	v_cmp_le_u32_e32 vcc_lo, s57, v2
	s_wait_alu 0xfffd
	v_dual_cndmask_b32 v3, v1, v3 :: v_dual_cndmask_b32 v2, v2, v5
	v_ashrrev_i32_e32 v1, 31, v0
	s_delay_alu instid0(VALU_DEP_2) | instskip(NEXT) | instid1(VALU_DEP_3)
	v_add_nc_u32_e32 v5, 1, v3
	v_cmp_le_u32_e32 vcc_lo, s57, v2
	s_delay_alu instid0(VALU_DEP_3) | instskip(SKIP_1) | instid1(VALU_DEP_3)
	v_xor_b32_e32 v6, s61, v1
	s_wait_alu 0xfffd
	v_cndmask_b32_e32 v2, v3, v5, vcc_lo
	s_delay_alu instid0(VALU_DEP_1) | instskip(NEXT) | instid1(VALU_DEP_1)
	v_xor_b32_e32 v2, v2, v6
	v_sub_nc_u32_e32 v2, v2, v6
	s_delay_alu instid0(VALU_DEP_1) | instskip(NEXT) | instid1(VALU_DEP_1)
	v_sub_nc_u32_e32 v3, 0, v2
	v_max_i32_e32 v5, v2, v3
	v_mul_hi_u32 v3, v4, s65
	s_wait_alu 0xfffe
	s_delay_alu instid0(VALU_DEP_2) | instskip(NEXT) | instid1(VALU_DEP_2)
	v_mul_hi_u32 v6, v5, s63
	v_mul_lo_u32 v7, v3, s59
	s_delay_alu instid0(VALU_DEP_2) | instskip(NEXT) | instid1(VALU_DEP_2)
	v_mul_lo_u32 v6, v6, s58
	v_sub_nc_u32_e32 v4, v4, v7
	s_delay_alu instid0(VALU_DEP_2) | instskip(SKIP_1) | instid1(VALU_DEP_3)
	v_sub_nc_u32_e32 v5, v5, v6
	v_mul_lo_u32 v6, v2, s24
	v_subrev_nc_u32_e32 v7, s59, v4
	v_cmp_le_u32_e64 s0, s59, v4
	s_delay_alu instid0(VALU_DEP_4) | instskip(SKIP_2) | instid1(VALU_DEP_3)
	v_subrev_nc_u32_e32 v8, s58, v5
	v_cmp_le_u32_e32 vcc_lo, s58, v5
	s_wait_alu 0xf1ff
	v_cndmask_b32_e64 v7, v4, v7, s0
	s_wait_alu 0xfffd
	v_cndmask_b32_e32 v4, v5, v8, vcc_lo
	v_sub_nc_u32_e32 v5, v0, v6
	s_delay_alu instid0(VALU_DEP_3)
	v_cmp_le_u32_e64 s1, s59, v7
	s_and_not1_b32 vcc_lo, exec_lo, s23
	v_cmp_le_u32_e64 s2, s58, v4
	v_ashrrev_i32_e32 v6, 31, v5
	s_wait_alu 0xfffe
	s_cbranch_vccnz .LBB55_5
; %bb.4:                                ;   in Loop: Header=BB55_3 Depth=1
	s_mov_b32 s50, 0
.LBB55_5:                               ;   in Loop: Header=BB55_3 Depth=1
	v_add_nc_u32_e32 v7, 1, v3
	v_ashrrev_i32_e32 v2, 31, v2
	v_xor_b32_e32 v9, s64, v1
	s_and_not1_b32 vcc_lo, exec_lo, s50
	s_delay_alu instid0(VALU_DEP_3) | instskip(SKIP_1) | instid1(VALU_DEP_2)
	v_cndmask_b32_e64 v3, v3, v7, s0
	v_subrev_nc_u32_e32 v7, s58, v4
	v_add_nc_u32_e32 v8, 1, v3
	s_wait_alu 0xf1ff
	s_delay_alu instid0(VALU_DEP_2) | instskip(NEXT) | instid1(VALU_DEP_2)
	v_cndmask_b32_e64 v4, v4, v7, s2
	v_cndmask_b32_e64 v1, v3, v8, s1
	s_delay_alu instid0(VALU_DEP_2) | instskip(NEXT) | instid1(VALU_DEP_2)
	v_xor_b32_e32 v3, v4, v2
	v_xor_b32_e32 v4, v1, v9
	s_delay_alu instid0(VALU_DEP_2) | instskip(SKIP_2) | instid1(VALU_DEP_4)
	v_sub_nc_u32_e32 v7, v3, v2
	v_mov_b32_e32 v1, 0
	v_mov_b32_e32 v2, 0
	v_sub_nc_u32_e32 v8, v4, v9
	s_wait_alu 0xfffe
	s_cbranch_vccnz .LBB55_16
; %bb.6:                                ;   in Loop: Header=BB55_3 Depth=1
	v_mul_lo_u32 v3, s5, v5
	v_mul_lo_u32 v4, s4, v6
	v_mad_co_u64_u32 v[1:2], null, s4, v5, 0
	v_mul_lo_u32 v9, v8, s29
	s_mov_b32 s2, 0
	s_mov_b64 s[50:51], s[36:37]
	s_delay_alu instid0(VALU_DEP_2) | instskip(SKIP_1) | instid1(VALU_DEP_2)
	v_add3_u32 v2, v2, v4, v3
	v_mad_co_u64_u32 v[3:4], null, v7, s30, s[48:49]
	v_lshlrev_b64_e32 v[10:11], 2, v[1:2]
	v_mov_b32_e32 v1, 0
	v_mov_b32_e32 v2, 0
	s_delay_alu instid0(VALU_DEP_3) | instskip(SKIP_1) | instid1(VALU_DEP_4)
	v_add_co_u32 v4, vcc_lo, s6, v10
	s_wait_alu 0xfffd
	v_add_co_ci_u32_e64 v10, null, s7, v11, vcc_lo
	s_branch .LBB55_8
.LBB55_7:                               ;   in Loop: Header=BB55_8 Depth=2
	s_add_co_i32 s2, s2, 1
	s_add_nc_u64 s[50:51], s[50:51], s[38:39]
	s_wait_alu 0xfffe
	s_cmp_eq_u32 s2, s22
	s_cbranch_scc1 .LBB55_16
.LBB55_8:                               ;   Parent Loop BB55_3 Depth=1
                                        ; =>  This Loop Header: Depth=2
                                        ;       Child Loop BB55_11 Depth 3
                                        ;         Child Loop BB55_14 Depth 4
	s_and_not1_b32 vcc_lo, exec_lo, s49
	s_wait_alu 0xfffe
	s_cbranch_vccnz .LBB55_7
; %bb.9:                                ;   in Loop: Header=BB55_8 Depth=2
	s_mul_u64 s[0:1], s[12:13], s[2:3]
	s_mov_b32 s68, 0
	s_wait_alu 0xfffe
	s_lshl_b64 s[0:1], s[0:1], 2
	s_mov_b64 s[52:53], s[50:51]
	s_wait_alu 0xfffe
	v_add_co_u32 v11, vcc_lo, v4, s0
	s_wait_alu 0xfffd
	v_add_co_ci_u32_e64 v12, null, s1, v10, vcc_lo
	s_branch .LBB55_11
.LBB55_10:                              ;   in Loop: Header=BB55_11 Depth=3
	s_add_co_i32 s68, s68, 1
	s_add_nc_u64 s[52:53], s[52:53], s[44:45]
	s_cmp_eq_u32 s68, s25
	s_cbranch_scc1 .LBB55_7
.LBB55_11:                              ;   Parent Loop BB55_3 Depth=1
                                        ;     Parent Loop BB55_8 Depth=2
                                        ; =>    This Loop Header: Depth=3
                                        ;         Child Loop BB55_14 Depth 4
	s_and_not1_b32 vcc_lo, exec_lo, s56
	s_wait_alu 0xfffe
	s_cbranch_vccnz .LBB55_10
; %bb.12:                               ;   in Loop: Header=BB55_11 Depth=3
	s_mul_i32 s0, s68, s27
	s_mov_b64 s[54:55], s[52:53]
	s_wait_alu 0xfffe
	s_sub_co_i32 s0, s0, s31
	s_mov_b32 s69, s26
	s_wait_alu 0xfffe
	v_add_nc_u32_e32 v16, s0, v9
	s_delay_alu instid0(VALU_DEP_1) | instskip(NEXT) | instid1(VALU_DEP_1)
	v_mad_co_u64_u32 v[13:14], null, s10, v16, 0
	v_mad_co_u64_u32 v[14:15], null, s11, v16, v[14:15]
	v_mov_b32_e32 v15, v3
	v_cmp_gt_i32_e32 vcc_lo, 0, v16
	v_cmp_le_i32_e64 s0, s20, v16
	s_delay_alu instid0(VALU_DEP_4) | instskip(NEXT) | instid1(VALU_DEP_1)
	v_lshlrev_b64_e32 v[13:14], 2, v[13:14]
	v_add_co_u32 v13, s1, v11, v13
	s_wait_alu 0xf1ff
	s_delay_alu instid0(VALU_DEP_2)
	v_add_co_ci_u32_e64 v14, null, v12, v14, s1
	s_or_b32 s1, vcc_lo, s0
	s_branch .LBB55_14
.LBB55_13:                              ;   in Loop: Header=BB55_14 Depth=4
	s_wait_alu 0xfffe
	s_or_b32 exec_lo, exec_lo, s0
	v_add_nc_u32_e32 v15, s28, v15
	s_add_co_i32 s69, s69, -1
	s_add_nc_u64 s[54:55], s[54:55], s[46:47]
	s_cmp_eq_u32 s69, 0
	s_cbranch_scc1 .LBB55_10
.LBB55_14:                              ;   Parent Loop BB55_3 Depth=1
                                        ;     Parent Loop BB55_8 Depth=2
                                        ;       Parent Loop BB55_11 Depth=3
                                        ; =>      This Inner Loop Header: Depth=4
	v_cmp_gt_i32_e32 vcc_lo, 0, v15
	v_cmp_le_i32_e64 s0, s21, v15
	s_or_b32 s0, vcc_lo, s0
	s_wait_alu 0xfffe
	s_nor_b32 s70, s1, s0
	s_wait_alu 0xfffe
	s_and_saveexec_b32 s0, s70
	s_cbranch_execz .LBB55_13
; %bb.15:                               ;   in Loop: Header=BB55_14 Depth=4
	v_mad_co_u64_u32 v[16:17], null, s8, v15, 0
	s_load_b32 s70, s[54:55], 0x0
	v_mad_co_u64_u32 v[17:18], null, s9, v15, v[17:18]
	s_delay_alu instid0(VALU_DEP_1) | instskip(SKIP_2) | instid1(VALU_DEP_1)
	v_lshlrev_b64_e32 v[16:17], 2, v[16:17]
	s_wait_kmcnt 0x0
	s_and_b32 s70, s70, 0xffffe000
	v_add_co_u32 v16, vcc_lo, v13, v16
	s_wait_alu 0xfffd
	s_delay_alu instid0(VALU_DEP_2)
	v_add_co_ci_u32_e64 v17, null, v14, v17, vcc_lo
	s_wait_alu 0xfffe
	v_cvt_f64_f32_e32 v[18:19], s70
	global_load_b32 v16, v[16:17], off
	s_wait_loadcnt 0x0
	v_and_b32_e32 v16, 0xffffe000, v16
	s_delay_alu instid0(VALU_DEP_1) | instskip(NEXT) | instid1(VALU_DEP_1)
	v_cvt_f64_f32_e32 v[16:17], v16
	v_fma_f64 v[1:2], v[16:17], v[18:19], v[1:2]
	s_branch .LBB55_13
.LBB55_16:                              ;   in Loop: Header=BB55_3 Depth=1
	s_delay_alu instid0(VALU_DEP_1) | instskip(SKIP_3) | instid1(VALU_DEP_4)
	v_ashrrev_i32_e32 v9, 31, v8
	v_mul_lo_u32 v10, s19, v8
	v_mad_co_u64_u32 v[3:4], null, s18, v8, 0
	v_ashrrev_i32_e32 v11, 31, v7
	v_mul_lo_u32 v9, s18, v9
	v_mul_lo_u32 v12, s17, v7
	v_mad_co_u64_u32 v[7:8], null, s16, v7, 0
	s_delay_alu instid0(VALU_DEP_4)
	v_mul_lo_u32 v11, s16, v11
	v_mul_lo_u32 v13, v6, s14
	v_mul_lo_u32 v14, v5, s15
	v_mad_co_u64_u32 v[5:6], null, v5, s14, 0
	v_add3_u32 v4, v4, v9, v10
	v_add3_u32 v8, v8, v11, v12
	s_delay_alu instid0(VALU_DEP_2) | instskip(NEXT) | instid1(VALU_DEP_4)
	v_lshlrev_b64_e32 v[3:4], 2, v[3:4]
	v_add3_u32 v6, v6, v14, v13
	s_delay_alu instid0(VALU_DEP_3) | instskip(NEXT) | instid1(VALU_DEP_3)
	v_lshlrev_b64_e32 v[7:8], 2, v[7:8]
	v_add_co_u32 v9, vcc_lo, s34, v3
	s_wait_alu 0xfffd
	s_delay_alu instid0(VALU_DEP_4) | instskip(SKIP_1) | instid1(VALU_DEP_3)
	v_add_co_ci_u32_e64 v10, null, s35, v4, vcc_lo
	v_lshlrev_b64_e32 v[3:4], 2, v[5:6]
	v_add_co_u32 v5, vcc_lo, v9, v7
	s_wait_alu 0xfffd
	s_delay_alu instid0(VALU_DEP_3) | instskip(NEXT) | instid1(VALU_DEP_2)
	v_add_co_ci_u32_e64 v6, null, v10, v8, vcc_lo
	v_add_co_u32 v3, vcc_lo, v5, v3
	s_wait_alu 0xfffd
	s_delay_alu instid0(VALU_DEP_2)
	v_add_co_ci_u32_e64 v4, null, v6, v4, vcc_lo
	s_and_not1_b32 vcc_lo, exec_lo, s66
	s_wait_alu 0xfffe
	s_cbranch_vccnz .LBB55_2
; %bb.17:                               ;   in Loop: Header=BB55_3 Depth=1
	global_load_b32 v5, v[3:4], off
	s_wait_loadcnt 0x0
	v_cvt_f64_f32_e32 v[5:6], v5
	s_delay_alu instid0(VALU_DEP_1) | instskip(NEXT) | instid1(VALU_DEP_1)
	v_mul_f64_e32 v[5:6], s[42:43], v[5:6]
	v_fma_f64 v[1:2], s[40:41], v[1:2], v[5:6]
	s_branch .LBB55_2
.LBB55_18:
	s_endpgm
	.section	.rodata,"a",@progbits
	.p2align	6, 0x0
	.amdhsa_kernel naive_conv_ab_nonpacked_wrw_nhwc_float_double_float_1
		.amdhsa_group_segment_fixed_size 0
		.amdhsa_private_segment_fixed_size 0
		.amdhsa_kernarg_size 480
		.amdhsa_user_sgpr_count 2
		.amdhsa_user_sgpr_dispatch_ptr 0
		.amdhsa_user_sgpr_queue_ptr 0
		.amdhsa_user_sgpr_kernarg_segment_ptr 1
		.amdhsa_user_sgpr_dispatch_id 0
		.amdhsa_user_sgpr_private_segment_size 0
		.amdhsa_wavefront_size32 1
		.amdhsa_uses_dynamic_stack 0
		.amdhsa_enable_private_segment 0
		.amdhsa_system_sgpr_workgroup_id_x 1
		.amdhsa_system_sgpr_workgroup_id_y 0
		.amdhsa_system_sgpr_workgroup_id_z 0
		.amdhsa_system_sgpr_workgroup_info 0
		.amdhsa_system_vgpr_workitem_id 0
		.amdhsa_next_free_vgpr 20
		.amdhsa_next_free_sgpr 72
		.amdhsa_reserve_vcc 1
		.amdhsa_float_round_mode_32 0
		.amdhsa_float_round_mode_16_64 0
		.amdhsa_float_denorm_mode_32 3
		.amdhsa_float_denorm_mode_16_64 3
		.amdhsa_fp16_overflow 0
		.amdhsa_workgroup_processor_mode 1
		.amdhsa_memory_ordered 1
		.amdhsa_forward_progress 1
		.amdhsa_inst_pref_size 14
		.amdhsa_round_robin_scheduling 0
		.amdhsa_exception_fp_ieee_invalid_op 0
		.amdhsa_exception_fp_denorm_src 0
		.amdhsa_exception_fp_ieee_div_zero 0
		.amdhsa_exception_fp_ieee_overflow 0
		.amdhsa_exception_fp_ieee_underflow 0
		.amdhsa_exception_fp_ieee_inexact 0
		.amdhsa_exception_int_div_zero 0
	.end_amdhsa_kernel
	.text
.Lfunc_end55:
	.size	naive_conv_ab_nonpacked_wrw_nhwc_float_double_float_1, .Lfunc_end55-naive_conv_ab_nonpacked_wrw_nhwc_float_double_float_1
                                        ; -- End function
	.set naive_conv_ab_nonpacked_wrw_nhwc_float_double_float_1.num_vgpr, 20
	.set naive_conv_ab_nonpacked_wrw_nhwc_float_double_float_1.num_agpr, 0
	.set naive_conv_ab_nonpacked_wrw_nhwc_float_double_float_1.numbered_sgpr, 72
	.set naive_conv_ab_nonpacked_wrw_nhwc_float_double_float_1.num_named_barrier, 0
	.set naive_conv_ab_nonpacked_wrw_nhwc_float_double_float_1.private_seg_size, 0
	.set naive_conv_ab_nonpacked_wrw_nhwc_float_double_float_1.uses_vcc, 1
	.set naive_conv_ab_nonpacked_wrw_nhwc_float_double_float_1.uses_flat_scratch, 0
	.set naive_conv_ab_nonpacked_wrw_nhwc_float_double_float_1.has_dyn_sized_stack, 0
	.set naive_conv_ab_nonpacked_wrw_nhwc_float_double_float_1.has_recursion, 0
	.set naive_conv_ab_nonpacked_wrw_nhwc_float_double_float_1.has_indirect_call, 0
	.section	.AMDGPU.csdata,"",@progbits
; Kernel info:
; codeLenInByte = 1764
; TotalNumSgprs: 74
; NumVgprs: 20
; ScratchSize: 0
; MemoryBound: 0
; FloatMode: 240
; IeeeMode: 1
; LDSByteSize: 0 bytes/workgroup (compile time only)
; SGPRBlocks: 0
; VGPRBlocks: 2
; NumSGPRsForWavesPerEU: 74
; NumVGPRsForWavesPerEU: 20
; Occupancy: 16
; WaveLimiterHint : 0
; COMPUTE_PGM_RSRC2:SCRATCH_EN: 0
; COMPUTE_PGM_RSRC2:USER_SGPR: 2
; COMPUTE_PGM_RSRC2:TRAP_HANDLER: 0
; COMPUTE_PGM_RSRC2:TGID_X_EN: 1
; COMPUTE_PGM_RSRC2:TGID_Y_EN: 0
; COMPUTE_PGM_RSRC2:TGID_Z_EN: 0
; COMPUTE_PGM_RSRC2:TIDIG_COMP_CNT: 0
	.text
	.protected	naive_conv_ab_packed_wrw_nhwc_half_double_half_0 ; -- Begin function naive_conv_ab_packed_wrw_nhwc_half_double_half_0
	.globl	naive_conv_ab_packed_wrw_nhwc_half_double_half_0
	.p2align	8
	.type	naive_conv_ab_packed_wrw_nhwc_half_double_half_0,@function
naive_conv_ab_packed_wrw_nhwc_half_double_half_0: ; @naive_conv_ab_packed_wrw_nhwc_half_double_half_0
; %bb.0:
	s_load_b512 s[4:19], s[0:1], 0xa0
	s_mov_b32 s3, exec_lo
	s_wait_kmcnt 0x0
	s_abs_i32 s29, s7
	s_mul_i32 s36, s18, s8
	s_cvt_f32_u32 s2, s29
	s_mul_i32 s33, s36, s17
	s_delay_alu instid0(SALU_CYCLE_2) | instskip(NEXT) | instid1(TRANS32_DEP_1)
	v_rcp_iflag_f32_e32 v1, s2
	v_readfirstlane_b32 s2, v1
	v_cmpx_gt_i32_e64 s33, v0
	s_cbranch_execz .LBB56_20
; %bb.1:
	s_mul_f32 s2, s2, 0x4f7ffffe
	s_sub_co_i32 s3, 0, s29
	s_ashr_i32 s37, ttmp9, 31
	s_ashr_i32 s39, s7, 31
	s_wait_alu 0xfffe
	s_cvt_u32_f32 s28, s2
	s_abs_i32 s2, ttmp9
	s_clause 0x1
	s_load_b256 s[20:27], s[0:1], 0x0
	s_load_b64 s[34:35], s[0:1], 0x20
	s_xor_b32 s37, s37, s39
	s_mul_i32 s30, s3, s28
	s_mov_b32 s3, 0
	s_mul_hi_u32 s30, s28, s30
	s_wait_alu 0xfffe
	s_mov_b32 s31, s3
	s_add_co_i32 s30, s28, s30
	s_mov_b32 s40, s17
	s_mul_u64 s[30:31], s[2:3], s[30:31]
	s_mov_b32 s28, s8
	s_mul_i32 s41, s31, s29
	s_mov_b32 s38, s7
	s_sub_co_i32 s2, s2, s41
	s_add_co_i32 s41, s31, 1
	s_wait_alu 0xfffe
	s_sub_co_i32 s42, s2, s29
	s_cmp_ge_u32 s2, s29
	s_mov_b32 s30, s18
	s_cselect_b32 s31, s41, s31
	s_cselect_b32 s2, s42, s2
	s_add_co_i32 s41, s31, 1
	s_wait_alu 0xfffe
	s_cmp_ge_u32 s2, s29
	s_wait_kmcnt 0x0
	v_cmp_neq_f64_e64 s56, s[24:25], 1.0
	s_cselect_b32 s31, s41, s31
	s_ashr_i32 s41, s17, 31
	s_xor_b32 s31, s31, s37
	s_ashr_i32 s29, s8, 31
	s_sub_co_i32 s42, s31, s37
	s_mul_u64 s[40:41], s[40:41], s[28:29]
	s_mul_i32 s17, s42, s7
	s_ashr_i32 s43, s42, 31
	s_sub_co_i32 s44, ttmp9, s17
	s_mul_u64 s[38:39], s[42:43], s[38:39]
	s_ashr_i32 s31, s18, 31
	s_ashr_i32 s45, s44, 31
	v_cmp_neq_f64_e64 s2, s[26:27], 0
	s_mul_u64 s[40:41], s[40:41], s[30:31]
	s_add_nc_u64 s[46:47], s[38:39], s[44:45]
	s_mul_u64 s[42:43], s[42:43], s[28:29]
	s_mul_u64 s[40:41], s[40:41], s[46:47]
	s_lshl_b64 s[42:43], s[42:43], 1
	s_lshl_b64 s[38:39], s[38:39], 1
	;; [unrolled: 1-line block ×4, first 2 shown]
	s_cmp_lt_i32 s6, 1
	s_load_b32 s17, s[0:1], 0xec
	s_cselect_b32 s31, -1, 0
	s_cmp_gt_i32 s9, 0
	s_add_nc_u64 s[0:1], s[34:35], s[38:39]
	s_cselect_b32 s48, -1, 0
	s_cmp_gt_i32 s10, 0
	s_add_nc_u64 s[34:35], s[0:1], s[44:45]
	s_cselect_b32 s49, -1, 0
	s_abs_i32 s50, s8
	s_mul_i32 s0, s19, s7
	s_cvt_f32_u32 s1, s50
	s_abs_i32 s7, s18
	s_abs_i32 s55, s36
	s_mul_i32 s51, s19, s8
	v_rcp_iflag_f32_e32 v1, s1
	s_cvt_f32_u32 s1, s7
	s_add_nc_u64 s[20:21], s[20:21], s[42:43]
	s_sub_co_i32 s42, 0, s7
	s_add_nc_u64 s[22:23], s[22:23], s[40:41]
	s_wait_alu 0xfffe
	v_rcp_iflag_f32_e32 v2, s1
	s_cvt_f32_u32 s1, s55
	s_wait_kmcnt 0x0
	s_and_b32 s57, s17, 0xffff
	s_sub_co_i32 s17, 0, s50
	s_ashr_i32 s41, s10, 31
	v_readfirstlane_b32 s8, v1
	s_wait_alu 0xfffe
	v_rcp_iflag_f32_e32 v1, s1
	s_mov_b32 s40, s10
	s_ashr_i32 s1, s0, 31
	s_or_b32 s56, s56, s2
	v_readfirstlane_b32 s37, v2
	s_mul_f32 s8, s8, 0x4f7ffffe
	s_ashr_i32 s39, s9, 31
	s_mov_b32 s38, s9
	s_wait_alu 0xfffe
	s_mul_u64 s[40:41], s[40:41], s[0:1]
	s_cvt_u32_f32 s2, s8
	s_mul_f32 s8, s37, 0x4f7ffffe
	v_readfirstlane_b32 s37, v1
	v_dual_mov_b32 v9, 0 :: v_dual_mov_b32 v10, 0x7e00
	s_wait_alu 0xfffe
	s_mul_i32 s17, s17, s2
	s_cvt_u32_f32 s8, s8
	s_mul_f32 s37, s37, 0x4f7ffffe
	s_mul_hi_u32 s17, s2, s17
	s_ashr_i32 s60, s36, 31
	s_add_co_i32 s58, s2, s17
	s_cvt_u32_f32 s17, s37
	s_mul_i32 s42, s42, s8
	s_sub_co_i32 s37, 0, s55
	s_mul_hi_u32 s2, s8, s42
	s_mul_i32 s37, s37, s17
	s_wait_alu 0xfffe
	s_add_co_i32 s59, s8, s2
	s_mul_hi_u32 s2, s17, s37
	s_mul_u64 s[36:37], s[40:41], s[38:39]
	s_ashr_i32 s19, s4, 31
	s_mov_b32 s18, s4
	s_ashr_i32 s52, s5, 31
	s_mov_b32 s53, s5
	s_ashr_i32 s54, s51, 31
	s_wait_alu 0xfffe
	s_add_co_i32 s61, s17, s2
	s_lshl_b64 s[36:37], s[36:37], 1
	s_lshl_b64 s[38:39], s[40:41], 1
	;; [unrolled: 1-line block ×3, first 2 shown]
	s_sub_co_i32 s8, 0, s16
	s_mov_b32 s62, 0
	s_branch .LBB56_3
.LBB56_2:                               ;   in Loop: Header=BB56_3 Depth=1
	v_add_nc_u32_e32 v0, s57, v0
	s_delay_alu instid0(VALU_DEP_1) | instskip(SKIP_1) | instid1(SALU_CYCLE_1)
	v_cmp_le_i32_e32 vcc_lo, s33, v0
	s_or_b32 s62, vcc_lo, s62
	s_and_not1_b32 exec_lo, exec_lo, s62
	s_cbranch_execz .LBB56_20
.LBB56_3:                               ; =>This Loop Header: Depth=1
                                        ;     Child Loop BB56_8 Depth 2
                                        ;       Child Loop BB56_11 Depth 3
                                        ;         Child Loop BB56_14 Depth 4
	v_sub_nc_u32_e32 v1, 0, v0
	s_mov_b32 s16, -1
	s_delay_alu instid0(VALU_DEP_1) | instskip(NEXT) | instid1(VALU_DEP_1)
	v_max_i32_e32 v3, v0, v1
	v_mul_hi_u32 v1, v3, s58
	s_delay_alu instid0(VALU_DEP_1) | instskip(SKIP_1) | instid1(VALU_DEP_2)
	v_mul_lo_u32 v2, v1, s50
	v_add_nc_u32_e32 v4, 1, v1
	v_sub_nc_u32_e32 v2, v3, v2
	s_delay_alu instid0(VALU_DEP_1) | instskip(SKIP_3) | instid1(VALU_DEP_3)
	v_subrev_nc_u32_e32 v5, s50, v2
	v_cmp_le_u32_e32 vcc_lo, s50, v2
	s_wait_alu 0xfffd
	v_cndmask_b32_e32 v4, v1, v4, vcc_lo
	v_cndmask_b32_e32 v2, v2, v5, vcc_lo
	v_ashrrev_i32_e32 v1, 31, v0
	s_delay_alu instid0(VALU_DEP_3) | instskip(NEXT) | instid1(VALU_DEP_3)
	v_add_nc_u32_e32 v5, 1, v4
	v_cmp_le_u32_e32 vcc_lo, s50, v2
	s_delay_alu instid0(VALU_DEP_3) | instskip(SKIP_1) | instid1(VALU_DEP_3)
	v_xor_b32_e32 v6, s29, v1
	s_wait_alu 0xfffd
	v_cndmask_b32_e32 v2, v4, v5, vcc_lo
	v_mul_hi_u32 v5, v3, s61
	s_delay_alu instid0(VALU_DEP_2) | instskip(NEXT) | instid1(VALU_DEP_2)
	v_xor_b32_e32 v2, v2, v6
	v_mul_lo_u32 v7, v5, s55
	s_delay_alu instid0(VALU_DEP_2) | instskip(NEXT) | instid1(VALU_DEP_1)
	v_sub_nc_u32_e32 v2, v2, v6
	v_sub_nc_u32_e32 v4, 0, v2
	s_delay_alu instid0(VALU_DEP_3) | instskip(SKIP_1) | instid1(VALU_DEP_3)
	v_sub_nc_u32_e32 v3, v3, v7
	v_mul_lo_u32 v7, v2, s28
	v_max_i32_e32 v4, v2, v4
	s_delay_alu instid0(VALU_DEP_3) | instskip(NEXT) | instid1(VALU_DEP_2)
	v_cmp_le_u32_e64 s0, s55, v3
	v_mul_hi_u32 v6, v4, s59
	s_delay_alu instid0(VALU_DEP_1) | instskip(NEXT) | instid1(VALU_DEP_1)
	v_mul_lo_u32 v6, v6, s7
	v_sub_nc_u32_e32 v4, v4, v6
	v_subrev_nc_u32_e32 v6, s55, v3
	s_delay_alu instid0(VALU_DEP_2) | instskip(SKIP_2) | instid1(VALU_DEP_3)
	v_subrev_nc_u32_e32 v8, s7, v4
	v_cmp_le_u32_e32 vcc_lo, s7, v4
	s_wait_alu 0xf1ff
	v_cndmask_b32_e64 v11, v3, v6, s0
	v_sub_nc_u32_e32 v3, v0, v7
	s_wait_alu 0xfffd
	v_cndmask_b32_e32 v6, v4, v8, vcc_lo
	s_delay_alu instid0(VALU_DEP_3) | instskip(NEXT) | instid1(VALU_DEP_3)
	v_cmp_le_u32_e64 s1, s55, v11
	v_ashrrev_i32_e32 v4, 31, v3
	s_and_not1_b32 vcc_lo, exec_lo, s31
	v_cmp_le_u32_e64 s2, s7, v6
	s_wait_alu 0xfffe
	s_cbranch_vccnz .LBB56_5
; %bb.4:                                ;   in Loop: Header=BB56_3 Depth=1
	s_mov_b32 s16, 0
.LBB56_5:                               ;   in Loop: Header=BB56_3 Depth=1
	v_add_nc_u32_e32 v7, 1, v5
	v_ashrrev_i32_e32 v2, 31, v2
	s_and_not1_b32 vcc_lo, exec_lo, s16
	s_delay_alu instid0(VALU_DEP_2) | instskip(SKIP_1) | instid1(VALU_DEP_2)
	v_cndmask_b32_e64 v5, v5, v7, s0
	v_subrev_nc_u32_e32 v7, s7, v6
	v_add_nc_u32_e32 v8, 1, v5
	s_wait_alu 0xf1ff
	s_delay_alu instid0(VALU_DEP_2) | instskip(SKIP_1) | instid1(VALU_DEP_3)
	v_cndmask_b32_e64 v6, v6, v7, s2
	v_xor_b32_e32 v7, s60, v1
	v_cndmask_b32_e64 v1, v5, v8, s1
	s_delay_alu instid0(VALU_DEP_3) | instskip(NEXT) | instid1(VALU_DEP_2)
	v_xor_b32_e32 v5, v6, v2
	v_xor_b32_e32 v6, v1, v7
	s_delay_alu instid0(VALU_DEP_2) | instskip(SKIP_2) | instid1(VALU_DEP_4)
	v_sub_nc_u32_e32 v5, v5, v2
	v_mov_b32_e32 v1, 0
	v_mov_b32_e32 v2, 0
	v_sub_nc_u32_e32 v11, v6, v7
	s_wait_alu 0xfffe
	s_cbranch_vccnz .LBB56_16
; %bb.6:                                ;   in Loop: Header=BB56_3 Depth=1
	v_lshlrev_b64_e32 v[13:14], 1, v[3:4]
	s_delay_alu instid0(VALU_DEP_2)
	v_mul_lo_u32 v12, v11, s13
	v_mad_co_u64_u32 v[6:7], null, v5, s14, s[8:9]
	v_mov_b32_e32 v1, 0
	v_mov_b32_e32 v2, 0
	v_add_co_u32 v13, vcc_lo, s20, v13
	s_wait_alu 0xfffd
	v_add_co_ci_u32_e64 v14, null, s21, v14, vcc_lo
	s_mov_b32 s2, 0
	s_mov_b64 s[16:17], s[34:35]
	s_branch .LBB56_8
.LBB56_7:                               ;   in Loop: Header=BB56_8 Depth=2
	s_add_co_i32 s2, s2, 1
	s_add_nc_u64 s[16:17], s[16:17], s[36:37]
	s_wait_alu 0xfffe
	s_cmp_eq_u32 s2, s6
	s_cbranch_scc1 .LBB56_16
.LBB56_8:                               ;   Parent Loop BB56_3 Depth=1
                                        ; =>  This Loop Header: Depth=2
                                        ;       Child Loop BB56_11 Depth 3
                                        ;         Child Loop BB56_14 Depth 4
	s_and_not1_b32 vcc_lo, exec_lo, s48
	s_wait_alu 0xfffe
	s_cbranch_vccnz .LBB56_7
; %bb.9:                                ;   in Loop: Header=BB56_8 Depth=2
	s_mul_u64 s[42:43], s[2:3], s[18:19]
	s_mov_b32 s1, 0
	s_mov_b64 s[44:45], s[16:17]
	s_branch .LBB56_11
.LBB56_10:                              ;   in Loop: Header=BB56_11 Depth=3
	s_add_co_i32 s1, s1, 1
	s_add_nc_u64 s[44:45], s[44:45], s[38:39]
	s_wait_alu 0xfffe
	s_cmp_eq_u32 s1, s9
	s_cbranch_scc1 .LBB56_7
.LBB56_11:                              ;   Parent Loop BB56_3 Depth=1
                                        ;     Parent Loop BB56_8 Depth=2
                                        ; =>    This Loop Header: Depth=3
                                        ;         Child Loop BB56_14 Depth 4
	s_and_not1_b32 vcc_lo, exec_lo, s49
	s_wait_alu 0xfffe
	s_cbranch_vccnz .LBB56_10
; %bb.12:                               ;   in Loop: Header=BB56_11 Depth=3
	s_mul_i32 s0, s1, s11
	s_mov_b64 s[46:47], s[44:45]
	s_wait_alu 0xfffe
	s_sub_co_i32 s0, s0, s15
	s_mov_b32 s64, s10
	s_wait_alu 0xfffe
	v_add_nc_u32_e32 v15, s0, v12
	s_delay_alu instid0(VALU_DEP_1) | instskip(SKIP_3) | instid1(VALU_DEP_3)
	v_add_co_u32 v7, s0, s42, v15
	s_wait_alu 0xf1ff
	v_add_co_ci_u32_e64 v8, null, s43, 0, s0
	v_cmp_gt_i32_e32 vcc_lo, 0, v15
	v_mul_lo_u32 v17, v7, s52
	v_cmp_le_i32_e64 s0, s4, v15
	s_delay_alu instid0(VALU_DEP_4) | instskip(SKIP_2) | instid1(VALU_DEP_4)
	v_mul_lo_u32 v16, v8, s53
	v_mad_co_u64_u32 v[7:8], null, v7, s53, 0
	v_mov_b32_e32 v15, v6
	s_or_b32 s63, vcc_lo, s0
	s_delay_alu instid0(VALU_DEP_2)
	v_add3_u32 v8, v8, v17, v16
	s_branch .LBB56_14
.LBB56_13:                              ;   in Loop: Header=BB56_14 Depth=4
	s_wait_alu 0xfffe
	s_or_b32 exec_lo, exec_lo, s0
	v_add_nc_u32_e32 v15, s12, v15
	s_add_co_i32 s64, s64, -1
	s_add_nc_u64 s[46:47], s[46:47], s[40:41]
	s_cmp_eq_u32 s64, 0
	s_cbranch_scc1 .LBB56_10
.LBB56_14:                              ;   Parent Loop BB56_3 Depth=1
                                        ;     Parent Loop BB56_8 Depth=2
                                        ;       Parent Loop BB56_11 Depth=3
                                        ; =>      This Inner Loop Header: Depth=4
	s_delay_alu instid0(VALU_DEP_2) | instskip(SKIP_4) | instid1(SALU_CYCLE_1)
	v_cmp_gt_i32_e32 vcc_lo, 0, v15
	v_cmp_le_i32_e64 s0, s5, v15
	s_or_b32 s0, vcc_lo, s0
	s_wait_alu 0xfffe
	s_nor_b32 s65, s63, s0
	s_and_saveexec_b32 s0, s65
	s_cbranch_execz .LBB56_13
; %bb.15:                               ;   in Loop: Header=BB56_14 Depth=4
	v_add_co_u32 v16, vcc_lo, v7, v15
	s_wait_alu 0xfffd
	v_add_co_ci_u32_e64 v17, null, 0, v8, vcc_lo
	s_delay_alu instid0(VALU_DEP_2) | instskip(NEXT) | instid1(VALU_DEP_2)
	v_mul_lo_u32 v19, v16, s54
	v_mul_lo_u32 v18, v17, s51
	v_mad_co_u64_u32 v[16:17], null, v16, s51, 0
	s_delay_alu instid0(VALU_DEP_1) | instskip(NEXT) | instid1(VALU_DEP_1)
	v_add3_u32 v17, v17, v19, v18
	v_lshlrev_b64_e32 v[16:17], 1, v[16:17]
	s_delay_alu instid0(VALU_DEP_1) | instskip(SKIP_1) | instid1(VALU_DEP_2)
	v_add_co_u32 v16, vcc_lo, v13, v16
	s_wait_alu 0xfffd
	v_add_co_ci_u32_e64 v17, null, v14, v17, vcc_lo
	global_load_u16 v16, v[16:17], off
	global_load_u16 v17, v9, s[46:47]
	s_wait_loadcnt 0x1
	v_cvt_f32_f16_e32 v16, v16
	s_wait_loadcnt 0x0
	v_cvt_f32_f16_e32 v18, v17
	s_delay_alu instid0(VALU_DEP_2) | instskip(NEXT) | instid1(VALU_DEP_2)
	v_cvt_f64_f32_e32 v[16:17], v16
	v_cvt_f64_f32_e32 v[18:19], v18
	s_delay_alu instid0(VALU_DEP_1)
	v_fma_f64 v[1:2], v[16:17], v[18:19], v[1:2]
	s_branch .LBB56_13
.LBB56_16:                              ;   in Loop: Header=BB56_3 Depth=1
	v_ashrrev_i32_e32 v6, 31, v5
	s_and_b32 vcc_lo, exec_lo, s56
	s_mov_b32 s0, -1
	s_delay_alu instid0(VALU_DEP_1) | instskip(NEXT) | instid1(VALU_DEP_1)
	v_mad_co_i64_i32 v[5:6], null, v11, s30, v[5:6]
	v_mul_lo_u32 v7, v5, s29
	s_delay_alu instid0(VALU_DEP_2) | instskip(SKIP_1) | instid1(VALU_DEP_1)
	v_mul_lo_u32 v6, v6, s28
	v_mad_co_u64_u32 v[3:4], null, v5, s28, v[3:4]
	v_add3_u32 v4, v6, v4, v7
	s_delay_alu instid0(VALU_DEP_1)
	v_lshlrev_b64_e32 v[3:4], 1, v[3:4]
	s_wait_alu 0xfffe
	s_cbranch_vccz .LBB56_18
; %bb.17:                               ;   in Loop: Header=BB56_3 Depth=1
	s_delay_alu instid0(VALU_DEP_1) | instskip(SKIP_1) | instid1(VALU_DEP_2)
	v_add_co_u32 v5, vcc_lo, s22, v3
	s_wait_alu 0xfffd
	v_add_co_ci_u32_e64 v6, null, s23, v4, vcc_lo
	s_mov_b32 s0, 0
	global_load_u16 v7, v[5:6], off
	s_wait_loadcnt 0x0
	v_cvt_f32_f16_e32 v7, v7
	s_delay_alu instid0(VALU_DEP_1) | instskip(NEXT) | instid1(VALU_DEP_1)
	v_cvt_f64_f32_e32 v[7:8], v7
	v_mul_f64_e32 v[7:8], s[26:27], v[7:8]
	s_delay_alu instid0(VALU_DEP_1) | instskip(NEXT) | instid1(VALU_DEP_1)
	v_fma_f64 v[7:8], s[24:25], v[1:2], v[7:8]
	v_and_or_b32 v7, 0x1ff, v8, v7
	v_lshrrev_b32_e32 v11, 8, v8
	v_bfe_u32 v12, v8, 20, 11
	v_lshrrev_b32_e32 v8, 16, v8
	s_delay_alu instid0(VALU_DEP_4) | instskip(NEXT) | instid1(VALU_DEP_3)
	v_cmp_ne_u32_e32 vcc_lo, 0, v7
	v_sub_nc_u32_e32 v13, 0x3f1, v12
	s_wait_alu 0xfffd
	v_cndmask_b32_e64 v7, 0, 1, vcc_lo
	s_delay_alu instid0(VALU_DEP_1) | instskip(NEXT) | instid1(VALU_DEP_3)
	v_and_or_b32 v7, 0xffe, v11, v7
	v_med3_i32 v11, v13, 0, 13
	s_delay_alu instid0(VALU_DEP_2) | instskip(NEXT) | instid1(VALU_DEP_1)
	v_or_b32_e32 v13, 0x1000, v7
	v_lshrrev_b32_e32 v14, v11, v13
	s_delay_alu instid0(VALU_DEP_1) | instskip(NEXT) | instid1(VALU_DEP_1)
	v_lshlrev_b32_e32 v11, v11, v14
	v_cmp_ne_u32_e32 vcc_lo, v11, v13
	s_wait_alu 0xfffd
	v_cndmask_b32_e64 v11, 0, 1, vcc_lo
	s_delay_alu instid0(VALU_DEP_1) | instskip(SKIP_1) | instid1(VALU_DEP_1)
	v_or_b32_e32 v11, v14, v11
	v_add_nc_u32_e32 v12, 0xfffffc10, v12
	v_lshl_or_b32 v13, v12, 12, v7
	v_cmp_gt_i32_e32 vcc_lo, 1, v12
	s_wait_alu 0xfffd
	s_delay_alu instid0(VALU_DEP_2) | instskip(NEXT) | instid1(VALU_DEP_1)
	v_cndmask_b32_e32 v11, v13, v11, vcc_lo
	v_and_b32_e32 v13, 7, v11
	v_lshrrev_b32_e32 v11, 2, v11
	s_delay_alu instid0(VALU_DEP_2)
	v_cmp_lt_i32_e32 vcc_lo, 5, v13
	s_wait_alu 0xfffd
	v_cndmask_b32_e64 v14, 0, 1, vcc_lo
	v_cmp_eq_u32_e32 vcc_lo, 3, v13
	s_wait_alu 0xfffd
	v_cndmask_b32_e64 v13, 0, 1, vcc_lo
	v_cmp_ne_u32_e32 vcc_lo, 0, v7
	s_delay_alu instid0(VALU_DEP_2) | instskip(SKIP_3) | instid1(VALU_DEP_3)
	v_or_b32_e32 v13, v13, v14
	s_wait_alu 0xfffd
	v_cndmask_b32_e32 v7, 0x7c00, v10, vcc_lo
	v_cmp_gt_i32_e32 vcc_lo, 31, v12
	v_add_nc_u32_e32 v11, v11, v13
	s_wait_alu 0xfffd
	s_delay_alu instid0(VALU_DEP_1) | instskip(SKIP_2) | instid1(VALU_DEP_2)
	v_cndmask_b32_e32 v11, 0x7c00, v11, vcc_lo
	v_cmp_eq_u32_e32 vcc_lo, 0x40f, v12
	s_wait_alu 0xfffd
	v_cndmask_b32_e32 v7, v11, v7, vcc_lo
	s_delay_alu instid0(VALU_DEP_1)
	v_and_or_b32 v7, 0x8000, v8, v7
	global_store_b16 v[5:6], v7, off
.LBB56_18:                              ;   in Loop: Header=BB56_3 Depth=1
	s_wait_alu 0xfffe
	s_and_not1_b32 vcc_lo, exec_lo, s0
	s_wait_alu 0xfffe
	s_cbranch_vccnz .LBB56_2
; %bb.19:                               ;   in Loop: Header=BB56_3 Depth=1
	v_and_or_b32 v1, 0x1ff, v2, v1
	v_lshrrev_b32_e32 v5, 8, v2
	v_bfe_u32 v6, v2, 20, 11
	v_lshrrev_b32_e32 v2, 16, v2
	s_delay_alu instid0(VALU_DEP_4) | instskip(NEXT) | instid1(VALU_DEP_3)
	v_cmp_ne_u32_e32 vcc_lo, 0, v1
	v_sub_nc_u32_e32 v7, 0x3f1, v6
	s_wait_alu 0xfffd
	v_cndmask_b32_e64 v1, 0, 1, vcc_lo
	s_delay_alu instid0(VALU_DEP_1) | instskip(NEXT) | instid1(VALU_DEP_3)
	v_and_or_b32 v1, 0xffe, v5, v1
	v_med3_i32 v5, v7, 0, 13
	s_delay_alu instid0(VALU_DEP_2) | instskip(NEXT) | instid1(VALU_DEP_1)
	v_or_b32_e32 v7, 0x1000, v1
	v_lshrrev_b32_e32 v8, v5, v7
	s_delay_alu instid0(VALU_DEP_1) | instskip(NEXT) | instid1(VALU_DEP_1)
	v_lshlrev_b32_e32 v5, v5, v8
	v_cmp_ne_u32_e32 vcc_lo, v5, v7
	s_wait_alu 0xfffd
	v_cndmask_b32_e64 v5, 0, 1, vcc_lo
	s_delay_alu instid0(VALU_DEP_1) | instskip(SKIP_1) | instid1(VALU_DEP_1)
	v_or_b32_e32 v5, v8, v5
	v_add_nc_u32_e32 v6, 0xfffffc10, v6
	v_lshl_or_b32 v7, v6, 12, v1
	v_cmp_gt_i32_e32 vcc_lo, 1, v6
	s_wait_alu 0xfffd
	s_delay_alu instid0(VALU_DEP_2) | instskip(NEXT) | instid1(VALU_DEP_1)
	v_cndmask_b32_e32 v5, v7, v5, vcc_lo
	v_and_b32_e32 v7, 7, v5
	v_lshrrev_b32_e32 v5, 2, v5
	s_delay_alu instid0(VALU_DEP_2)
	v_cmp_lt_i32_e32 vcc_lo, 5, v7
	s_wait_alu 0xfffd
	v_cndmask_b32_e64 v8, 0, 1, vcc_lo
	v_cmp_eq_u32_e32 vcc_lo, 3, v7
	s_wait_alu 0xfffd
	v_cndmask_b32_e64 v7, 0, 1, vcc_lo
	v_cmp_ne_u32_e32 vcc_lo, 0, v1
	s_delay_alu instid0(VALU_DEP_2) | instskip(SKIP_3) | instid1(VALU_DEP_3)
	v_or_b32_e32 v7, v7, v8
	s_wait_alu 0xfffd
	v_cndmask_b32_e32 v1, 0x7c00, v10, vcc_lo
	v_cmp_gt_i32_e32 vcc_lo, 31, v6
	v_add_nc_u32_e32 v5, v5, v7
	s_wait_alu 0xfffd
	s_delay_alu instid0(VALU_DEP_1) | instskip(SKIP_2) | instid1(VALU_DEP_2)
	v_cndmask_b32_e32 v5, 0x7c00, v5, vcc_lo
	v_cmp_eq_u32_e32 vcc_lo, 0x40f, v6
	s_wait_alu 0xfffd
	v_cndmask_b32_e32 v1, v5, v1, vcc_lo
	s_delay_alu instid0(VALU_DEP_1)
	v_and_or_b32 v5, 0x8000, v2, v1
	v_add_co_u32 v1, vcc_lo, s22, v3
	s_wait_alu 0xfffd
	v_add_co_ci_u32_e64 v2, null, s23, v4, vcc_lo
	global_store_b16 v[1:2], v5, off
	s_branch .LBB56_2
.LBB56_20:
	s_endpgm
	.section	.rodata,"a",@progbits
	.p2align	6, 0x0
	.amdhsa_kernel naive_conv_ab_packed_wrw_nhwc_half_double_half_0
		.amdhsa_group_segment_fixed_size 0
		.amdhsa_private_segment_fixed_size 0
		.amdhsa_kernarg_size 480
		.amdhsa_user_sgpr_count 2
		.amdhsa_user_sgpr_dispatch_ptr 0
		.amdhsa_user_sgpr_queue_ptr 0
		.amdhsa_user_sgpr_kernarg_segment_ptr 1
		.amdhsa_user_sgpr_dispatch_id 0
		.amdhsa_user_sgpr_private_segment_size 0
		.amdhsa_wavefront_size32 1
		.amdhsa_uses_dynamic_stack 0
		.amdhsa_enable_private_segment 0
		.amdhsa_system_sgpr_workgroup_id_x 1
		.amdhsa_system_sgpr_workgroup_id_y 0
		.amdhsa_system_sgpr_workgroup_id_z 0
		.amdhsa_system_sgpr_workgroup_info 0
		.amdhsa_system_vgpr_workitem_id 0
		.amdhsa_next_free_vgpr 20
		.amdhsa_next_free_sgpr 66
		.amdhsa_reserve_vcc 1
		.amdhsa_float_round_mode_32 0
		.amdhsa_float_round_mode_16_64 0
		.amdhsa_float_denorm_mode_32 3
		.amdhsa_float_denorm_mode_16_64 3
		.amdhsa_fp16_overflow 0
		.amdhsa_workgroup_processor_mode 1
		.amdhsa_memory_ordered 1
		.amdhsa_forward_progress 1
		.amdhsa_inst_pref_size 18
		.amdhsa_round_robin_scheduling 0
		.amdhsa_exception_fp_ieee_invalid_op 0
		.amdhsa_exception_fp_denorm_src 0
		.amdhsa_exception_fp_ieee_div_zero 0
		.amdhsa_exception_fp_ieee_overflow 0
		.amdhsa_exception_fp_ieee_underflow 0
		.amdhsa_exception_fp_ieee_inexact 0
		.amdhsa_exception_int_div_zero 0
	.end_amdhsa_kernel
	.text
.Lfunc_end56:
	.size	naive_conv_ab_packed_wrw_nhwc_half_double_half_0, .Lfunc_end56-naive_conv_ab_packed_wrw_nhwc_half_double_half_0
                                        ; -- End function
	.set naive_conv_ab_packed_wrw_nhwc_half_double_half_0.num_vgpr, 20
	.set naive_conv_ab_packed_wrw_nhwc_half_double_half_0.num_agpr, 0
	.set naive_conv_ab_packed_wrw_nhwc_half_double_half_0.numbered_sgpr, 66
	.set naive_conv_ab_packed_wrw_nhwc_half_double_half_0.num_named_barrier, 0
	.set naive_conv_ab_packed_wrw_nhwc_half_double_half_0.private_seg_size, 0
	.set naive_conv_ab_packed_wrw_nhwc_half_double_half_0.uses_vcc, 1
	.set naive_conv_ab_packed_wrw_nhwc_half_double_half_0.uses_flat_scratch, 0
	.set naive_conv_ab_packed_wrw_nhwc_half_double_half_0.has_dyn_sized_stack, 0
	.set naive_conv_ab_packed_wrw_nhwc_half_double_half_0.has_recursion, 0
	.set naive_conv_ab_packed_wrw_nhwc_half_double_half_0.has_indirect_call, 0
	.section	.AMDGPU.csdata,"",@progbits
; Kernel info:
; codeLenInByte = 2276
; TotalNumSgprs: 68
; NumVgprs: 20
; ScratchSize: 0
; MemoryBound: 0
; FloatMode: 240
; IeeeMode: 1
; LDSByteSize: 0 bytes/workgroup (compile time only)
; SGPRBlocks: 0
; VGPRBlocks: 2
; NumSGPRsForWavesPerEU: 68
; NumVGPRsForWavesPerEU: 20
; Occupancy: 16
; WaveLimiterHint : 0
; COMPUTE_PGM_RSRC2:SCRATCH_EN: 0
; COMPUTE_PGM_RSRC2:USER_SGPR: 2
; COMPUTE_PGM_RSRC2:TRAP_HANDLER: 0
; COMPUTE_PGM_RSRC2:TGID_X_EN: 1
; COMPUTE_PGM_RSRC2:TGID_Y_EN: 0
; COMPUTE_PGM_RSRC2:TGID_Z_EN: 0
; COMPUTE_PGM_RSRC2:TIDIG_COMP_CNT: 0
	.text
	.protected	naive_conv_ab_nonpacked_wrw_nhwc_half_double_half_0 ; -- Begin function naive_conv_ab_nonpacked_wrw_nhwc_half_double_half_0
	.globl	naive_conv_ab_nonpacked_wrw_nhwc_half_double_half_0
	.p2align	8
	.type	naive_conv_ab_nonpacked_wrw_nhwc_half_double_half_0,@function
naive_conv_ab_nonpacked_wrw_nhwc_half_double_half_0: ; @naive_conv_ab_nonpacked_wrw_nhwc_half_double_half_0
; %bb.0:
	s_clause 0x1
	s_load_b256 s[20:27], s[0:1], 0xa0
	s_load_b128 s[52:55], s[0:1], 0xd0
	s_mov_b32 s3, exec_lo
	s_wait_kmcnt 0x0
	s_abs_i32 s28, s23
	s_mul_i32 s55, s54, s24
	s_cvt_f32_u32 s2, s28
	s_mul_i32 s33, s55, s53
	s_delay_alu instid0(SALU_CYCLE_2) | instskip(NEXT) | instid1(TRANS32_DEP_1)
	v_rcp_iflag_f32_e32 v1, s2
	v_readfirstlane_b32 s2, v1
	v_cmpx_gt_i32_e64 s33, v0
	s_cbranch_execz .LBB57_20
; %bb.1:
	s_mul_f32 s2, s2, 0x4f7ffffe
	s_sub_co_i32 s3, 0, s28
	s_load_b256 s[36:43], s[0:1], 0x0
	s_ashr_i32 s29, ttmp9, 31
	s_cvt_u32_f32 s4, s2
	s_abs_i32 s2, ttmp9
	s_load_b64 s[60:61], s[0:1], 0x20
	v_dual_mov_b32 v5, 0 :: v_dual_mov_b32 v6, 0x7e00
	s_mul_i32 s5, s3, s4
	s_mov_b32 s3, 0
	s_mul_hi_u32 s6, s4, s5
	s_wait_alu 0xfffe
	s_mov_b32 s5, s3
	s_add_co_i32 s4, s4, s6
	s_mov_b32 s67, 0
	s_mul_u64 s[30:31], s[2:3], s[4:5]
	s_ashr_i32 s30, s23, 31
	s_mul_i32 s34, s31, s28
	s_clause 0x1
	s_load_b512 s[4:19], s[0:1], 0x28
	s_load_b256 s[44:51], s[0:1], 0x68
	s_sub_co_i32 s2, s2, s34
	s_xor_b32 s29, s29, s30
	s_add_co_i32 s30, s31, 1
	s_wait_alu 0xfffe
	s_sub_co_i32 s34, s2, s28
	s_cmp_ge_u32 s2, s28
	s_wait_kmcnt 0x0
	v_cmp_neq_f64_e64 s53, s[40:41], 1.0
	s_cselect_b32 s30, s30, s31
	s_cselect_b32 s2, s34, s2
	s_add_co_i32 s31, s30, 1
	s_wait_alu 0xfffe
	s_cmp_ge_u32 s2, s28
	s_cselect_b32 s2, s31, s30
	s_wait_alu 0xfffe
	s_xor_b32 s2, s2, s29
	s_wait_alu 0xfffe
	s_sub_co_i32 s28, s2, s29
	v_cmp_neq_f64_e64 s2, s[42:43], 0
	s_mul_i32 s23, s28, s23
	s_ashr_i32 s29, s28, 31
	s_sub_co_i32 s30, ttmp9, s23
	s_mul_u64 s[6:7], s[6:7], s[28:29]
	s_mul_u64 s[34:35], s[46:47], s[28:29]
	;; [unrolled: 1-line block ×3, first 2 shown]
	s_ashr_i32 s31, s30, 31
	s_lshl_b64 s[46:47], s[28:29], 1
	s_mul_u64 s[28:29], s[44:45], s[30:31]
	s_mul_u64 s[30:31], s[48:49], s[30:31]
	s_lshl_b64 s[6:7], s[6:7], 1
	s_lshl_b64 s[34:35], s[34:35], 1
	;; [unrolled: 1-line block ×4, first 2 shown]
	s_cmp_lt_i32 s22, 1
	s_load_b32 s48, s[0:1], 0xec
	s_cselect_b32 s23, -1, 0
	s_cmp_gt_i32 s25, 0
	s_load_b128 s[28:31], s[0:1], 0xc0
	s_cselect_b32 s49, -1, 0
	s_cmp_gt_i32 s26, 0
	s_clause 0x1
	s_load_b64 s[72:73], s[0:1], 0x98
	s_load_b128 s[68:71], s[0:1], 0x88
	s_cselect_b32 s56, -1, 0
	s_abs_i32 s57, s24
	s_abs_i32 s58, s54
	s_cvt_f32_u32 s62, s57
	s_abs_i32 s59, s55
	s_cvt_f32_u32 s54, s58
	s_add_nc_u64 s[0:1], s[38:39], s[34:35]
	v_rcp_iflag_f32_e32 v1, s62
	s_cvt_f32_u32 s62, s59
	v_rcp_iflag_f32_e32 v2, s54
	s_add_nc_u64 s[34:35], s[0:1], s[44:45]
	s_sub_co_i32 s38, 0, s57
	s_wait_alu 0xfffe
	v_rcp_iflag_f32_e32 v3, s62
	s_sub_co_i32 s44, 0, s58
	s_add_nc_u64 s[6:7], s[36:37], s[6:7]
	s_or_b32 s62, s53, s2
	s_add_nc_u64 s[36:37], s[60:61], s[46:47]
	v_readfirstlane_b32 s0, v1
	s_add_nc_u64 s[36:37], s[36:37], s[50:51]
	v_readfirstlane_b32 s1, v2
	s_wait_kmcnt 0x0
	s_and_b32 s60, s48, 0xffff
	s_ashr_i32 s61, s24, 31
	s_mul_f32 s0, s0, 0x4f7ffffe
	v_readfirstlane_b32 s39, v3
	s_mul_f32 s1, s1, 0x4f7ffffe
	s_ashr_i32 s65, s55, 31
	s_cvt_u32_f32 s0, s0
	s_lshl_b64 s[46:47], s[68:69], 1
	s_mul_f32 s2, s39, 0x4f7ffffe
	s_cvt_u32_f32 s1, s1
	s_mul_i32 s38, s38, s0
	s_sub_co_i32 s48, 0, s52
	s_mul_hi_u32 s38, s0, s38
	s_wait_alu 0xfffe
	s_cvt_u32_f32 s2, s2
	s_add_co_i32 s63, s0, s38
	s_sub_co_i32 s0, 0, s59
	s_mul_i32 s44, s44, s1
	s_wait_alu 0xfffe
	s_mul_i32 s0, s0, s2
	s_mul_hi_u32 s38, s1, s44
	s_mul_hi_u32 s0, s2, s0
	s_add_co_i32 s64, s1, s38
	s_add_co_i32 s66, s2, s0
	s_lshl_b64 s[38:39], s[72:73], 1
	s_lshl_b64 s[44:45], s[70:71], 1
	s_branch .LBB57_3
.LBB57_2:                               ;   in Loop: Header=BB57_3 Depth=1
	v_add_nc_u32_e32 v0, s60, v0
	s_delay_alu instid0(VALU_DEP_1)
	v_cmp_le_i32_e32 vcc_lo, s33, v0
	s_or_b32 s67, vcc_lo, s67
	s_wait_alu 0xfffe
	s_and_not1_b32 exec_lo, exec_lo, s67
	s_cbranch_execz .LBB57_20
.LBB57_3:                               ; =>This Loop Header: Depth=1
                                        ;     Child Loop BB57_8 Depth 2
                                        ;       Child Loop BB57_11 Depth 3
                                        ;         Child Loop BB57_14 Depth 4
	v_sub_nc_u32_e32 v1, 0, v0
	s_mov_b32 s50, -1
	s_delay_alu instid0(VALU_DEP_1) | instskip(NEXT) | instid1(VALU_DEP_1)
	v_max_i32_e32 v4, v0, v1
	v_mul_hi_u32 v1, v4, s63
	s_delay_alu instid0(VALU_DEP_1) | instskip(NEXT) | instid1(VALU_DEP_1)
	v_mul_lo_u32 v2, v1, s57
	v_sub_nc_u32_e32 v2, v4, v2
	s_delay_alu instid0(VALU_DEP_1) | instskip(SKIP_2) | instid1(VALU_DEP_2)
	v_subrev_nc_u32_e32 v7, s57, v2
	v_cmp_le_u32_e32 vcc_lo, s57, v2
	s_wait_alu 0xfffd
	v_dual_cndmask_b32 v2, v2, v7 :: v_dual_add_nc_u32 v3, 1, v1
	s_delay_alu instid0(VALU_DEP_1) | instskip(SKIP_1) | instid1(VALU_DEP_3)
	v_cndmask_b32_e32 v3, v1, v3, vcc_lo
	v_ashrrev_i32_e32 v1, 31, v0
	v_cmp_le_u32_e32 vcc_lo, s57, v2
	s_delay_alu instid0(VALU_DEP_3) | instskip(NEXT) | instid1(VALU_DEP_3)
	v_add_nc_u32_e32 v7, 1, v3
	v_xor_b32_e32 v8, s61, v1
	s_wait_alu 0xfffd
	s_delay_alu instid0(VALU_DEP_2) | instskip(NEXT) | instid1(VALU_DEP_1)
	v_cndmask_b32_e32 v2, v3, v7, vcc_lo
	v_xor_b32_e32 v2, v2, v8
	s_delay_alu instid0(VALU_DEP_1) | instskip(NEXT) | instid1(VALU_DEP_1)
	v_sub_nc_u32_e32 v2, v2, v8
	v_sub_nc_u32_e32 v3, 0, v2
	s_delay_alu instid0(VALU_DEP_1) | instskip(SKIP_1) | instid1(VALU_DEP_2)
	v_max_i32_e32 v7, v2, v3
	v_mul_hi_u32 v3, v4, s66
	v_mul_hi_u32 v8, v7, s64
	s_delay_alu instid0(VALU_DEP_2) | instskip(NEXT) | instid1(VALU_DEP_2)
	v_mul_lo_u32 v9, v3, s59
	v_mul_lo_u32 v8, v8, s58
	s_delay_alu instid0(VALU_DEP_2) | instskip(NEXT) | instid1(VALU_DEP_2)
	v_sub_nc_u32_e32 v4, v4, v9
	v_sub_nc_u32_e32 v7, v7, v8
	v_mul_lo_u32 v8, v2, s24
	s_delay_alu instid0(VALU_DEP_3) | instskip(SKIP_1) | instid1(VALU_DEP_4)
	v_subrev_nc_u32_e32 v9, s59, v4
	v_cmp_le_u32_e64 s0, s59, v4
	v_subrev_nc_u32_e32 v10, s58, v7
	v_cmp_le_u32_e32 vcc_lo, s58, v7
	s_wait_alu 0xf1ff
	s_delay_alu instid0(VALU_DEP_3) | instskip(SKIP_3) | instid1(VALU_DEP_3)
	v_cndmask_b32_e64 v9, v4, v9, s0
	s_wait_alu 0xfffd
	v_cndmask_b32_e32 v4, v7, v10, vcc_lo
	v_sub_nc_u32_e32 v7, v0, v8
	v_cmp_le_u32_e64 s1, s59, v9
	s_and_not1_b32 vcc_lo, exec_lo, s23
	v_cmp_le_u32_e64 s2, s58, v4
	v_ashrrev_i32_e32 v8, 31, v7
	s_wait_alu 0xfffe
	s_cbranch_vccnz .LBB57_5
; %bb.4:                                ;   in Loop: Header=BB57_3 Depth=1
	s_mov_b32 s50, 0
.LBB57_5:                               ;   in Loop: Header=BB57_3 Depth=1
	v_add_nc_u32_e32 v9, 1, v3
	v_ashrrev_i32_e32 v2, 31, v2
	s_and_not1_b32 vcc_lo, exec_lo, s50
	s_delay_alu instid0(VALU_DEP_2) | instskip(SKIP_1) | instid1(VALU_DEP_2)
	v_cndmask_b32_e64 v3, v3, v9, s0
	v_subrev_nc_u32_e32 v9, s58, v4
	v_add_nc_u32_e32 v10, 1, v3
	s_wait_alu 0xf1ff
	s_delay_alu instid0(VALU_DEP_2) | instskip(SKIP_1) | instid1(VALU_DEP_3)
	v_cndmask_b32_e64 v4, v4, v9, s2
	v_xor_b32_e32 v9, s65, v1
	v_cndmask_b32_e64 v1, v3, v10, s1
	s_delay_alu instid0(VALU_DEP_3) | instskip(NEXT) | instid1(VALU_DEP_2)
	v_xor_b32_e32 v3, v4, v2
	v_xor_b32_e32 v4, v1, v9
	s_delay_alu instid0(VALU_DEP_2) | instskip(SKIP_2) | instid1(VALU_DEP_4)
	v_sub_nc_u32_e32 v10, v3, v2
	v_mov_b32_e32 v1, 0
	v_mov_b32_e32 v2, 0
	v_sub_nc_u32_e32 v9, v4, v9
	s_wait_alu 0xfffe
	s_cbranch_vccnz .LBB57_16
; %bb.6:                                ;   in Loop: Header=BB57_3 Depth=1
	v_mul_lo_u32 v3, s5, v7
	v_mul_lo_u32 v4, s4, v8
	v_mad_co_u64_u32 v[1:2], null, s4, v7, 0
	v_mul_lo_u32 v11, v9, s29
	s_mov_b32 s2, 0
	s_mov_b64 s[50:51], s[36:37]
	s_delay_alu instid0(VALU_DEP_2) | instskip(SKIP_1) | instid1(VALU_DEP_2)
	v_add3_u32 v2, v2, v4, v3
	v_mad_co_u64_u32 v[3:4], null, v10, s30, s[48:49]
	v_lshlrev_b64_e32 v[12:13], 1, v[1:2]
	v_mov_b32_e32 v1, 0
	v_mov_b32_e32 v2, 0
	s_delay_alu instid0(VALU_DEP_3) | instskip(SKIP_1) | instid1(VALU_DEP_4)
	v_add_co_u32 v4, vcc_lo, s6, v12
	s_wait_alu 0xfffd
	v_add_co_ci_u32_e64 v12, null, s7, v13, vcc_lo
	s_branch .LBB57_8
.LBB57_7:                               ;   in Loop: Header=BB57_8 Depth=2
	s_add_co_i32 s2, s2, 1
	s_add_nc_u64 s[50:51], s[50:51], s[38:39]
	s_wait_alu 0xfffe
	s_cmp_eq_u32 s2, s22
	s_cbranch_scc1 .LBB57_16
.LBB57_8:                               ;   Parent Loop BB57_3 Depth=1
                                        ; =>  This Loop Header: Depth=2
                                        ;       Child Loop BB57_11 Depth 3
                                        ;         Child Loop BB57_14 Depth 4
	s_and_not1_b32 vcc_lo, exec_lo, s49
	s_wait_alu 0xfffe
	s_cbranch_vccnz .LBB57_7
; %bb.9:                                ;   in Loop: Header=BB57_8 Depth=2
	s_mul_u64 s[0:1], s[12:13], s[2:3]
	s_mov_b32 s68, 0
	s_wait_alu 0xfffe
	s_lshl_b64 s[0:1], s[0:1], 1
	s_mov_b64 s[52:53], s[50:51]
	s_wait_alu 0xfffe
	v_add_co_u32 v13, vcc_lo, v4, s0
	s_wait_alu 0xfffd
	v_add_co_ci_u32_e64 v14, null, s1, v12, vcc_lo
	s_branch .LBB57_11
.LBB57_10:                              ;   in Loop: Header=BB57_11 Depth=3
	s_add_co_i32 s68, s68, 1
	s_add_nc_u64 s[52:53], s[52:53], s[44:45]
	s_cmp_eq_u32 s68, s25
	s_cbranch_scc1 .LBB57_7
.LBB57_11:                              ;   Parent Loop BB57_3 Depth=1
                                        ;     Parent Loop BB57_8 Depth=2
                                        ; =>    This Loop Header: Depth=3
                                        ;         Child Loop BB57_14 Depth 4
	s_and_not1_b32 vcc_lo, exec_lo, s56
	s_wait_alu 0xfffe
	s_cbranch_vccnz .LBB57_10
; %bb.12:                               ;   in Loop: Header=BB57_11 Depth=3
	s_mul_i32 s0, s68, s27
	s_mov_b64 s[54:55], s[52:53]
	s_wait_alu 0xfffe
	s_sub_co_i32 s0, s0, s31
	s_mov_b32 s69, s26
	s_wait_alu 0xfffe
	v_add_nc_u32_e32 v18, s0, v11
	s_delay_alu instid0(VALU_DEP_1) | instskip(NEXT) | instid1(VALU_DEP_1)
	v_mad_co_u64_u32 v[15:16], null, s10, v18, 0
	v_mad_co_u64_u32 v[16:17], null, s11, v18, v[16:17]
	v_mov_b32_e32 v17, v3
	v_cmp_gt_i32_e32 vcc_lo, 0, v18
	v_cmp_le_i32_e64 s0, s20, v18
	s_delay_alu instid0(VALU_DEP_4) | instskip(NEXT) | instid1(VALU_DEP_1)
	v_lshlrev_b64_e32 v[15:16], 1, v[15:16]
	v_add_co_u32 v15, s1, v13, v15
	s_wait_alu 0xf1ff
	s_delay_alu instid0(VALU_DEP_2)
	v_add_co_ci_u32_e64 v16, null, v14, v16, s1
	s_or_b32 s1, vcc_lo, s0
	s_branch .LBB57_14
.LBB57_13:                              ;   in Loop: Header=BB57_14 Depth=4
	s_wait_alu 0xfffe
	s_or_b32 exec_lo, exec_lo, s0
	v_add_nc_u32_e32 v17, s28, v17
	s_add_co_i32 s69, s69, -1
	s_add_nc_u64 s[54:55], s[54:55], s[46:47]
	s_cmp_eq_u32 s69, 0
	s_cbranch_scc1 .LBB57_10
.LBB57_14:                              ;   Parent Loop BB57_3 Depth=1
                                        ;     Parent Loop BB57_8 Depth=2
                                        ;       Parent Loop BB57_11 Depth=3
                                        ; =>      This Inner Loop Header: Depth=4
	v_cmp_gt_i32_e32 vcc_lo, 0, v17
	v_cmp_le_i32_e64 s0, s21, v17
	s_or_b32 s0, vcc_lo, s0
	s_wait_alu 0xfffe
	s_nor_b32 s70, s1, s0
	s_delay_alu instid0(SALU_CYCLE_1)
	s_and_saveexec_b32 s0, s70
	s_cbranch_execz .LBB57_13
; %bb.15:                               ;   in Loop: Header=BB57_14 Depth=4
	v_mad_co_u64_u32 v[18:19], null, s8, v17, 0
	s_delay_alu instid0(VALU_DEP_1) | instskip(NEXT) | instid1(VALU_DEP_1)
	v_mad_co_u64_u32 v[19:20], null, s9, v17, v[19:20]
	v_lshlrev_b64_e32 v[18:19], 1, v[18:19]
	s_delay_alu instid0(VALU_DEP_1) | instskip(SKIP_1) | instid1(VALU_DEP_2)
	v_add_co_u32 v18, vcc_lo, v15, v18
	s_wait_alu 0xfffd
	v_add_co_ci_u32_e64 v19, null, v16, v19, vcc_lo
	global_load_u16 v18, v[18:19], off
	global_load_u16 v19, v5, s[54:55]
	s_wait_loadcnt 0x1
	v_cvt_f32_f16_e32 v18, v18
	s_wait_loadcnt 0x0
	v_cvt_f32_f16_e32 v20, v19
	s_delay_alu instid0(VALU_DEP_2) | instskip(NEXT) | instid1(VALU_DEP_2)
	v_cvt_f64_f32_e32 v[18:19], v18
	v_cvt_f64_f32_e32 v[20:21], v20
	s_delay_alu instid0(VALU_DEP_1)
	v_fma_f64 v[1:2], v[18:19], v[20:21], v[1:2]
	s_branch .LBB57_13
.LBB57_16:                              ;   in Loop: Header=BB57_3 Depth=1
	v_ashrrev_i32_e32 v11, 31, v10
	v_mul_lo_u32 v12, s17, v10
	v_mad_co_u64_u32 v[3:4], null, s16, v10, 0
	s_and_b32 vcc_lo, exec_lo, s62
	v_mul_lo_u32 v10, s16, v11
	v_ashrrev_i32_e32 v11, 31, v9
	s_mov_b32 s0, -1
	s_delay_alu instid0(VALU_DEP_1) | instskip(NEXT) | instid1(VALU_DEP_3)
	v_mul_lo_u32 v11, s18, v11
	v_add3_u32 v4, v4, v10, v12
	v_mul_lo_u32 v10, s19, v9
	s_delay_alu instid0(VALU_DEP_2) | instskip(SKIP_1) | instid1(VALU_DEP_2)
	v_mad_co_u64_u32 v[3:4], null, s18, v9, v[3:4]
	v_mul_lo_u32 v9, v7, s15
	v_add3_u32 v4, v10, v4, v11
	s_delay_alu instid0(VALU_DEP_1) | instskip(SKIP_1) | instid1(VALU_DEP_1)
	v_mad_co_u64_u32 v[3:4], null, v7, s14, v[3:4]
	v_mul_lo_u32 v7, v8, s14
	v_add3_u32 v4, v7, v4, v9
	s_delay_alu instid0(VALU_DEP_1)
	v_lshlrev_b64_e32 v[3:4], 1, v[3:4]
	s_wait_alu 0xfffe
	s_cbranch_vccz .LBB57_18
; %bb.17:                               ;   in Loop: Header=BB57_3 Depth=1
	s_delay_alu instid0(VALU_DEP_1) | instskip(SKIP_1) | instid1(VALU_DEP_2)
	v_add_co_u32 v7, vcc_lo, s34, v3
	s_wait_alu 0xfffd
	v_add_co_ci_u32_e64 v8, null, s35, v4, vcc_lo
	s_mov_b32 s0, 0
	global_load_u16 v9, v[7:8], off
	s_wait_loadcnt 0x0
	v_cvt_f32_f16_e32 v9, v9
	s_delay_alu instid0(VALU_DEP_1) | instskip(NEXT) | instid1(VALU_DEP_1)
	v_cvt_f64_f32_e32 v[9:10], v9
	v_mul_f64_e32 v[9:10], s[42:43], v[9:10]
	s_delay_alu instid0(VALU_DEP_1) | instskip(NEXT) | instid1(VALU_DEP_1)
	v_fma_f64 v[9:10], s[40:41], v[1:2], v[9:10]
	v_and_or_b32 v9, 0x1ff, v10, v9
	v_lshrrev_b32_e32 v11, 8, v10
	v_bfe_u32 v12, v10, 20, 11
	v_lshrrev_b32_e32 v10, 16, v10
	s_delay_alu instid0(VALU_DEP_4) | instskip(NEXT) | instid1(VALU_DEP_3)
	v_cmp_ne_u32_e32 vcc_lo, 0, v9
	v_sub_nc_u32_e32 v13, 0x3f1, v12
	s_wait_alu 0xfffd
	v_cndmask_b32_e64 v9, 0, 1, vcc_lo
	s_delay_alu instid0(VALU_DEP_1) | instskip(NEXT) | instid1(VALU_DEP_3)
	v_and_or_b32 v9, 0xffe, v11, v9
	v_med3_i32 v11, v13, 0, 13
	s_delay_alu instid0(VALU_DEP_2) | instskip(NEXT) | instid1(VALU_DEP_1)
	v_or_b32_e32 v13, 0x1000, v9
	v_lshrrev_b32_e32 v14, v11, v13
	s_delay_alu instid0(VALU_DEP_1) | instskip(NEXT) | instid1(VALU_DEP_1)
	v_lshlrev_b32_e32 v11, v11, v14
	v_cmp_ne_u32_e32 vcc_lo, v11, v13
	s_wait_alu 0xfffd
	v_cndmask_b32_e64 v11, 0, 1, vcc_lo
	s_delay_alu instid0(VALU_DEP_1) | instskip(SKIP_1) | instid1(VALU_DEP_1)
	v_or_b32_e32 v11, v14, v11
	v_add_nc_u32_e32 v12, 0xfffffc10, v12
	v_lshl_or_b32 v13, v12, 12, v9
	v_cmp_gt_i32_e32 vcc_lo, 1, v12
	s_wait_alu 0xfffd
	s_delay_alu instid0(VALU_DEP_2) | instskip(NEXT) | instid1(VALU_DEP_1)
	v_cndmask_b32_e32 v11, v13, v11, vcc_lo
	v_and_b32_e32 v13, 7, v11
	v_lshrrev_b32_e32 v11, 2, v11
	s_delay_alu instid0(VALU_DEP_2)
	v_cmp_lt_i32_e32 vcc_lo, 5, v13
	s_wait_alu 0xfffd
	v_cndmask_b32_e64 v14, 0, 1, vcc_lo
	v_cmp_eq_u32_e32 vcc_lo, 3, v13
	s_wait_alu 0xfffd
	v_cndmask_b32_e64 v13, 0, 1, vcc_lo
	v_cmp_ne_u32_e32 vcc_lo, 0, v9
	s_delay_alu instid0(VALU_DEP_2) | instskip(SKIP_3) | instid1(VALU_DEP_3)
	v_or_b32_e32 v13, v13, v14
	s_wait_alu 0xfffd
	v_cndmask_b32_e32 v9, 0x7c00, v6, vcc_lo
	v_cmp_gt_i32_e32 vcc_lo, 31, v12
	v_add_nc_u32_e32 v11, v11, v13
	s_wait_alu 0xfffd
	s_delay_alu instid0(VALU_DEP_1) | instskip(SKIP_2) | instid1(VALU_DEP_2)
	v_cndmask_b32_e32 v11, 0x7c00, v11, vcc_lo
	v_cmp_eq_u32_e32 vcc_lo, 0x40f, v12
	s_wait_alu 0xfffd
	v_cndmask_b32_e32 v9, v11, v9, vcc_lo
	s_delay_alu instid0(VALU_DEP_1)
	v_and_or_b32 v9, 0x8000, v10, v9
	global_store_b16 v[7:8], v9, off
.LBB57_18:                              ;   in Loop: Header=BB57_3 Depth=1
	s_wait_alu 0xfffe
	s_and_not1_b32 vcc_lo, exec_lo, s0
	s_wait_alu 0xfffe
	s_cbranch_vccnz .LBB57_2
; %bb.19:                               ;   in Loop: Header=BB57_3 Depth=1
	v_and_or_b32 v1, 0x1ff, v2, v1
	v_lshrrev_b32_e32 v7, 8, v2
	v_bfe_u32 v8, v2, 20, 11
	v_lshrrev_b32_e32 v2, 16, v2
	s_delay_alu instid0(VALU_DEP_4) | instskip(NEXT) | instid1(VALU_DEP_3)
	v_cmp_ne_u32_e32 vcc_lo, 0, v1
	v_sub_nc_u32_e32 v9, 0x3f1, v8
	s_wait_alu 0xfffd
	v_cndmask_b32_e64 v1, 0, 1, vcc_lo
	s_delay_alu instid0(VALU_DEP_1) | instskip(NEXT) | instid1(VALU_DEP_3)
	v_and_or_b32 v1, 0xffe, v7, v1
	v_med3_i32 v7, v9, 0, 13
	s_delay_alu instid0(VALU_DEP_2) | instskip(NEXT) | instid1(VALU_DEP_1)
	v_or_b32_e32 v9, 0x1000, v1
	v_lshrrev_b32_e32 v10, v7, v9
	s_delay_alu instid0(VALU_DEP_1) | instskip(NEXT) | instid1(VALU_DEP_1)
	v_lshlrev_b32_e32 v7, v7, v10
	v_cmp_ne_u32_e32 vcc_lo, v7, v9
	s_wait_alu 0xfffd
	v_cndmask_b32_e64 v7, 0, 1, vcc_lo
	s_delay_alu instid0(VALU_DEP_1) | instskip(SKIP_1) | instid1(VALU_DEP_1)
	v_or_b32_e32 v7, v10, v7
	v_add_nc_u32_e32 v8, 0xfffffc10, v8
	v_lshl_or_b32 v9, v8, 12, v1
	v_cmp_gt_i32_e32 vcc_lo, 1, v8
	s_wait_alu 0xfffd
	s_delay_alu instid0(VALU_DEP_2) | instskip(NEXT) | instid1(VALU_DEP_1)
	v_cndmask_b32_e32 v7, v9, v7, vcc_lo
	v_and_b32_e32 v9, 7, v7
	v_lshrrev_b32_e32 v7, 2, v7
	s_delay_alu instid0(VALU_DEP_2)
	v_cmp_lt_i32_e32 vcc_lo, 5, v9
	s_wait_alu 0xfffd
	v_cndmask_b32_e64 v10, 0, 1, vcc_lo
	v_cmp_eq_u32_e32 vcc_lo, 3, v9
	s_wait_alu 0xfffd
	v_cndmask_b32_e64 v9, 0, 1, vcc_lo
	v_cmp_ne_u32_e32 vcc_lo, 0, v1
	s_delay_alu instid0(VALU_DEP_2) | instskip(SKIP_3) | instid1(VALU_DEP_3)
	v_or_b32_e32 v9, v9, v10
	s_wait_alu 0xfffd
	v_cndmask_b32_e32 v1, 0x7c00, v6, vcc_lo
	v_cmp_gt_i32_e32 vcc_lo, 31, v8
	v_add_nc_u32_e32 v7, v7, v9
	s_wait_alu 0xfffd
	s_delay_alu instid0(VALU_DEP_1) | instskip(SKIP_2) | instid1(VALU_DEP_2)
	v_cndmask_b32_e32 v7, 0x7c00, v7, vcc_lo
	v_cmp_eq_u32_e32 vcc_lo, 0x40f, v8
	s_wait_alu 0xfffd
	v_cndmask_b32_e32 v1, v7, v1, vcc_lo
	s_delay_alu instid0(VALU_DEP_1)
	v_and_or_b32 v7, 0x8000, v2, v1
	v_add_co_u32 v1, vcc_lo, s34, v3
	s_wait_alu 0xfffd
	v_add_co_ci_u32_e64 v2, null, s35, v4, vcc_lo
	global_store_b16 v[1:2], v7, off
	s_branch .LBB57_2
.LBB57_20:
	s_endpgm
	.section	.rodata,"a",@progbits
	.p2align	6, 0x0
	.amdhsa_kernel naive_conv_ab_nonpacked_wrw_nhwc_half_double_half_0
		.amdhsa_group_segment_fixed_size 0
		.amdhsa_private_segment_fixed_size 0
		.amdhsa_kernarg_size 480
		.amdhsa_user_sgpr_count 2
		.amdhsa_user_sgpr_dispatch_ptr 0
		.amdhsa_user_sgpr_queue_ptr 0
		.amdhsa_user_sgpr_kernarg_segment_ptr 1
		.amdhsa_user_sgpr_dispatch_id 0
		.amdhsa_user_sgpr_private_segment_size 0
		.amdhsa_wavefront_size32 1
		.amdhsa_uses_dynamic_stack 0
		.amdhsa_enable_private_segment 0
		.amdhsa_system_sgpr_workgroup_id_x 1
		.amdhsa_system_sgpr_workgroup_id_y 0
		.amdhsa_system_sgpr_workgroup_id_z 0
		.amdhsa_system_sgpr_workgroup_info 0
		.amdhsa_system_vgpr_workitem_id 0
		.amdhsa_next_free_vgpr 22
		.amdhsa_next_free_sgpr 74
		.amdhsa_reserve_vcc 1
		.amdhsa_float_round_mode_32 0
		.amdhsa_float_round_mode_16_64 0
		.amdhsa_float_denorm_mode_32 3
		.amdhsa_float_denorm_mode_16_64 3
		.amdhsa_fp16_overflow 0
		.amdhsa_workgroup_processor_mode 1
		.amdhsa_memory_ordered 1
		.amdhsa_forward_progress 1
		.amdhsa_inst_pref_size 19
		.amdhsa_round_robin_scheduling 0
		.amdhsa_exception_fp_ieee_invalid_op 0
		.amdhsa_exception_fp_denorm_src 0
		.amdhsa_exception_fp_ieee_div_zero 0
		.amdhsa_exception_fp_ieee_overflow 0
		.amdhsa_exception_fp_ieee_underflow 0
		.amdhsa_exception_fp_ieee_inexact 0
		.amdhsa_exception_int_div_zero 0
	.end_amdhsa_kernel
	.text
.Lfunc_end57:
	.size	naive_conv_ab_nonpacked_wrw_nhwc_half_double_half_0, .Lfunc_end57-naive_conv_ab_nonpacked_wrw_nhwc_half_double_half_0
                                        ; -- End function
	.set naive_conv_ab_nonpacked_wrw_nhwc_half_double_half_0.num_vgpr, 22
	.set naive_conv_ab_nonpacked_wrw_nhwc_half_double_half_0.num_agpr, 0
	.set naive_conv_ab_nonpacked_wrw_nhwc_half_double_half_0.numbered_sgpr, 74
	.set naive_conv_ab_nonpacked_wrw_nhwc_half_double_half_0.num_named_barrier, 0
	.set naive_conv_ab_nonpacked_wrw_nhwc_half_double_half_0.private_seg_size, 0
	.set naive_conv_ab_nonpacked_wrw_nhwc_half_double_half_0.uses_vcc, 1
	.set naive_conv_ab_nonpacked_wrw_nhwc_half_double_half_0.uses_flat_scratch, 0
	.set naive_conv_ab_nonpacked_wrw_nhwc_half_double_half_0.has_dyn_sized_stack, 0
	.set naive_conv_ab_nonpacked_wrw_nhwc_half_double_half_0.has_recursion, 0
	.set naive_conv_ab_nonpacked_wrw_nhwc_half_double_half_0.has_indirect_call, 0
	.section	.AMDGPU.csdata,"",@progbits
; Kernel info:
; codeLenInByte = 2328
; TotalNumSgprs: 76
; NumVgprs: 22
; ScratchSize: 0
; MemoryBound: 0
; FloatMode: 240
; IeeeMode: 1
; LDSByteSize: 0 bytes/workgroup (compile time only)
; SGPRBlocks: 0
; VGPRBlocks: 2
; NumSGPRsForWavesPerEU: 76
; NumVGPRsForWavesPerEU: 22
; Occupancy: 16
; WaveLimiterHint : 0
; COMPUTE_PGM_RSRC2:SCRATCH_EN: 0
; COMPUTE_PGM_RSRC2:USER_SGPR: 2
; COMPUTE_PGM_RSRC2:TRAP_HANDLER: 0
; COMPUTE_PGM_RSRC2:TGID_X_EN: 1
; COMPUTE_PGM_RSRC2:TGID_Y_EN: 0
; COMPUTE_PGM_RSRC2:TGID_Z_EN: 0
; COMPUTE_PGM_RSRC2:TIDIG_COMP_CNT: 0
	.text
	.protected	naive_conv_ab_packed_wrw_nhwc_ushort_double_ushort_0 ; -- Begin function naive_conv_ab_packed_wrw_nhwc_ushort_double_ushort_0
	.globl	naive_conv_ab_packed_wrw_nhwc_ushort_double_ushort_0
	.p2align	8
	.type	naive_conv_ab_packed_wrw_nhwc_ushort_double_ushort_0,@function
naive_conv_ab_packed_wrw_nhwc_ushort_double_ushort_0: ; @naive_conv_ab_packed_wrw_nhwc_ushort_double_ushort_0
; %bb.0:
	s_load_b512 s[4:19], s[0:1], 0xa0
	s_mov_b32 s3, exec_lo
	s_wait_kmcnt 0x0
	s_abs_i32 s29, s7
	s_mul_i32 s36, s18, s8
	s_cvt_f32_u32 s2, s29
	s_mul_i32 s33, s36, s17
	s_delay_alu instid0(SALU_CYCLE_2) | instskip(NEXT) | instid1(TRANS32_DEP_1)
	v_rcp_iflag_f32_e32 v1, s2
	v_readfirstlane_b32 s2, v1
	v_cmpx_gt_i32_e64 s33, v0
	s_cbranch_execz .LBB58_20
; %bb.1:
	s_mul_f32 s2, s2, 0x4f7ffffe
	s_sub_co_i32 s3, 0, s29
	s_ashr_i32 s37, ttmp9, 31
	s_ashr_i32 s39, s7, 31
	s_wait_alu 0xfffe
	s_cvt_u32_f32 s28, s2
	s_abs_i32 s2, ttmp9
	s_clause 0x1
	s_load_b256 s[20:27], s[0:1], 0x0
	s_load_b64 s[34:35], s[0:1], 0x20
	s_xor_b32 s37, s37, s39
	s_mul_i32 s30, s3, s28
	s_mov_b32 s3, 0
	s_mul_hi_u32 s30, s28, s30
	s_wait_alu 0xfffe
	s_mov_b32 s31, s3
	s_add_co_i32 s30, s28, s30
	s_mov_b32 s40, s17
	s_mul_u64 s[30:31], s[2:3], s[30:31]
	s_mov_b32 s28, s8
	s_mul_i32 s41, s31, s29
	s_mov_b32 s38, s7
	s_sub_co_i32 s2, s2, s41
	s_add_co_i32 s41, s31, 1
	s_wait_alu 0xfffe
	s_sub_co_i32 s42, s2, s29
	s_cmp_ge_u32 s2, s29
	s_mov_b32 s30, s18
	s_cselect_b32 s31, s41, s31
	s_cselect_b32 s2, s42, s2
	s_add_co_i32 s41, s31, 1
	s_wait_alu 0xfffe
	s_cmp_ge_u32 s2, s29
	s_wait_kmcnt 0x0
	v_cmp_neq_f64_e64 s56, s[24:25], 1.0
	s_cselect_b32 s31, s41, s31
	s_ashr_i32 s41, s17, 31
	s_xor_b32 s31, s31, s37
	s_ashr_i32 s29, s8, 31
	s_sub_co_i32 s42, s31, s37
	s_mul_u64 s[40:41], s[40:41], s[28:29]
	s_mul_i32 s17, s42, s7
	s_ashr_i32 s43, s42, 31
	s_sub_co_i32 s44, ttmp9, s17
	s_mul_u64 s[38:39], s[42:43], s[38:39]
	s_ashr_i32 s31, s18, 31
	s_ashr_i32 s45, s44, 31
	v_cmp_neq_f64_e64 s2, s[26:27], 0
	s_mul_u64 s[40:41], s[40:41], s[30:31]
	s_add_nc_u64 s[46:47], s[38:39], s[44:45]
	s_mul_u64 s[42:43], s[42:43], s[28:29]
	s_mul_u64 s[40:41], s[40:41], s[46:47]
	s_lshl_b64 s[42:43], s[42:43], 1
	s_lshl_b64 s[38:39], s[38:39], 1
	;; [unrolled: 1-line block ×4, first 2 shown]
	s_cmp_lt_i32 s6, 1
	s_load_b32 s17, s[0:1], 0xec
	s_cselect_b32 s31, -1, 0
	s_cmp_gt_i32 s9, 0
	s_add_nc_u64 s[0:1], s[34:35], s[38:39]
	s_cselect_b32 s48, -1, 0
	s_cmp_gt_i32 s10, 0
	s_add_nc_u64 s[34:35], s[0:1], s[44:45]
	s_cselect_b32 s49, -1, 0
	s_abs_i32 s50, s8
	s_mul_i32 s0, s19, s7
	s_cvt_f32_u32 s1, s50
	s_abs_i32 s7, s18
	s_abs_i32 s55, s36
	s_mul_i32 s51, s19, s8
	v_rcp_iflag_f32_e32 v1, s1
	s_cvt_f32_u32 s1, s7
	s_add_nc_u64 s[20:21], s[20:21], s[42:43]
	s_sub_co_i32 s42, 0, s7
	s_add_nc_u64 s[22:23], s[22:23], s[40:41]
	s_wait_alu 0xfffe
	v_rcp_iflag_f32_e32 v2, s1
	s_cvt_f32_u32 s1, s55
	s_wait_kmcnt 0x0
	s_and_b32 s57, s17, 0xffff
	s_sub_co_i32 s17, 0, s50
	s_ashr_i32 s41, s10, 31
	v_readfirstlane_b32 s8, v1
	s_wait_alu 0xfffe
	v_rcp_iflag_f32_e32 v1, s1
	s_mov_b32 s40, s10
	s_ashr_i32 s1, s0, 31
	s_or_b32 s56, s56, s2
	v_readfirstlane_b32 s37, v2
	s_mul_f32 s8, s8, 0x4f7ffffe
	s_ashr_i32 s39, s9, 31
	s_mov_b32 s38, s9
	s_wait_alu 0xfffe
	s_mul_u64 s[40:41], s[40:41], s[0:1]
	s_cvt_u32_f32 s2, s8
	s_mul_f32 s8, s37, 0x4f7ffffe
	v_readfirstlane_b32 s37, v1
	s_ashr_i32 s60, s36, 31
	s_wait_alu 0xfffe
	s_mul_i32 s17, s17, s2
	s_cvt_u32_f32 s8, s8
	s_mul_hi_u32 s17, s2, s17
	s_mul_f32 s37, s37, 0x4f7ffffe
	s_add_co_i32 s58, s2, s17
	s_mul_i32 s42, s42, s8
	s_ashr_i32 s19, s4, 31
	s_cvt_u32_f32 s17, s37
	s_sub_co_i32 s37, 0, s55
	s_mul_hi_u32 s2, s8, s42
	s_mov_b32 s18, s4
	s_mul_i32 s37, s37, s17
	s_wait_alu 0xfffe
	s_add_co_i32 s59, s8, s2
	s_mul_hi_u32 s2, s17, s37
	s_mul_u64 s[36:37], s[40:41], s[38:39]
	s_ashr_i32 s52, s5, 31
	s_mov_b32 s53, s5
	s_ashr_i32 s54, s51, 31
	s_wait_alu 0xfffe
	s_add_co_i32 s61, s17, s2
	s_lshl_b64 s[36:37], s[36:37], 1
	s_lshl_b64 s[38:39], s[40:41], 1
	;; [unrolled: 1-line block ×3, first 2 shown]
	s_sub_co_i32 s8, 0, s16
	s_mov_b32 s62, 0
	s_branch .LBB58_3
.LBB58_2:                               ;   in Loop: Header=BB58_3 Depth=1
	v_add_nc_u32_e32 v0, s57, v0
	s_delay_alu instid0(VALU_DEP_1) | instskip(SKIP_1) | instid1(SALU_CYCLE_1)
	v_cmp_le_i32_e32 vcc_lo, s33, v0
	s_or_b32 s62, vcc_lo, s62
	s_and_not1_b32 exec_lo, exec_lo, s62
	s_cbranch_execz .LBB58_20
.LBB58_3:                               ; =>This Loop Header: Depth=1
                                        ;     Child Loop BB58_8 Depth 2
                                        ;       Child Loop BB58_11 Depth 3
                                        ;         Child Loop BB58_14 Depth 4
	v_sub_nc_u32_e32 v1, 0, v0
	s_mov_b32 s16, -1
	s_delay_alu instid0(VALU_DEP_1) | instskip(NEXT) | instid1(VALU_DEP_1)
	v_max_i32_e32 v1, v0, v1
	v_mul_hi_u32 v2, v1, s58
	s_delay_alu instid0(VALU_DEP_1) | instskip(NEXT) | instid1(VALU_DEP_1)
	v_mul_lo_u32 v3, v2, s50
	v_sub_nc_u32_e32 v4, v1, v3
	s_delay_alu instid0(VALU_DEP_1) | instskip(SKIP_2) | instid1(VALU_DEP_2)
	v_subrev_nc_u32_e32 v5, s50, v4
	v_cmp_le_u32_e32 vcc_lo, s50, v4
	s_wait_alu 0xfffd
	v_dual_cndmask_b32 v4, v4, v5 :: v_dual_add_nc_u32 v3, 1, v2
	s_delay_alu instid0(VALU_DEP_1) | instskip(SKIP_1) | instid1(VALU_DEP_3)
	v_cndmask_b32_e32 v2, v2, v3, vcc_lo
	v_ashrrev_i32_e32 v3, 31, v0
	v_cmp_le_u32_e32 vcc_lo, s50, v4
	s_delay_alu instid0(VALU_DEP_3) | instskip(NEXT) | instid1(VALU_DEP_3)
	v_add_nc_u32_e32 v5, 1, v2
	v_xor_b32_e32 v6, s29, v3
	s_wait_alu 0xfffd
	s_delay_alu instid0(VALU_DEP_2) | instskip(SKIP_1) | instid1(VALU_DEP_2)
	v_cndmask_b32_e32 v2, v2, v5, vcc_lo
	v_mul_hi_u32 v5, v1, s61
	v_xor_b32_e32 v2, v2, v6
	s_delay_alu instid0(VALU_DEP_2) | instskip(NEXT) | instid1(VALU_DEP_2)
	v_mul_lo_u32 v7, v5, s55
	v_sub_nc_u32_e32 v4, v2, v6
	s_delay_alu instid0(VALU_DEP_1) | instskip(NEXT) | instid1(VALU_DEP_3)
	v_sub_nc_u32_e32 v2, 0, v4
	v_sub_nc_u32_e32 v1, v1, v7
	v_mul_lo_u32 v7, v4, s28
	s_delay_alu instid0(VALU_DEP_3) | instskip(NEXT) | instid1(VALU_DEP_3)
	v_max_i32_e32 v2, v4, v2
	v_cmp_le_u32_e64 s0, s55, v1
	s_delay_alu instid0(VALU_DEP_2) | instskip(NEXT) | instid1(VALU_DEP_1)
	v_mul_hi_u32 v6, v2, s59
	v_mul_lo_u32 v6, v6, s7
	s_delay_alu instid0(VALU_DEP_1) | instskip(SKIP_1) | instid1(VALU_DEP_2)
	v_sub_nc_u32_e32 v2, v2, v6
	v_subrev_nc_u32_e32 v6, s55, v1
	v_subrev_nc_u32_e32 v8, s7, v2
	v_cmp_le_u32_e32 vcc_lo, s7, v2
	s_wait_alu 0xf1ff
	s_delay_alu instid0(VALU_DEP_3) | instskip(SKIP_3) | instid1(VALU_DEP_3)
	v_cndmask_b32_e64 v9, v1, v6, s0
	v_sub_nc_u32_e32 v1, v0, v7
	s_wait_alu 0xfffd
	v_cndmask_b32_e32 v6, v2, v8, vcc_lo
	v_cmp_le_u32_e64 s1, s55, v9
	s_delay_alu instid0(VALU_DEP_3)
	v_ashrrev_i32_e32 v2, 31, v1
	s_and_not1_b32 vcc_lo, exec_lo, s31
	v_cmp_le_u32_e64 s2, s7, v6
	s_wait_alu 0xfffe
	s_cbranch_vccnz .LBB58_5
; %bb.4:                                ;   in Loop: Header=BB58_3 Depth=1
	s_mov_b32 s16, 0
.LBB58_5:                               ;   in Loop: Header=BB58_3 Depth=1
	v_add_nc_u32_e32 v7, 1, v5
	v_ashrrev_i32_e32 v4, 31, v4
	s_and_not1_b32 vcc_lo, exec_lo, s16
	s_delay_alu instid0(VALU_DEP_2) | instskip(SKIP_1) | instid1(VALU_DEP_2)
	v_cndmask_b32_e64 v5, v5, v7, s0
	v_subrev_nc_u32_e32 v7, s7, v6
	v_add_nc_u32_e32 v8, 1, v5
	s_wait_alu 0xf1ff
	s_delay_alu instid0(VALU_DEP_2) | instskip(SKIP_1) | instid1(VALU_DEP_3)
	v_cndmask_b32_e64 v6, v6, v7, s2
	v_xor_b32_e32 v7, s60, v3
	v_cndmask_b32_e64 v3, v5, v8, s1
	s_delay_alu instid0(VALU_DEP_3) | instskip(NEXT) | instid1(VALU_DEP_2)
	v_xor_b32_e32 v5, v6, v4
	v_xor_b32_e32 v6, v3, v7
	s_delay_alu instid0(VALU_DEP_2) | instskip(SKIP_2) | instid1(VALU_DEP_4)
	v_sub_nc_u32_e32 v5, v5, v4
	v_mov_b32_e32 v3, 0
	v_mov_b32_e32 v4, 0
	v_sub_nc_u32_e32 v9, v6, v7
	s_wait_alu 0xfffe
	s_cbranch_vccnz .LBB58_16
; %bb.6:                                ;   in Loop: Header=BB58_3 Depth=1
	v_lshlrev_b64_e32 v[11:12], 1, v[1:2]
	s_delay_alu instid0(VALU_DEP_2)
	v_mul_lo_u32 v10, v9, s13
	v_mad_co_u64_u32 v[6:7], null, v5, s14, s[8:9]
	v_mov_b32_e32 v3, 0
	v_mov_b32_e32 v4, 0
	v_add_co_u32 v11, vcc_lo, s20, v11
	s_wait_alu 0xfffd
	v_add_co_ci_u32_e64 v12, null, s21, v12, vcc_lo
	s_mov_b32 s2, 0
	s_mov_b64 s[16:17], s[34:35]
	s_branch .LBB58_8
.LBB58_7:                               ;   in Loop: Header=BB58_8 Depth=2
	s_add_co_i32 s2, s2, 1
	s_add_nc_u64 s[16:17], s[16:17], s[36:37]
	s_wait_alu 0xfffe
	s_cmp_eq_u32 s2, s6
	s_cbranch_scc1 .LBB58_16
.LBB58_8:                               ;   Parent Loop BB58_3 Depth=1
                                        ; =>  This Loop Header: Depth=2
                                        ;       Child Loop BB58_11 Depth 3
                                        ;         Child Loop BB58_14 Depth 4
	s_and_not1_b32 vcc_lo, exec_lo, s48
	s_wait_alu 0xfffe
	s_cbranch_vccnz .LBB58_7
; %bb.9:                                ;   in Loop: Header=BB58_8 Depth=2
	s_mul_u64 s[42:43], s[2:3], s[18:19]
	s_mov_b32 s1, 0
	s_mov_b64 s[44:45], s[16:17]
	s_branch .LBB58_11
.LBB58_10:                              ;   in Loop: Header=BB58_11 Depth=3
	s_add_co_i32 s1, s1, 1
	s_add_nc_u64 s[44:45], s[44:45], s[38:39]
	s_wait_alu 0xfffe
	s_cmp_eq_u32 s1, s9
	s_cbranch_scc1 .LBB58_7
.LBB58_11:                              ;   Parent Loop BB58_3 Depth=1
                                        ;     Parent Loop BB58_8 Depth=2
                                        ; =>    This Loop Header: Depth=3
                                        ;         Child Loop BB58_14 Depth 4
	s_and_not1_b32 vcc_lo, exec_lo, s49
	s_wait_alu 0xfffe
	s_cbranch_vccnz .LBB58_10
; %bb.12:                               ;   in Loop: Header=BB58_11 Depth=3
	s_mul_i32 s0, s1, s11
	s_mov_b64 s[46:47], s[44:45]
	s_wait_alu 0xfffe
	s_sub_co_i32 s0, s0, s15
	s_mov_b32 s64, s10
	s_wait_alu 0xfffe
	v_add_nc_u32_e32 v13, s0, v10
	s_delay_alu instid0(VALU_DEP_1) | instskip(SKIP_3) | instid1(VALU_DEP_3)
	v_add_co_u32 v7, s0, s42, v13
	s_wait_alu 0xf1ff
	v_add_co_ci_u32_e64 v8, null, s43, 0, s0
	v_cmp_gt_i32_e32 vcc_lo, 0, v13
	v_mul_lo_u32 v15, v7, s52
	v_cmp_le_i32_e64 s0, s4, v13
	s_delay_alu instid0(VALU_DEP_4) | instskip(SKIP_2) | instid1(VALU_DEP_4)
	v_mul_lo_u32 v14, v8, s53
	v_mad_co_u64_u32 v[7:8], null, v7, s53, 0
	v_mov_b32_e32 v13, v6
	s_or_b32 s63, vcc_lo, s0
	s_delay_alu instid0(VALU_DEP_2)
	v_add3_u32 v8, v8, v15, v14
	s_branch .LBB58_14
.LBB58_13:                              ;   in Loop: Header=BB58_14 Depth=4
	s_wait_alu 0xfffe
	s_or_b32 exec_lo, exec_lo, s0
	v_add_nc_u32_e32 v13, s12, v13
	s_add_co_i32 s64, s64, -1
	s_add_nc_u64 s[46:47], s[46:47], s[40:41]
	s_wait_alu 0xfffe
	s_cmp_eq_u32 s64, 0
	s_cbranch_scc1 .LBB58_10
.LBB58_14:                              ;   Parent Loop BB58_3 Depth=1
                                        ;     Parent Loop BB58_8 Depth=2
                                        ;       Parent Loop BB58_11 Depth=3
                                        ; =>      This Inner Loop Header: Depth=4
	s_delay_alu instid0(VALU_DEP_2)
	v_cmp_gt_i32_e32 vcc_lo, 0, v13
	v_cmp_le_i32_e64 s0, s5, v13
	s_or_b32 s0, vcc_lo, s0
	s_wait_alu 0xfffe
	s_nor_b32 s65, s63, s0
	s_wait_alu 0xfffe
	s_and_saveexec_b32 s0, s65
	s_cbranch_execz .LBB58_13
; %bb.15:                               ;   in Loop: Header=BB58_14 Depth=4
	v_add_co_u32 v14, vcc_lo, v7, v13
	s_wait_alu 0xfffd
	v_add_co_ci_u32_e64 v15, null, 0, v8, vcc_lo
	s_load_u16 s65, s[46:47], 0x0
	v_mul_lo_u32 v17, v14, s54
	v_mul_lo_u32 v16, v15, s51
	v_mad_co_u64_u32 v[14:15], null, v14, s51, 0
	s_delay_alu instid0(VALU_DEP_1) | instskip(NEXT) | instid1(VALU_DEP_1)
	v_add3_u32 v15, v15, v17, v16
	v_lshlrev_b64_e32 v[14:15], 1, v[14:15]
	s_wait_kmcnt 0x0
	s_lshl_b32 s65, s65, 16
	s_wait_alu 0xfffe
	v_cvt_f64_f32_e32 v[16:17], s65
	s_delay_alu instid0(VALU_DEP_2)
	v_add_co_u32 v14, vcc_lo, v11, v14
	s_wait_alu 0xfffd
	v_add_co_ci_u32_e64 v15, null, v12, v15, vcc_lo
	global_load_u16 v14, v[14:15], off
	s_wait_loadcnt 0x0
	v_lshlrev_b32_e32 v14, 16, v14
	s_delay_alu instid0(VALU_DEP_1) | instskip(NEXT) | instid1(VALU_DEP_1)
	v_cvt_f64_f32_e32 v[14:15], v14
	v_fma_f64 v[3:4], v[14:15], v[16:17], v[3:4]
	s_branch .LBB58_13
.LBB58_16:                              ;   in Loop: Header=BB58_3 Depth=1
	v_ashrrev_i32_e32 v6, 31, v5
	s_and_b32 vcc_lo, exec_lo, s56
	s_mov_b32 s0, -1
	s_delay_alu instid0(VALU_DEP_1) | instskip(NEXT) | instid1(VALU_DEP_1)
	v_mad_co_i64_i32 v[5:6], null, v9, s30, v[5:6]
	v_mul_lo_u32 v7, v5, s29
	s_delay_alu instid0(VALU_DEP_2) | instskip(SKIP_1) | instid1(VALU_DEP_1)
	v_mul_lo_u32 v6, v6, s28
	v_mad_co_u64_u32 v[1:2], null, v5, s28, v[1:2]
	v_add3_u32 v2, v6, v2, v7
	s_delay_alu instid0(VALU_DEP_1)
	v_lshlrev_b64_e32 v[1:2], 1, v[1:2]
	s_wait_alu 0xfffe
	s_cbranch_vccz .LBB58_18
; %bb.17:                               ;   in Loop: Header=BB58_3 Depth=1
	s_delay_alu instid0(VALU_DEP_1) | instskip(SKIP_1) | instid1(VALU_DEP_2)
	v_add_co_u32 v5, vcc_lo, s22, v1
	s_wait_alu 0xfffd
	v_add_co_ci_u32_e64 v6, null, s23, v2, vcc_lo
	global_load_u16 v7, v[5:6], off
	s_wait_loadcnt 0x0
	v_lshlrev_b32_e32 v7, 16, v7
	s_delay_alu instid0(VALU_DEP_1) | instskip(NEXT) | instid1(VALU_DEP_1)
	v_cvt_f64_f32_e32 v[7:8], v7
	v_mul_f64_e32 v[7:8], s[26:27], v[7:8]
	s_delay_alu instid0(VALU_DEP_1) | instskip(NEXT) | instid1(VALU_DEP_1)
	v_fma_f64 v[7:8], s[24:25], v[3:4], v[7:8]
	v_cvt_f32_f64_e32 v7, v[7:8]
	s_delay_alu instid0(VALU_DEP_1) | instskip(SKIP_2) | instid1(VALU_DEP_3)
	v_and_b32_e32 v8, 0x7f800000, v7
	v_and_b32_e32 v9, 0xffff, v7
	v_lshrrev_b32_e32 v7, 16, v7
	v_cmp_eq_u32_e32 vcc_lo, 0x7f800000, v8
	s_delay_alu instid0(VALU_DEP_3) | instskip(SKIP_4) | instid1(VALU_DEP_1)
	v_cmp_ne_u32_e64 s0, 0, v9
	s_and_b32 s0, vcc_lo, s0
	s_wait_alu 0xfffe
	v_cndmask_b32_e64 v8, 0, 1, s0
	s_mov_b32 s0, 0
	v_or_b32_e32 v7, v7, v8
	global_store_b16 v[5:6], v7, off
.LBB58_18:                              ;   in Loop: Header=BB58_3 Depth=1
	s_wait_alu 0xfffe
	s_and_not1_b32 vcc_lo, exec_lo, s0
	s_wait_alu 0xfffe
	s_cbranch_vccnz .LBB58_2
; %bb.19:                               ;   in Loop: Header=BB58_3 Depth=1
	v_cvt_f32_f64_e32 v3, v[3:4]
	s_delay_alu instid0(VALU_DEP_1) | instskip(SKIP_2) | instid1(VALU_DEP_3)
	v_and_b32_e32 v4, 0x7f800000, v3
	v_and_b32_e32 v5, 0xffff, v3
	v_lshrrev_b32_e32 v3, 16, v3
	v_cmp_eq_u32_e32 vcc_lo, 0x7f800000, v4
	s_delay_alu instid0(VALU_DEP_3)
	v_cmp_ne_u32_e64 s0, 0, v5
	s_and_b32 s0, vcc_lo, s0
	v_add_co_u32 v1, vcc_lo, s22, v1
	s_wait_alu 0xfffe
	v_cndmask_b32_e64 v4, 0, 1, s0
	s_wait_alu 0xfffd
	v_add_co_ci_u32_e64 v2, null, s23, v2, vcc_lo
	s_delay_alu instid0(VALU_DEP_2)
	v_or_b32_e32 v3, v3, v4
	global_store_b16 v[1:2], v3, off
	s_branch .LBB58_2
.LBB58_20:
	s_endpgm
	.section	.rodata,"a",@progbits
	.p2align	6, 0x0
	.amdhsa_kernel naive_conv_ab_packed_wrw_nhwc_ushort_double_ushort_0
		.amdhsa_group_segment_fixed_size 0
		.amdhsa_private_segment_fixed_size 0
		.amdhsa_kernarg_size 480
		.amdhsa_user_sgpr_count 2
		.amdhsa_user_sgpr_dispatch_ptr 0
		.amdhsa_user_sgpr_queue_ptr 0
		.amdhsa_user_sgpr_kernarg_segment_ptr 1
		.amdhsa_user_sgpr_dispatch_id 0
		.amdhsa_user_sgpr_private_segment_size 0
		.amdhsa_wavefront_size32 1
		.amdhsa_uses_dynamic_stack 0
		.amdhsa_enable_private_segment 0
		.amdhsa_system_sgpr_workgroup_id_x 1
		.amdhsa_system_sgpr_workgroup_id_y 0
		.amdhsa_system_sgpr_workgroup_id_z 0
		.amdhsa_system_sgpr_workgroup_info 0
		.amdhsa_system_vgpr_workitem_id 0
		.amdhsa_next_free_vgpr 18
		.amdhsa_next_free_sgpr 66
		.amdhsa_reserve_vcc 1
		.amdhsa_float_round_mode_32 0
		.amdhsa_float_round_mode_16_64 0
		.amdhsa_float_denorm_mode_32 3
		.amdhsa_float_denorm_mode_16_64 3
		.amdhsa_fp16_overflow 0
		.amdhsa_workgroup_processor_mode 1
		.amdhsa_memory_ordered 1
		.amdhsa_forward_progress 1
		.amdhsa_inst_pref_size 15
		.amdhsa_round_robin_scheduling 0
		.amdhsa_exception_fp_ieee_invalid_op 0
		.amdhsa_exception_fp_denorm_src 0
		.amdhsa_exception_fp_ieee_div_zero 0
		.amdhsa_exception_fp_ieee_overflow 0
		.amdhsa_exception_fp_ieee_underflow 0
		.amdhsa_exception_fp_ieee_inexact 0
		.amdhsa_exception_int_div_zero 0
	.end_amdhsa_kernel
	.text
.Lfunc_end58:
	.size	naive_conv_ab_packed_wrw_nhwc_ushort_double_ushort_0, .Lfunc_end58-naive_conv_ab_packed_wrw_nhwc_ushort_double_ushort_0
                                        ; -- End function
	.set naive_conv_ab_packed_wrw_nhwc_ushort_double_ushort_0.num_vgpr, 18
	.set naive_conv_ab_packed_wrw_nhwc_ushort_double_ushort_0.num_agpr, 0
	.set naive_conv_ab_packed_wrw_nhwc_ushort_double_ushort_0.numbered_sgpr, 66
	.set naive_conv_ab_packed_wrw_nhwc_ushort_double_ushort_0.num_named_barrier, 0
	.set naive_conv_ab_packed_wrw_nhwc_ushort_double_ushort_0.private_seg_size, 0
	.set naive_conv_ab_packed_wrw_nhwc_ushort_double_ushort_0.uses_vcc, 1
	.set naive_conv_ab_packed_wrw_nhwc_ushort_double_ushort_0.uses_flat_scratch, 0
	.set naive_conv_ab_packed_wrw_nhwc_ushort_double_ushort_0.has_dyn_sized_stack, 0
	.set naive_conv_ab_packed_wrw_nhwc_ushort_double_ushort_0.has_recursion, 0
	.set naive_conv_ab_packed_wrw_nhwc_ushort_double_ushort_0.has_indirect_call, 0
	.section	.AMDGPU.csdata,"",@progbits
; Kernel info:
; codeLenInByte = 1840
; TotalNumSgprs: 68
; NumVgprs: 18
; ScratchSize: 0
; MemoryBound: 0
; FloatMode: 240
; IeeeMode: 1
; LDSByteSize: 0 bytes/workgroup (compile time only)
; SGPRBlocks: 0
; VGPRBlocks: 2
; NumSGPRsForWavesPerEU: 68
; NumVGPRsForWavesPerEU: 18
; Occupancy: 16
; WaveLimiterHint : 0
; COMPUTE_PGM_RSRC2:SCRATCH_EN: 0
; COMPUTE_PGM_RSRC2:USER_SGPR: 2
; COMPUTE_PGM_RSRC2:TRAP_HANDLER: 0
; COMPUTE_PGM_RSRC2:TGID_X_EN: 1
; COMPUTE_PGM_RSRC2:TGID_Y_EN: 0
; COMPUTE_PGM_RSRC2:TGID_Z_EN: 0
; COMPUTE_PGM_RSRC2:TIDIG_COMP_CNT: 0
	.text
	.protected	naive_conv_ab_nonpacked_wrw_nhwc_ushort_double_ushort_0 ; -- Begin function naive_conv_ab_nonpacked_wrw_nhwc_ushort_double_ushort_0
	.globl	naive_conv_ab_nonpacked_wrw_nhwc_ushort_double_ushort_0
	.p2align	8
	.type	naive_conv_ab_nonpacked_wrw_nhwc_ushort_double_ushort_0,@function
naive_conv_ab_nonpacked_wrw_nhwc_ushort_double_ushort_0: ; @naive_conv_ab_nonpacked_wrw_nhwc_ushort_double_ushort_0
; %bb.0:
	s_clause 0x1
	s_load_b256 s[20:27], s[0:1], 0xa0
	s_load_b128 s[52:55], s[0:1], 0xd0
	s_mov_b32 s3, exec_lo
	s_wait_kmcnt 0x0
	s_abs_i32 s28, s23
	s_mul_i32 s55, s54, s24
	s_cvt_f32_u32 s2, s28
	s_mul_i32 s33, s55, s53
	s_delay_alu instid0(SALU_CYCLE_2) | instskip(NEXT) | instid1(TRANS32_DEP_1)
	v_rcp_iflag_f32_e32 v1, s2
	v_readfirstlane_b32 s2, v1
	v_cmpx_gt_i32_e64 s33, v0
	s_cbranch_execz .LBB59_20
; %bb.1:
	s_mul_f32 s2, s2, 0x4f7ffffe
	s_sub_co_i32 s3, 0, s28
	s_load_b256 s[36:43], s[0:1], 0x0
	s_ashr_i32 s29, ttmp9, 31
	s_cvt_u32_f32 s4, s2
	s_abs_i32 s2, ttmp9
	s_load_b64 s[60:61], s[0:1], 0x20
	s_mov_b32 s67, 0
	s_mul_i32 s5, s3, s4
	s_mov_b32 s3, 0
	s_mul_hi_u32 s6, s4, s5
	s_wait_alu 0xfffe
	s_mov_b32 s5, s3
	s_add_co_i32 s4, s4, s6
	s_delay_alu instid0(SALU_CYCLE_1)
	s_mul_u64 s[30:31], s[2:3], s[4:5]
	s_ashr_i32 s30, s23, 31
	s_mul_i32 s34, s31, s28
	s_clause 0x1
	s_load_b512 s[4:19], s[0:1], 0x28
	s_load_b256 s[44:51], s[0:1], 0x68
	s_sub_co_i32 s2, s2, s34
	s_xor_b32 s29, s29, s30
	s_add_co_i32 s30, s31, 1
	s_wait_alu 0xfffe
	s_sub_co_i32 s34, s2, s28
	s_cmp_ge_u32 s2, s28
	s_wait_kmcnt 0x0
	v_cmp_neq_f64_e64 s53, s[40:41], 1.0
	s_cselect_b32 s30, s30, s31
	s_cselect_b32 s2, s34, s2
	s_add_co_i32 s31, s30, 1
	s_wait_alu 0xfffe
	s_cmp_ge_u32 s2, s28
	s_cselect_b32 s2, s31, s30
	s_wait_alu 0xfffe
	s_xor_b32 s2, s2, s29
	s_wait_alu 0xfffe
	s_sub_co_i32 s28, s2, s29
	v_cmp_neq_f64_e64 s2, s[42:43], 0
	s_mul_i32 s23, s28, s23
	s_ashr_i32 s29, s28, 31
	s_sub_co_i32 s30, ttmp9, s23
	s_mul_u64 s[6:7], s[6:7], s[28:29]
	s_mul_u64 s[34:35], s[46:47], s[28:29]
	;; [unrolled: 1-line block ×3, first 2 shown]
	s_ashr_i32 s31, s30, 31
	s_lshl_b64 s[46:47], s[28:29], 1
	s_mul_u64 s[28:29], s[44:45], s[30:31]
	s_mul_u64 s[30:31], s[48:49], s[30:31]
	s_lshl_b64 s[6:7], s[6:7], 1
	s_lshl_b64 s[34:35], s[34:35], 1
	;; [unrolled: 1-line block ×4, first 2 shown]
	s_cmp_lt_i32 s22, 1
	s_load_b32 s48, s[0:1], 0xec
	s_cselect_b32 s23, -1, 0
	s_cmp_gt_i32 s25, 0
	s_load_b128 s[28:31], s[0:1], 0xc0
	s_cselect_b32 s49, -1, 0
	s_cmp_gt_i32 s26, 0
	s_clause 0x1
	s_load_b64 s[72:73], s[0:1], 0x98
	s_load_b128 s[68:71], s[0:1], 0x88
	s_cselect_b32 s56, -1, 0
	s_abs_i32 s57, s24
	s_abs_i32 s58, s54
	s_cvt_f32_u32 s62, s57
	s_abs_i32 s59, s55
	s_cvt_f32_u32 s54, s58
	s_add_nc_u64 s[0:1], s[38:39], s[34:35]
	v_rcp_iflag_f32_e32 v1, s62
	s_cvt_f32_u32 s62, s59
	v_rcp_iflag_f32_e32 v2, s54
	s_add_nc_u64 s[34:35], s[0:1], s[44:45]
	s_sub_co_i32 s38, 0, s57
	s_wait_alu 0xfffe
	v_rcp_iflag_f32_e32 v3, s62
	s_sub_co_i32 s44, 0, s58
	s_add_nc_u64 s[6:7], s[36:37], s[6:7]
	s_or_b32 s62, s53, s2
	s_add_nc_u64 s[36:37], s[60:61], s[46:47]
	v_readfirstlane_b32 s0, v1
	s_add_nc_u64 s[36:37], s[36:37], s[50:51]
	v_readfirstlane_b32 s1, v2
	s_wait_kmcnt 0x0
	s_and_b32 s60, s48, 0xffff
	s_ashr_i32 s61, s24, 31
	s_mul_f32 s0, s0, 0x4f7ffffe
	v_readfirstlane_b32 s39, v3
	s_mul_f32 s1, s1, 0x4f7ffffe
	s_ashr_i32 s65, s55, 31
	s_cvt_u32_f32 s0, s0
	s_lshl_b64 s[46:47], s[68:69], 1
	s_mul_f32 s2, s39, 0x4f7ffffe
	s_cvt_u32_f32 s1, s1
	s_mul_i32 s38, s38, s0
	s_sub_co_i32 s48, 0, s52
	s_mul_hi_u32 s38, s0, s38
	s_wait_alu 0xfffe
	s_cvt_u32_f32 s2, s2
	s_add_co_i32 s63, s0, s38
	s_sub_co_i32 s0, 0, s59
	s_mul_i32 s44, s44, s1
	s_wait_alu 0xfffe
	s_mul_i32 s0, s0, s2
	s_mul_hi_u32 s38, s1, s44
	s_mul_hi_u32 s0, s2, s0
	s_add_co_i32 s64, s1, s38
	s_add_co_i32 s66, s2, s0
	s_lshl_b64 s[38:39], s[72:73], 1
	s_lshl_b64 s[44:45], s[70:71], 1
	s_branch .LBB59_3
.LBB59_2:                               ;   in Loop: Header=BB59_3 Depth=1
	v_add_nc_u32_e32 v0, s60, v0
	s_delay_alu instid0(VALU_DEP_1)
	v_cmp_le_i32_e32 vcc_lo, s33, v0
	s_or_b32 s67, vcc_lo, s67
	s_wait_alu 0xfffe
	s_and_not1_b32 exec_lo, exec_lo, s67
	s_cbranch_execz .LBB59_20
.LBB59_3:                               ; =>This Loop Header: Depth=1
                                        ;     Child Loop BB59_8 Depth 2
                                        ;       Child Loop BB59_11 Depth 3
                                        ;         Child Loop BB59_14 Depth 4
	v_sub_nc_u32_e32 v1, 0, v0
	s_mov_b32 s50, -1
	s_delay_alu instid0(VALU_DEP_1) | instskip(NEXT) | instid1(VALU_DEP_1)
	v_max_i32_e32 v4, v0, v1
	v_mul_hi_u32 v1, v4, s63
	s_delay_alu instid0(VALU_DEP_1) | instskip(SKIP_1) | instid1(VALU_DEP_2)
	v_mul_lo_u32 v2, v1, s57
	v_add_nc_u32_e32 v3, 1, v1
	v_sub_nc_u32_e32 v2, v4, v2
	s_delay_alu instid0(VALU_DEP_1) | instskip(SKIP_2) | instid1(VALU_DEP_2)
	v_subrev_nc_u32_e32 v5, s57, v2
	v_cmp_le_u32_e32 vcc_lo, s57, v2
	s_wait_alu 0xfffd
	v_dual_cndmask_b32 v3, v1, v3 :: v_dual_cndmask_b32 v2, v2, v5
	v_ashrrev_i32_e32 v1, 31, v0
	s_delay_alu instid0(VALU_DEP_2) | instskip(NEXT) | instid1(VALU_DEP_3)
	v_add_nc_u32_e32 v5, 1, v3
	v_cmp_le_u32_e32 vcc_lo, s57, v2
	s_delay_alu instid0(VALU_DEP_3) | instskip(SKIP_1) | instid1(VALU_DEP_3)
	v_xor_b32_e32 v6, s61, v1
	s_wait_alu 0xfffd
	v_cndmask_b32_e32 v2, v3, v5, vcc_lo
	s_delay_alu instid0(VALU_DEP_1) | instskip(NEXT) | instid1(VALU_DEP_1)
	v_xor_b32_e32 v2, v2, v6
	v_sub_nc_u32_e32 v2, v2, v6
	s_delay_alu instid0(VALU_DEP_1) | instskip(NEXT) | instid1(VALU_DEP_1)
	v_sub_nc_u32_e32 v3, 0, v2
	v_max_i32_e32 v5, v2, v3
	v_mul_hi_u32 v3, v4, s66
	s_delay_alu instid0(VALU_DEP_2) | instskip(NEXT) | instid1(VALU_DEP_2)
	v_mul_hi_u32 v6, v5, s64
	v_mul_lo_u32 v7, v3, s59
	s_delay_alu instid0(VALU_DEP_2) | instskip(NEXT) | instid1(VALU_DEP_2)
	v_mul_lo_u32 v6, v6, s58
	v_sub_nc_u32_e32 v4, v4, v7
	s_delay_alu instid0(VALU_DEP_2) | instskip(SKIP_1) | instid1(VALU_DEP_3)
	v_sub_nc_u32_e32 v5, v5, v6
	v_mul_lo_u32 v6, v2, s24
	v_subrev_nc_u32_e32 v7, s59, v4
	v_cmp_le_u32_e64 s0, s59, v4
	s_delay_alu instid0(VALU_DEP_4) | instskip(SKIP_2) | instid1(VALU_DEP_3)
	v_subrev_nc_u32_e32 v8, s58, v5
	v_cmp_le_u32_e32 vcc_lo, s58, v5
	s_wait_alu 0xf1ff
	v_cndmask_b32_e64 v7, v4, v7, s0
	s_wait_alu 0xfffd
	v_cndmask_b32_e32 v4, v5, v8, vcc_lo
	v_sub_nc_u32_e32 v5, v0, v6
	s_delay_alu instid0(VALU_DEP_3)
	v_cmp_le_u32_e64 s1, s59, v7
	s_and_not1_b32 vcc_lo, exec_lo, s23
	v_cmp_le_u32_e64 s2, s58, v4
	v_ashrrev_i32_e32 v6, 31, v5
	s_wait_alu 0xfffe
	s_cbranch_vccnz .LBB59_5
; %bb.4:                                ;   in Loop: Header=BB59_3 Depth=1
	s_mov_b32 s50, 0
.LBB59_5:                               ;   in Loop: Header=BB59_3 Depth=1
	v_add_nc_u32_e32 v7, 1, v3
	v_ashrrev_i32_e32 v2, 31, v2
	s_and_not1_b32 vcc_lo, exec_lo, s50
	s_delay_alu instid0(VALU_DEP_2) | instskip(SKIP_1) | instid1(VALU_DEP_2)
	v_cndmask_b32_e64 v3, v3, v7, s0
	v_subrev_nc_u32_e32 v7, s58, v4
	v_add_nc_u32_e32 v8, 1, v3
	s_wait_alu 0xf1ff
	s_delay_alu instid0(VALU_DEP_2) | instskip(SKIP_1) | instid1(VALU_DEP_3)
	v_cndmask_b32_e64 v4, v4, v7, s2
	v_xor_b32_e32 v7, s65, v1
	v_cndmask_b32_e64 v1, v3, v8, s1
	s_delay_alu instid0(VALU_DEP_3) | instskip(NEXT) | instid1(VALU_DEP_2)
	v_xor_b32_e32 v3, v4, v2
	v_xor_b32_e32 v4, v1, v7
	s_delay_alu instid0(VALU_DEP_2) | instskip(SKIP_2) | instid1(VALU_DEP_4)
	v_sub_nc_u32_e32 v8, v3, v2
	v_mov_b32_e32 v1, 0
	v_mov_b32_e32 v2, 0
	v_sub_nc_u32_e32 v7, v4, v7
	s_wait_alu 0xfffe
	s_cbranch_vccnz .LBB59_16
; %bb.6:                                ;   in Loop: Header=BB59_3 Depth=1
	v_mul_lo_u32 v3, s5, v5
	v_mul_lo_u32 v4, s4, v6
	v_mad_co_u64_u32 v[1:2], null, s4, v5, 0
	v_mul_lo_u32 v9, v7, s29
	s_mov_b32 s2, 0
	s_mov_b64 s[50:51], s[36:37]
	s_delay_alu instid0(VALU_DEP_2) | instskip(SKIP_1) | instid1(VALU_DEP_2)
	v_add3_u32 v2, v2, v4, v3
	v_mad_co_u64_u32 v[3:4], null, v8, s30, s[48:49]
	v_lshlrev_b64_e32 v[10:11], 1, v[1:2]
	v_mov_b32_e32 v1, 0
	v_mov_b32_e32 v2, 0
	s_delay_alu instid0(VALU_DEP_3) | instskip(SKIP_1) | instid1(VALU_DEP_4)
	v_add_co_u32 v4, vcc_lo, s6, v10
	s_wait_alu 0xfffd
	v_add_co_ci_u32_e64 v10, null, s7, v11, vcc_lo
	s_branch .LBB59_8
.LBB59_7:                               ;   in Loop: Header=BB59_8 Depth=2
	s_add_co_i32 s2, s2, 1
	s_add_nc_u64 s[50:51], s[50:51], s[38:39]
	s_wait_alu 0xfffe
	s_cmp_eq_u32 s2, s22
	s_cbranch_scc1 .LBB59_16
.LBB59_8:                               ;   Parent Loop BB59_3 Depth=1
                                        ; =>  This Loop Header: Depth=2
                                        ;       Child Loop BB59_11 Depth 3
                                        ;         Child Loop BB59_14 Depth 4
	s_and_not1_b32 vcc_lo, exec_lo, s49
	s_wait_alu 0xfffe
	s_cbranch_vccnz .LBB59_7
; %bb.9:                                ;   in Loop: Header=BB59_8 Depth=2
	s_mul_u64 s[0:1], s[12:13], s[2:3]
	s_mov_b32 s68, 0
	s_wait_alu 0xfffe
	s_lshl_b64 s[0:1], s[0:1], 1
	s_mov_b64 s[52:53], s[50:51]
	s_wait_alu 0xfffe
	v_add_co_u32 v11, vcc_lo, v4, s0
	s_wait_alu 0xfffd
	v_add_co_ci_u32_e64 v12, null, s1, v10, vcc_lo
	s_branch .LBB59_11
.LBB59_10:                              ;   in Loop: Header=BB59_11 Depth=3
	s_add_co_i32 s68, s68, 1
	s_add_nc_u64 s[52:53], s[52:53], s[44:45]
	s_cmp_eq_u32 s68, s25
	s_cbranch_scc1 .LBB59_7
.LBB59_11:                              ;   Parent Loop BB59_3 Depth=1
                                        ;     Parent Loop BB59_8 Depth=2
                                        ; =>    This Loop Header: Depth=3
                                        ;         Child Loop BB59_14 Depth 4
	s_and_not1_b32 vcc_lo, exec_lo, s56
	s_wait_alu 0xfffe
	s_cbranch_vccnz .LBB59_10
; %bb.12:                               ;   in Loop: Header=BB59_11 Depth=3
	s_mul_i32 s0, s68, s27
	s_mov_b64 s[54:55], s[52:53]
	s_wait_alu 0xfffe
	s_sub_co_i32 s0, s0, s31
	s_mov_b32 s69, s26
	s_wait_alu 0xfffe
	v_add_nc_u32_e32 v16, s0, v9
	s_delay_alu instid0(VALU_DEP_1) | instskip(NEXT) | instid1(VALU_DEP_1)
	v_mad_co_u64_u32 v[13:14], null, s10, v16, 0
	v_mad_co_u64_u32 v[14:15], null, s11, v16, v[14:15]
	v_mov_b32_e32 v15, v3
	v_cmp_gt_i32_e32 vcc_lo, 0, v16
	v_cmp_le_i32_e64 s0, s20, v16
	s_delay_alu instid0(VALU_DEP_4) | instskip(NEXT) | instid1(VALU_DEP_1)
	v_lshlrev_b64_e32 v[13:14], 1, v[13:14]
	v_add_co_u32 v13, s1, v11, v13
	s_wait_alu 0xf1ff
	s_delay_alu instid0(VALU_DEP_2)
	v_add_co_ci_u32_e64 v14, null, v12, v14, s1
	s_or_b32 s1, vcc_lo, s0
	s_branch .LBB59_14
.LBB59_13:                              ;   in Loop: Header=BB59_14 Depth=4
	s_wait_alu 0xfffe
	s_or_b32 exec_lo, exec_lo, s0
	v_add_nc_u32_e32 v15, s28, v15
	s_add_co_i32 s69, s69, -1
	s_add_nc_u64 s[54:55], s[54:55], s[46:47]
	s_cmp_eq_u32 s69, 0
	s_cbranch_scc1 .LBB59_10
.LBB59_14:                              ;   Parent Loop BB59_3 Depth=1
                                        ;     Parent Loop BB59_8 Depth=2
                                        ;       Parent Loop BB59_11 Depth=3
                                        ; =>      This Inner Loop Header: Depth=4
	v_cmp_gt_i32_e32 vcc_lo, 0, v15
	v_cmp_le_i32_e64 s0, s21, v15
	s_or_b32 s0, vcc_lo, s0
	s_wait_alu 0xfffe
	s_nor_b32 s70, s1, s0
	s_wait_alu 0xfffe
	s_and_saveexec_b32 s0, s70
	s_cbranch_execz .LBB59_13
; %bb.15:                               ;   in Loop: Header=BB59_14 Depth=4
	v_mad_co_u64_u32 v[16:17], null, s8, v15, 0
	s_load_u16 s70, s[54:55], 0x0
	v_mad_co_u64_u32 v[17:18], null, s9, v15, v[17:18]
	s_delay_alu instid0(VALU_DEP_1) | instskip(SKIP_2) | instid1(VALU_DEP_1)
	v_lshlrev_b64_e32 v[16:17], 1, v[16:17]
	s_wait_kmcnt 0x0
	s_lshl_b32 s70, s70, 16
	v_add_co_u32 v16, vcc_lo, v13, v16
	s_wait_alu 0xfffd
	s_delay_alu instid0(VALU_DEP_2)
	v_add_co_ci_u32_e64 v17, null, v14, v17, vcc_lo
	s_wait_alu 0xfffe
	v_cvt_f64_f32_e32 v[18:19], s70
	global_load_u16 v16, v[16:17], off
	s_wait_loadcnt 0x0
	v_lshlrev_b32_e32 v16, 16, v16
	s_delay_alu instid0(VALU_DEP_1) | instskip(NEXT) | instid1(VALU_DEP_1)
	v_cvt_f64_f32_e32 v[16:17], v16
	v_fma_f64 v[1:2], v[16:17], v[18:19], v[1:2]
	s_branch .LBB59_13
.LBB59_16:                              ;   in Loop: Header=BB59_3 Depth=1
	v_ashrrev_i32_e32 v9, 31, v8
	v_mul_lo_u32 v10, s17, v8
	v_mad_co_u64_u32 v[3:4], null, s16, v8, 0
	s_and_b32 vcc_lo, exec_lo, s62
	v_mul_lo_u32 v8, s16, v9
	v_ashrrev_i32_e32 v9, 31, v7
	s_mov_b32 s0, -1
	s_delay_alu instid0(VALU_DEP_1) | instskip(NEXT) | instid1(VALU_DEP_3)
	v_mul_lo_u32 v9, s18, v9
	v_add3_u32 v4, v4, v8, v10
	v_mul_lo_u32 v8, s19, v7
	s_delay_alu instid0(VALU_DEP_2) | instskip(SKIP_1) | instid1(VALU_DEP_2)
	v_mad_co_u64_u32 v[3:4], null, s18, v7, v[3:4]
	v_mul_lo_u32 v7, v5, s15
	v_add3_u32 v4, v8, v4, v9
	s_delay_alu instid0(VALU_DEP_1) | instskip(SKIP_1) | instid1(VALU_DEP_1)
	v_mad_co_u64_u32 v[3:4], null, v5, s14, v[3:4]
	v_mul_lo_u32 v5, v6, s14
	v_add3_u32 v4, v5, v4, v7
	s_delay_alu instid0(VALU_DEP_1)
	v_lshlrev_b64_e32 v[3:4], 1, v[3:4]
	s_wait_alu 0xfffe
	s_cbranch_vccz .LBB59_18
; %bb.17:                               ;   in Loop: Header=BB59_3 Depth=1
	s_delay_alu instid0(VALU_DEP_1) | instskip(SKIP_1) | instid1(VALU_DEP_2)
	v_add_co_u32 v5, vcc_lo, s34, v3
	s_wait_alu 0xfffd
	v_add_co_ci_u32_e64 v6, null, s35, v4, vcc_lo
	global_load_u16 v7, v[5:6], off
	s_wait_loadcnt 0x0
	v_lshlrev_b32_e32 v7, 16, v7
	s_delay_alu instid0(VALU_DEP_1) | instskip(NEXT) | instid1(VALU_DEP_1)
	v_cvt_f64_f32_e32 v[7:8], v7
	v_mul_f64_e32 v[7:8], s[42:43], v[7:8]
	s_delay_alu instid0(VALU_DEP_1) | instskip(NEXT) | instid1(VALU_DEP_1)
	v_fma_f64 v[7:8], s[40:41], v[1:2], v[7:8]
	v_cvt_f32_f64_e32 v7, v[7:8]
	s_delay_alu instid0(VALU_DEP_1) | instskip(SKIP_2) | instid1(VALU_DEP_3)
	v_and_b32_e32 v8, 0x7f800000, v7
	v_and_b32_e32 v9, 0xffff, v7
	v_lshrrev_b32_e32 v7, 16, v7
	v_cmp_eq_u32_e32 vcc_lo, 0x7f800000, v8
	s_delay_alu instid0(VALU_DEP_3) | instskip(SKIP_4) | instid1(VALU_DEP_1)
	v_cmp_ne_u32_e64 s0, 0, v9
	s_and_b32 s0, vcc_lo, s0
	s_wait_alu 0xfffe
	v_cndmask_b32_e64 v8, 0, 1, s0
	s_mov_b32 s0, 0
	v_or_b32_e32 v7, v7, v8
	global_store_b16 v[5:6], v7, off
.LBB59_18:                              ;   in Loop: Header=BB59_3 Depth=1
	s_wait_alu 0xfffe
	s_and_not1_b32 vcc_lo, exec_lo, s0
	s_wait_alu 0xfffe
	s_cbranch_vccnz .LBB59_2
; %bb.19:                               ;   in Loop: Header=BB59_3 Depth=1
	v_cvt_f32_f64_e32 v1, v[1:2]
	s_delay_alu instid0(VALU_DEP_1) | instskip(SKIP_2) | instid1(VALU_DEP_3)
	v_and_b32_e32 v2, 0x7f800000, v1
	v_and_b32_e32 v5, 0xffff, v1
	v_lshrrev_b32_e32 v1, 16, v1
	v_cmp_eq_u32_e32 vcc_lo, 0x7f800000, v2
	s_delay_alu instid0(VALU_DEP_3) | instskip(SKIP_3) | instid1(VALU_DEP_1)
	v_cmp_ne_u32_e64 s0, 0, v5
	s_and_b32 s0, vcc_lo, s0
	s_wait_alu 0xfffe
	v_cndmask_b32_e64 v2, 0, 1, s0
	v_or_b32_e32 v5, v1, v2
	v_add_co_u32 v1, vcc_lo, s34, v3
	s_wait_alu 0xfffd
	v_add_co_ci_u32_e64 v2, null, s35, v4, vcc_lo
	global_store_b16 v[1:2], v5, off
	s_branch .LBB59_2
.LBB59_20:
	s_endpgm
	.section	.rodata,"a",@progbits
	.p2align	6, 0x0
	.amdhsa_kernel naive_conv_ab_nonpacked_wrw_nhwc_ushort_double_ushort_0
		.amdhsa_group_segment_fixed_size 0
		.amdhsa_private_segment_fixed_size 0
		.amdhsa_kernarg_size 480
		.amdhsa_user_sgpr_count 2
		.amdhsa_user_sgpr_dispatch_ptr 0
		.amdhsa_user_sgpr_queue_ptr 0
		.amdhsa_user_sgpr_kernarg_segment_ptr 1
		.amdhsa_user_sgpr_dispatch_id 0
		.amdhsa_user_sgpr_private_segment_size 0
		.amdhsa_wavefront_size32 1
		.amdhsa_uses_dynamic_stack 0
		.amdhsa_enable_private_segment 0
		.amdhsa_system_sgpr_workgroup_id_x 1
		.amdhsa_system_sgpr_workgroup_id_y 0
		.amdhsa_system_sgpr_workgroup_id_z 0
		.amdhsa_system_sgpr_workgroup_info 0
		.amdhsa_system_vgpr_workitem_id 0
		.amdhsa_next_free_vgpr 20
		.amdhsa_next_free_sgpr 74
		.amdhsa_reserve_vcc 1
		.amdhsa_float_round_mode_32 0
		.amdhsa_float_round_mode_16_64 0
		.amdhsa_float_denorm_mode_32 3
		.amdhsa_float_denorm_mode_16_64 3
		.amdhsa_fp16_overflow 0
		.amdhsa_workgroup_processor_mode 1
		.amdhsa_memory_ordered 1
		.amdhsa_forward_progress 1
		.amdhsa_inst_pref_size 15
		.amdhsa_round_robin_scheduling 0
		.amdhsa_exception_fp_ieee_invalid_op 0
		.amdhsa_exception_fp_denorm_src 0
		.amdhsa_exception_fp_ieee_div_zero 0
		.amdhsa_exception_fp_ieee_overflow 0
		.amdhsa_exception_fp_ieee_underflow 0
		.amdhsa_exception_fp_ieee_inexact 0
		.amdhsa_exception_int_div_zero 0
	.end_amdhsa_kernel
	.text
.Lfunc_end59:
	.size	naive_conv_ab_nonpacked_wrw_nhwc_ushort_double_ushort_0, .Lfunc_end59-naive_conv_ab_nonpacked_wrw_nhwc_ushort_double_ushort_0
                                        ; -- End function
	.set naive_conv_ab_nonpacked_wrw_nhwc_ushort_double_ushort_0.num_vgpr, 20
	.set naive_conv_ab_nonpacked_wrw_nhwc_ushort_double_ushort_0.num_agpr, 0
	.set naive_conv_ab_nonpacked_wrw_nhwc_ushort_double_ushort_0.numbered_sgpr, 74
	.set naive_conv_ab_nonpacked_wrw_nhwc_ushort_double_ushort_0.num_named_barrier, 0
	.set naive_conv_ab_nonpacked_wrw_nhwc_ushort_double_ushort_0.private_seg_size, 0
	.set naive_conv_ab_nonpacked_wrw_nhwc_ushort_double_ushort_0.uses_vcc, 1
	.set naive_conv_ab_nonpacked_wrw_nhwc_ushort_double_ushort_0.uses_flat_scratch, 0
	.set naive_conv_ab_nonpacked_wrw_nhwc_ushort_double_ushort_0.has_dyn_sized_stack, 0
	.set naive_conv_ab_nonpacked_wrw_nhwc_ushort_double_ushort_0.has_recursion, 0
	.set naive_conv_ab_nonpacked_wrw_nhwc_ushort_double_ushort_0.has_indirect_call, 0
	.section	.AMDGPU.csdata,"",@progbits
; Kernel info:
; codeLenInByte = 1884
; TotalNumSgprs: 76
; NumVgprs: 20
; ScratchSize: 0
; MemoryBound: 0
; FloatMode: 240
; IeeeMode: 1
; LDSByteSize: 0 bytes/workgroup (compile time only)
; SGPRBlocks: 0
; VGPRBlocks: 2
; NumSGPRsForWavesPerEU: 76
; NumVGPRsForWavesPerEU: 20
; Occupancy: 16
; WaveLimiterHint : 0
; COMPUTE_PGM_RSRC2:SCRATCH_EN: 0
; COMPUTE_PGM_RSRC2:USER_SGPR: 2
; COMPUTE_PGM_RSRC2:TRAP_HANDLER: 0
; COMPUTE_PGM_RSRC2:TGID_X_EN: 1
; COMPUTE_PGM_RSRC2:TGID_Y_EN: 0
; COMPUTE_PGM_RSRC2:TGID_Z_EN: 0
; COMPUTE_PGM_RSRC2:TIDIG_COMP_CNT: 0
	.text
	.protected	naive_conv_ab_packed_fwd_ncdhw_float_double_float_0 ; -- Begin function naive_conv_ab_packed_fwd_ncdhw_float_double_float_0
	.globl	naive_conv_ab_packed_fwd_ncdhw_float_double_float_0
	.p2align	8
	.type	naive_conv_ab_packed_fwd_ncdhw_float_double_float_0,@function
naive_conv_ab_packed_fwd_ncdhw_float_double_float_0: ; @naive_conv_ab_packed_fwd_ncdhw_float_double_float_0
; %bb.0:
	s_load_b512 s[4:19], s[0:1], 0xb8
	s_mov_b32 s25, exec_lo
	s_wait_kmcnt 0x0
	s_abs_i32 s3, s8
	s_mul_i32 s48, s12, s11
	s_cvt_f32_u32 s2, s3
	s_mul_i32 s33, s48, s10
	s_delay_alu instid0(SALU_CYCLE_2) | instskip(NEXT) | instid1(TRANS32_DEP_1)
	v_rcp_iflag_f32_e32 v1, s2
	v_readfirstlane_b32 s2, v1
	s_mul_f32 s2, s2, 0x4f7ffffe
	s_wait_alu 0xfffe
	s_delay_alu instid0(SALU_CYCLE_2) | instskip(SKIP_2) | instid1(SALU_CYCLE_1)
	s_cvt_u32_f32 s20, s2
	s_sub_co_i32 s2, 0, s3
	s_wait_alu 0xfffe
	s_mul_i32 s2, s2, s20
	s_wait_alu 0xfffe
	s_mul_hi_u32 s21, s20, s2
	s_abs_i32 s2, ttmp9
	s_add_co_i32 s20, s20, s21
	s_wait_alu 0xfffe
	s_mul_hi_u32 s20, s2, s20
	s_delay_alu instid0(SALU_CYCLE_1) | instskip(SKIP_2) | instid1(SALU_CYCLE_1)
	s_mul_i32 s21, s20, s3
	s_add_co_i32 s22, s20, 1
	s_sub_co_i32 s21, s2, s21
	s_sub_co_i32 s23, s21, s3
	s_cmp_ge_u32 s21, s3
	s_cselect_b32 s20, s22, s20
	s_cselect_b32 s21, s23, s21
	s_add_co_i32 s23, s20, 1
	s_cmp_ge_u32 s21, s3
	s_mul_i32 s22, s8, s7
	s_cselect_b32 s23, s23, s20
	s_abs_i32 s20, s7
	s_abs_i32 s7, s22
	s_cvt_f32_u32 s3, s20
	s_cvt_f32_u32 s21, s7
	s_wait_alu 0xfffe
	s_delay_alu instid0(SALU_CYCLE_1) | instskip(NEXT) | instid1(SALU_CYCLE_1)
	v_rcp_iflag_f32_e32 v1, s3
	v_rcp_iflag_f32_e32 v2, s21
	s_mov_b32 s3, 0
	s_delay_alu instid0(TRANS32_DEP_2) | instskip(NEXT) | instid1(TRANS32_DEP_1)
	v_readfirstlane_b32 s21, v1
	v_readfirstlane_b32 s24, v2
	v_cmpx_gt_i32_e64 s33, v0
	s_cbranch_execz .LBB60_20
; %bb.1:
	s_mul_f32 s25, s21, 0x4f7ffffe
	s_ashr_i32 s28, ttmp9, 31
	s_ashr_i32 s21, s8, 31
	s_sub_co_i32 s26, 0, s20
	s_cvt_u32_f32 s25, s25
	s_wait_alu 0xfffe
	s_xor_b32 s27, s28, s21
	s_mul_f32 s29, s24, 0x4f7ffffe
	s_xor_b32 s23, s23, s27
	s_mul_i32 s26, s26, s25
	s_sub_co_i32 s23, s23, s27
	s_mul_hi_u32 s26, s25, s26
	s_cvt_u32_f32 s29, s29
	s_abs_i32 s24, s23
	s_add_co_i32 s26, s25, s26
	s_mov_b32 s25, s3
	s_mov_b32 s27, s3
	s_sub_co_i32 s30, 0, s7
	s_mul_u64 s[26:27], s[24:25], s[26:27]
	s_mul_i32 s30, s30, s29
	s_ashr_i32 s31, s23, 31
	s_mul_hi_u32 s25, s29, s30
	s_ashr_i32 s30, s22, 31
	s_mul_i32 s22, s27, s20
	s_mul_i32 s23, s23, s8
	s_sub_co_i32 s24, s24, s22
	s_add_co_i32 s26, s29, s25
	s_sub_co_i32 s22, ttmp9, s23
	s_sub_co_i32 s23, s24, s20
	s_cmp_ge_u32 s24, s20
	s_mov_b32 s27, s3
	s_cselect_b32 s23, s23, s24
	s_mul_u64 s[24:25], s[2:3], s[26:27]
	s_sub_co_i32 s24, s23, s20
	s_cmp_ge_u32 s23, s20
	s_clause 0x1
	s_load_b64 s[34:35], s[0:1], 0x108
	s_load_b32 s49, s[0:1], 0x11c
	s_cselect_b32 s20, s24, s23
	s_xor_b32 s23, s28, s30
	s_wait_alu 0xfffe
	s_xor_b32 s20, s20, s31
	s_mov_b32 s36, s4
	s_wait_alu 0xfffe
	s_sub_co_i32 s24, s20, s31
	s_mul_i32 s20, s25, s7
	s_clause 0x1
	s_load_b128 s[28:31], s[0:1], 0xf8
	s_load_b64 s[56:57], s[0:1], 0x20
	s_sub_co_i32 s2, s2, s20
	s_add_co_i32 s20, s25, 1
	s_wait_alu 0xfffe
	s_sub_co_i32 s26, s2, s7
	s_cmp_ge_u32 s2, s7
	s_mov_b32 s40, s9
	s_cselect_b32 s20, s20, s25
	s_cselect_b32 s2, s26, s2
	s_wait_alu 0xfffe
	s_add_co_i32 s25, s20, 1
	s_cmp_ge_u32 s2, s7
	s_mov_b32 s38, s5
	s_cselect_b32 s2, s25, s20
	s_wait_kmcnt 0x0
	s_mul_i32 s26, s35, s9
	s_wait_alu 0xfffe
	s_xor_b32 s2, s2, s23
	s_ashr_i32 s25, s24, 31
	s_wait_alu 0xfffe
	s_sub_co_i32 s42, s2, s23
	s_ashr_i32 s27, s26, 31
	s_ashr_i32 s37, s4, 31
	;; [unrolled: 1-line block ×5, first 2 shown]
	s_mul_u64 s[26:27], s[24:25], s[26:27]
	s_mul_u64 s[4:5], s[42:43], s[40:41]
	;; [unrolled: 1-line block ×3, first 2 shown]
	s_ashr_i32 s7, s6, 31
	s_add_nc_u64 s[4:5], s[4:5], s[26:27]
	s_mul_u64 s[26:27], s[44:45], s[6:7]
	s_mul_i32 s44, s35, s8
	s_mov_b32 s20, s8
	s_mul_u64 s[4:5], s[26:27], s[4:5]
	s_wait_alu 0xfffe
	s_mul_u64 s[20:21], s[42:43], s[20:21]
	s_ashr_i32 s23, s22, 31
	s_ashr_i32 s45, s44, 31
	;; [unrolled: 1-line block ×3, first 2 shown]
	s_mov_b32 s26, s10
	s_ashr_i32 s43, s11, 31
	s_mov_b32 s42, s11
	s_mul_u64 s[24:25], s[24:25], s[44:45]
	s_mul_u64 s[26:27], s[42:43], s[26:27]
	s_wait_alu 0xfffe
	s_add_nc_u64 s[52:53], s[20:21], s[22:23]
	s_ashr_i32 s45, s12, 31
	s_mov_b32 s44, s12
	s_add_nc_u64 s[20:21], s[52:53], s[24:25]
	s_mul_u64 s[22:23], s[26:27], s[44:45]
	s_lshl_b64 s[50:51], s[4:5], 2
	s_wait_alu 0xfffe
	s_mul_u64 s[20:21], s[22:23], s[20:21]
	s_ashr_i32 s5, s30, 31
	s_wait_alu 0xfffe
	s_lshl_b64 s[54:55], s[20:21], 2
	s_load_b256 s[20:27], s[0:1], 0x0
	s_ashr_i32 s47, s31, 31
	s_ashr_i32 s35, s34, 31
	s_cmp_gt_i32 s9, 0
	s_mov_b32 s46, s31
	s_cselect_b32 s43, -1, 0
	s_cmp_gt_i32 s30, 0
	s_mov_b32 s4, s30
	s_cselect_b32 s60, -1, 0
	s_cmp_gt_i32 s31, 0
	s_cselect_b32 s61, -1, 0
	s_cmp_gt_i32 s34, 0
	s_cselect_b32 s62, -1, 0
	s_abs_i32 s12, s12
	s_abs_i32 s1, s11
	s_cvt_f32_u32 s0, s12
	s_cvt_f32_u32 s2, s1
	s_abs_i32 s63, s48
	s_wait_kmcnt 0x0
	s_add_nc_u64 s[8:9], s[20:21], s[50:51]
	v_rcp_iflag_f32_e32 v1, s0
	v_cmp_neq_f64_e64 s0, s[24:25], 1.0
	v_cmp_neq_f64_e64 s50, s[26:27], 0
	s_wait_alu 0xfffe
	v_rcp_iflag_f32_e32 v2, s2
	s_cvt_f32_u32 s2, s63
	s_sub_co_i32 s21, 0, s12
	s_sub_co_i32 s30, 0, s1
	s_and_b32 s64, s49, 0xffff
	s_ashr_i32 s66, s48, 31
	v_readfirstlane_b32 s10, v1
	s_wait_alu 0xfffe
	v_rcp_iflag_f32_e32 v1, s2
	s_delay_alu instid0(TRANS32_DEP_2)
	v_readfirstlane_b32 s20, v2
	v_mov_b32_e32 v2, 0
	s_mul_f32 s2, s10, 0x4f7ffffe
	s_add_nc_u64 s[10:11], s[56:57], s[54:55]
	s_mul_f32 s20, s20, 0x4f7ffffe
	s_wait_alu 0xfffe
	s_cvt_u32_f32 s2, s2
	s_delay_alu instid0(TRANS32_DEP_1)
	v_readfirstlane_b32 s31, v1
	s_cvt_u32_f32 s20, s20
	s_wait_alu 0xfffe
	s_mul_i32 s21, s21, s2
	s_wait_alu 0xfffe
	s_mul_hi_u32 s21, s2, s21
	s_mul_i32 s30, s30, s20
	s_mul_f32 s51, s31, 0x4f7ffffe
	s_mul_hi_u32 s49, s20, s30
	s_mul_u64 s[30:31], s[34:35], s[46:47]
	s_wait_alu 0xfffe
	s_add_co_i32 s47, s2, s21
	s_add_co_i32 s65, s20, s49
	s_cvt_u32_f32 s2, s51
	s_mul_u64 s[48:49], s[30:31], s[4:5]
	s_sub_co_i32 s5, 0, s63
	s_mul_u64 s[20:21], s[48:49], s[52:53]
	s_wait_alu 0xfffe
	s_mul_i32 s5, s5, s2
	s_mul_u64 s[20:21], s[20:21], s[40:41]
	s_mul_hi_u32 s5, s2, s5
	s_wait_alu 0xfffe
	s_lshl_b64 s[20:21], s[20:21], 2
	s_add_co_i32 s5, s2, s5
	s_wait_alu 0xfffe
	s_add_nc_u64 s[20:21], s[22:23], s[20:21]
	s_lshl_b64 s[22:23], s[48:49], 2
	s_or_b32 s41, s0, s50
	s_lshl_b64 s[30:31], s[30:31], 2
	s_lshl_b64 s[48:49], s[34:35], 2
	s_mov_b32 s35, 0
	s_branch .LBB60_3
.LBB60_2:                               ;   in Loop: Header=BB60_3 Depth=1
	s_delay_alu instid0(VALU_DEP_1) | instskip(SKIP_1) | instid1(VALU_DEP_1)
	v_cvt_f32_f64_e32 v1, v[3:4]
	v_add_nc_u32_e32 v0, s64, v0
	v_cmp_le_i32_e32 vcc_lo, s33, v0
	s_or_b32 s35, vcc_lo, s35
	global_store_b32 v[5:6], v1, off
	s_and_not1_b32 exec_lo, exec_lo, s35
	s_cbranch_execz .LBB60_20
.LBB60_3:                               ; =>This Loop Header: Depth=1
                                        ;     Child Loop BB60_6 Depth 2
                                        ;       Child Loop BB60_9 Depth 3
                                        ;         Child Loop BB60_12 Depth 4
                                        ;           Child Loop BB60_15 Depth 5
	v_sub_nc_u32_e32 v1, 0, v0
	s_delay_alu instid0(VALU_DEP_1) | instskip(NEXT) | instid1(VALU_DEP_1)
	v_max_i32_e32 v1, v0, v1
	v_mul_hi_u32 v3, v1, s47
	s_delay_alu instid0(VALU_DEP_1) | instskip(NEXT) | instid1(VALU_DEP_1)
	v_mul_lo_u32 v4, v3, s12
	v_sub_nc_u32_e32 v4, v1, v4
	s_delay_alu instid0(VALU_DEP_1) | instskip(SKIP_2) | instid1(VALU_DEP_2)
	v_subrev_nc_u32_e32 v6, s12, v4
	v_cmp_le_u32_e32 vcc_lo, s12, v4
	s_wait_alu 0xfffd
	v_dual_cndmask_b32 v4, v4, v6 :: v_dual_add_nc_u32 v5, 1, v3
	s_delay_alu instid0(VALU_DEP_1) | instskip(SKIP_1) | instid1(VALU_DEP_3)
	v_cndmask_b32_e32 v3, v3, v5, vcc_lo
	v_ashrrev_i32_e32 v5, 31, v0
	v_cmp_le_u32_e32 vcc_lo, s12, v4
	s_delay_alu instid0(VALU_DEP_3) | instskip(NEXT) | instid1(VALU_DEP_3)
	v_add_nc_u32_e32 v6, 1, v3
	v_xor_b32_e32 v7, s45, v5
	s_wait_alu 0xfffd
	s_delay_alu instid0(VALU_DEP_2) | instskip(SKIP_1) | instid1(VALU_DEP_2)
	v_cndmask_b32_e32 v3, v3, v6, vcc_lo
	v_mul_hi_u32 v6, v1, s5
	v_xor_b32_e32 v3, v3, v7
	s_delay_alu instid0(VALU_DEP_2) | instskip(NEXT) | instid1(VALU_DEP_2)
	v_mul_lo_u32 v8, v6, s63
	v_sub_nc_u32_e32 v3, v3, v7
	s_delay_alu instid0(VALU_DEP_1) | instskip(NEXT) | instid1(VALU_DEP_3)
	v_sub_nc_u32_e32 v4, 0, v3
	v_sub_nc_u32_e32 v1, v1, v8
	s_delay_alu instid0(VALU_DEP_2) | instskip(NEXT) | instid1(VALU_DEP_2)
	v_max_i32_e32 v4, v3, v4
	v_subrev_nc_u32_e32 v8, s63, v1
	v_cmp_le_u32_e32 vcc_lo, s63, v1
	s_delay_alu instid0(VALU_DEP_3) | instskip(SKIP_1) | instid1(VALU_DEP_3)
	v_mul_hi_u32 v7, v4, s65
	s_wait_alu 0xfffd
	v_cndmask_b32_e32 v1, v1, v8, vcc_lo
	v_xor_b32_e32 v8, s66, v5
	s_delay_alu instid0(VALU_DEP_3) | instskip(NEXT) | instid1(VALU_DEP_1)
	v_mul_lo_u32 v7, v7, s1
	v_sub_nc_u32_e32 v4, v4, v7
	v_add_nc_u32_e32 v7, 1, v6
	s_delay_alu instid0(VALU_DEP_2) | instskip(NEXT) | instid1(VALU_DEP_2)
	v_subrev_nc_u32_e32 v9, s1, v4
	v_cndmask_b32_e32 v6, v6, v7, vcc_lo
	v_cmp_le_u32_e64 s0, s1, v4
	v_cmp_le_u32_e32 vcc_lo, s63, v1
	s_delay_alu instid0(VALU_DEP_3) | instskip(SKIP_1) | instid1(VALU_DEP_3)
	v_add_nc_u32_e32 v7, 1, v6
	s_wait_alu 0xf1ff
	v_cndmask_b32_e64 v4, v4, v9, s0
	s_wait_alu 0xfffd
	s_delay_alu instid0(VALU_DEP_2) | instskip(NEXT) | instid1(VALU_DEP_2)
	v_cndmask_b32_e32 v1, v6, v7, vcc_lo
	v_subrev_nc_u32_e32 v5, s1, v4
	v_cmp_le_u32_e32 vcc_lo, s1, v4
	v_ashrrev_i32_e32 v6, 31, v3
	v_mul_lo_u32 v3, v3, s44
	v_xor_b32_e32 v1, v1, v8
	s_wait_alu 0xfffd
	v_cndmask_b32_e32 v4, v4, v5, vcc_lo
	s_and_not1_b32 vcc_lo, exec_lo, s43
	s_delay_alu instid0(VALU_DEP_2) | instskip(NEXT) | instid1(VALU_DEP_2)
	v_sub_nc_u32_e32 v11, v1, v8
	v_xor_b32_e32 v4, v4, v6
	v_sub_nc_u32_e32 v5, v0, v3
	s_delay_alu instid0(VALU_DEP_2)
	v_sub_nc_u32_e32 v6, v4, v6
	s_wait_alu 0xfffe
	s_cbranch_vccnz .LBB60_17
; %bb.4:                                ;   in Loop: Header=BB60_3 Depth=1
	v_mul_lo_u32 v1, v11, s13
	s_delay_alu instid0(VALU_DEP_2)
	v_mul_lo_u32 v8, v6, s14
	v_mul_lo_u32 v9, v5, s15
	v_mov_b32_e32 v3, 0
	v_mov_b32_e32 v4, 0
	s_mov_b32 s2, 0
	s_mov_b64 s[50:51], s[20:21]
	v_subrev_nc_u32_e32 v7, s19, v1
	v_subrev_nc_u32_e32 v8, s28, v8
	;; [unrolled: 1-line block ×3, first 2 shown]
	s_branch .LBB60_6
.LBB60_5:                               ;   in Loop: Header=BB60_6 Depth=2
	s_add_co_i32 s2, s2, 1
	s_add_nc_u64 s[50:51], s[50:51], s[22:23]
	s_wait_alu 0xfffe
	s_cmp_eq_u32 s2, s40
	s_cbranch_scc1 .LBB60_18
.LBB60_6:                               ;   Parent Loop BB60_3 Depth=1
                                        ; =>  This Loop Header: Depth=2
                                        ;       Child Loop BB60_9 Depth 3
                                        ;         Child Loop BB60_12 Depth 4
                                        ;           Child Loop BB60_15 Depth 5
	s_and_not1_b32 vcc_lo, exec_lo, s60
	s_wait_alu 0xfffe
	s_cbranch_vccnz .LBB60_5
; %bb.7:                                ;   in Loop: Header=BB60_6 Depth=2
	s_mul_u64 s[52:53], s[2:3], s[36:37]
	s_mov_b32 s67, 0
	s_mov_b64 s[54:55], s[50:51]
	s_branch .LBB60_9
.LBB60_8:                               ;   in Loop: Header=BB60_9 Depth=3
	s_add_co_i32 s67, s67, 1
	s_add_nc_u64 s[54:55], s[54:55], s[30:31]
	s_wait_alu 0xfffe
	s_cmp_eq_u32 s67, s4
	s_cbranch_scc1 .LBB60_5
.LBB60_9:                               ;   Parent Loop BB60_3 Depth=1
                                        ;     Parent Loop BB60_6 Depth=2
                                        ; =>    This Loop Header: Depth=3
                                        ;         Child Loop BB60_12 Depth 4
                                        ;           Child Loop BB60_15 Depth 5
	s_and_not1_b32 vcc_lo, exec_lo, s61
	s_wait_alu 0xfffe
	s_cbranch_vccnz .LBB60_8
; %bb.10:                               ;   in Loop: Header=BB60_9 Depth=3
	v_mad_co_u64_u32 v[13:14], null, s67, s16, v[7:8]
	s_mov_b32 s68, 0
	s_mov_b64 s[56:57], s[54:55]
	v_add_co_u32 v1, s0, s52, v13
	s_wait_alu 0xf1ff
	v_add_co_ci_u32_e64 v9, null, s53, 0, s0
	v_cmp_gt_i32_e32 vcc_lo, 0, v13
	s_delay_alu instid0(VALU_DEP_3) | instskip(SKIP_1) | instid1(VALU_DEP_4)
	v_mul_lo_u32 v15, v1, s39
	v_cmp_le_i32_e64 s0, s36, v13
	v_mul_lo_u32 v14, v9, s38
	v_mad_co_u64_u32 v[9:10], null, v1, s38, 0
	s_or_b32 s69, vcc_lo, s0
	v_add3_u32 v10, v10, v15, v14
	s_branch .LBB60_12
.LBB60_11:                              ;   in Loop: Header=BB60_12 Depth=4
	s_add_co_i32 s68, s68, 1
	s_add_nc_u64 s[56:57], s[56:57], s[48:49]
	s_wait_alu 0xfffe
	s_cmp_eq_u32 s68, s46
	s_cbranch_scc1 .LBB60_8
.LBB60_12:                              ;   Parent Loop BB60_3 Depth=1
                                        ;     Parent Loop BB60_6 Depth=2
                                        ;       Parent Loop BB60_9 Depth=3
                                        ; =>      This Loop Header: Depth=4
                                        ;           Child Loop BB60_15 Depth 5
	s_and_not1_b32 vcc_lo, exec_lo, s62
	s_wait_alu 0xfffe
	s_cbranch_vccnz .LBB60_11
; %bb.13:                               ;   in Loop: Header=BB60_12 Depth=4
	v_mad_co_u64_u32 v[13:14], null, s68, s17, v[8:9]
	s_mov_b64 s[58:59], s[56:57]
	s_mov_b32 s71, s34
	v_add_co_u32 v1, vcc_lo, v9, v13
	s_wait_alu 0xfffd
	v_add_co_ci_u32_e64 v14, null, 0, v10, vcc_lo
	v_cmp_gt_i32_e32 vcc_lo, 0, v13
	s_delay_alu instid0(VALU_DEP_3) | instskip(SKIP_1) | instid1(VALU_DEP_4)
	v_mul_lo_u32 v17, v1, s7
	v_cmp_le_i32_e64 s0, s38, v13
	v_mul_lo_u32 v16, v14, s6
	v_mad_co_u64_u32 v[14:15], null, v1, s6, 0
	v_mov_b32_e32 v1, v12
	s_delay_alu instid0(VALU_DEP_4) | instskip(SKIP_2) | instid1(VALU_DEP_2)
	s_or_b32 s0, vcc_lo, s0
	s_wait_alu 0xfffe
	s_or_b32 s70, s69, s0
	v_add3_u32 v15, v15, v17, v16
	s_delay_alu instid0(VALU_DEP_1) | instskip(NEXT) | instid1(VALU_DEP_1)
	v_lshlrev_b64_e32 v[13:14], 2, v[14:15]
	v_add_co_u32 v13, vcc_lo, s8, v13
	s_wait_alu 0xfffd
	s_delay_alu instid0(VALU_DEP_2)
	v_add_co_ci_u32_e64 v14, null, s9, v14, vcc_lo
	s_branch .LBB60_15
.LBB60_14:                              ;   in Loop: Header=BB60_15 Depth=5
	s_wait_alu 0xfffe
	s_or_b32 exec_lo, exec_lo, s0
	v_add_nc_u32_e32 v1, s18, v1
	s_add_co_i32 s71, s71, -1
	s_add_nc_u64 s[58:59], s[58:59], 4
	s_cmp_eq_u32 s71, 0
	s_cbranch_scc1 .LBB60_11
.LBB60_15:                              ;   Parent Loop BB60_3 Depth=1
                                        ;     Parent Loop BB60_6 Depth=2
                                        ;       Parent Loop BB60_9 Depth=3
                                        ;         Parent Loop BB60_12 Depth=4
                                        ; =>        This Inner Loop Header: Depth=5
	v_cmp_gt_i32_e32 vcc_lo, 0, v1
	v_cmp_le_i32_e64 s0, s6, v1
	s_or_b32 s0, vcc_lo, s0
	s_wait_alu 0xfffe
	s_nor_b32 s72, s70, s0
	s_wait_alu 0xfffe
	s_and_saveexec_b32 s0, s72
	s_cbranch_execz .LBB60_14
; %bb.16:                               ;   in Loop: Header=BB60_15 Depth=5
	v_lshlrev_b64_e32 v[15:16], 2, v[1:2]
	s_load_b32 s72, s[58:59], 0x0
	s_delay_alu instid0(VALU_DEP_1) | instskip(SKIP_1) | instid1(VALU_DEP_2)
	v_add_co_u32 v15, vcc_lo, v13, v15
	s_wait_alu 0xfffd
	v_add_co_ci_u32_e64 v16, null, v14, v16, vcc_lo
	global_load_b32 v15, v[15:16], off
	s_wait_kmcnt 0x0
	v_cvt_f64_f32_e32 v[17:18], s72
	s_wait_loadcnt 0x0
	v_cvt_f64_f32_e32 v[15:16], v15
	s_delay_alu instid0(VALU_DEP_1)
	v_fma_f64 v[3:4], v[15:16], v[17:18], v[3:4]
	s_branch .LBB60_14
.LBB60_17:                              ;   in Loop: Header=BB60_3 Depth=1
	v_mov_b32_e32 v3, 0
	v_mov_b32_e32 v4, 0
.LBB60_18:                              ;   in Loop: Header=BB60_3 Depth=1
	v_ashrrev_i32_e32 v7, 31, v6
	s_delay_alu instid0(VALU_DEP_1) | instskip(NEXT) | instid1(VALU_DEP_1)
	v_mad_co_i64_i32 v[6:7], null, v11, s42, v[6:7]
	v_mul_lo_u32 v1, v7, s44
	s_delay_alu instid0(VALU_DEP_2) | instskip(SKIP_2) | instid1(VALU_DEP_1)
	v_mul_lo_u32 v9, v6, s45
	v_mad_co_u64_u32 v[7:8], null, v6, s44, 0
	v_ashrrev_i32_e32 v6, 31, v5
	v_lshlrev_b64_e32 v[5:6], 2, v[5:6]
	s_delay_alu instid0(VALU_DEP_3) | instskip(NEXT) | instid1(VALU_DEP_1)
	v_add3_u32 v8, v8, v9, v1
	v_lshlrev_b64_e32 v[7:8], 2, v[7:8]
	s_delay_alu instid0(VALU_DEP_1) | instskip(SKIP_1) | instid1(VALU_DEP_2)
	v_add_co_u32 v1, vcc_lo, s10, v7
	s_wait_alu 0xfffd
	v_add_co_ci_u32_e64 v7, null, s11, v8, vcc_lo
	s_delay_alu instid0(VALU_DEP_2) | instskip(SKIP_1) | instid1(VALU_DEP_2)
	v_add_co_u32 v5, vcc_lo, v1, v5
	s_wait_alu 0xfffd
	v_add_co_ci_u32_e64 v6, null, v7, v6, vcc_lo
	s_and_not1_b32 vcc_lo, exec_lo, s41
	s_wait_alu 0xfffe
	s_cbranch_vccnz .LBB60_2
; %bb.19:                               ;   in Loop: Header=BB60_3 Depth=1
	global_load_b32 v1, v[5:6], off
	s_wait_loadcnt 0x0
	v_cvt_f64_f32_e32 v[7:8], v1
	s_delay_alu instid0(VALU_DEP_1) | instskip(NEXT) | instid1(VALU_DEP_1)
	v_mul_f64_e32 v[7:8], s[26:27], v[7:8]
	v_fma_f64 v[3:4], s[24:25], v[3:4], v[7:8]
	s_branch .LBB60_2
.LBB60_20:
	s_endpgm
	.section	.rodata,"a",@progbits
	.p2align	6, 0x0
	.amdhsa_kernel naive_conv_ab_packed_fwd_ncdhw_float_double_float_0
		.amdhsa_group_segment_fixed_size 0
		.amdhsa_private_segment_fixed_size 0
		.amdhsa_kernarg_size 528
		.amdhsa_user_sgpr_count 2
		.amdhsa_user_sgpr_dispatch_ptr 0
		.amdhsa_user_sgpr_queue_ptr 0
		.amdhsa_user_sgpr_kernarg_segment_ptr 1
		.amdhsa_user_sgpr_dispatch_id 0
		.amdhsa_user_sgpr_private_segment_size 0
		.amdhsa_wavefront_size32 1
		.amdhsa_uses_dynamic_stack 0
		.amdhsa_enable_private_segment 0
		.amdhsa_system_sgpr_workgroup_id_x 1
		.amdhsa_system_sgpr_workgroup_id_y 0
		.amdhsa_system_sgpr_workgroup_id_z 0
		.amdhsa_system_sgpr_workgroup_info 0
		.amdhsa_system_vgpr_workitem_id 0
		.amdhsa_next_free_vgpr 19
		.amdhsa_next_free_sgpr 73
		.amdhsa_reserve_vcc 1
		.amdhsa_float_round_mode_32 0
		.amdhsa_float_round_mode_16_64 0
		.amdhsa_float_denorm_mode_32 3
		.amdhsa_float_denorm_mode_16_64 3
		.amdhsa_fp16_overflow 0
		.amdhsa_workgroup_processor_mode 1
		.amdhsa_memory_ordered 1
		.amdhsa_forward_progress 1
		.amdhsa_inst_pref_size 17
		.amdhsa_round_robin_scheduling 0
		.amdhsa_exception_fp_ieee_invalid_op 0
		.amdhsa_exception_fp_denorm_src 0
		.amdhsa_exception_fp_ieee_div_zero 0
		.amdhsa_exception_fp_ieee_overflow 0
		.amdhsa_exception_fp_ieee_underflow 0
		.amdhsa_exception_fp_ieee_inexact 0
		.amdhsa_exception_int_div_zero 0
	.end_amdhsa_kernel
	.text
.Lfunc_end60:
	.size	naive_conv_ab_packed_fwd_ncdhw_float_double_float_0, .Lfunc_end60-naive_conv_ab_packed_fwd_ncdhw_float_double_float_0
                                        ; -- End function
	.set naive_conv_ab_packed_fwd_ncdhw_float_double_float_0.num_vgpr, 19
	.set naive_conv_ab_packed_fwd_ncdhw_float_double_float_0.num_agpr, 0
	.set naive_conv_ab_packed_fwd_ncdhw_float_double_float_0.numbered_sgpr, 73
	.set naive_conv_ab_packed_fwd_ncdhw_float_double_float_0.num_named_barrier, 0
	.set naive_conv_ab_packed_fwd_ncdhw_float_double_float_0.private_seg_size, 0
	.set naive_conv_ab_packed_fwd_ncdhw_float_double_float_0.uses_vcc, 1
	.set naive_conv_ab_packed_fwd_ncdhw_float_double_float_0.uses_flat_scratch, 0
	.set naive_conv_ab_packed_fwd_ncdhw_float_double_float_0.has_dyn_sized_stack, 0
	.set naive_conv_ab_packed_fwd_ncdhw_float_double_float_0.has_recursion, 0
	.set naive_conv_ab_packed_fwd_ncdhw_float_double_float_0.has_indirect_call, 0
	.section	.AMDGPU.csdata,"",@progbits
; Kernel info:
; codeLenInByte = 2068
; TotalNumSgprs: 75
; NumVgprs: 19
; ScratchSize: 0
; MemoryBound: 0
; FloatMode: 240
; IeeeMode: 1
; LDSByteSize: 0 bytes/workgroup (compile time only)
; SGPRBlocks: 0
; VGPRBlocks: 2
; NumSGPRsForWavesPerEU: 75
; NumVGPRsForWavesPerEU: 19
; Occupancy: 16
; WaveLimiterHint : 1
; COMPUTE_PGM_RSRC2:SCRATCH_EN: 0
; COMPUTE_PGM_RSRC2:USER_SGPR: 2
; COMPUTE_PGM_RSRC2:TRAP_HANDLER: 0
; COMPUTE_PGM_RSRC2:TGID_X_EN: 1
; COMPUTE_PGM_RSRC2:TGID_Y_EN: 0
; COMPUTE_PGM_RSRC2:TGID_Z_EN: 0
; COMPUTE_PGM_RSRC2:TIDIG_COMP_CNT: 0
	.text
	.protected	naive_conv_ab_nonpacked_fwd_ncdhw_float_double_float_0 ; -- Begin function naive_conv_ab_nonpacked_fwd_ncdhw_float_double_float_0
	.globl	naive_conv_ab_nonpacked_fwd_ncdhw_float_double_float_0
	.p2align	8
	.type	naive_conv_ab_nonpacked_fwd_ncdhw_float_double_float_0,@function
naive_conv_ab_nonpacked_fwd_ncdhw_float_double_float_0: ; @naive_conv_ab_nonpacked_fwd_ncdhw_float_double_float_0
; %bb.0:
	s_load_b512 s[4:19], s[0:1], 0xb8
	s_mov_b32 s25, exec_lo
	s_wait_kmcnt 0x0
	s_abs_i32 s3, s8
	s_mul_i32 s76, s12, s11
	s_cvt_f32_u32 s2, s3
	s_delay_alu instid0(SALU_CYCLE_3) | instskip(NEXT) | instid1(TRANS32_DEP_1)
	v_rcp_iflag_f32_e32 v1, s2
	v_readfirstlane_b32 s2, v1
	s_mul_f32 s2, s2, 0x4f7ffffe
	s_wait_alu 0xfffe
	s_delay_alu instid0(SALU_CYCLE_2) | instskip(SKIP_2) | instid1(SALU_CYCLE_1)
	s_cvt_u32_f32 s20, s2
	s_sub_co_i32 s2, 0, s3
	s_wait_alu 0xfffe
	s_mul_i32 s2, s2, s20
	s_wait_alu 0xfffe
	s_mul_hi_u32 s21, s20, s2
	s_abs_i32 s2, ttmp9
	s_add_co_i32 s20, s20, s21
	s_wait_alu 0xfffe
	s_mul_hi_u32 s20, s2, s20
	s_delay_alu instid0(SALU_CYCLE_1) | instskip(SKIP_2) | instid1(SALU_CYCLE_1)
	s_mul_i32 s21, s20, s3
	s_add_co_i32 s22, s20, 1
	s_sub_co_i32 s21, s2, s21
	s_sub_co_i32 s23, s21, s3
	s_cmp_ge_u32 s21, s3
	s_cselect_b32 s20, s22, s20
	s_cselect_b32 s21, s23, s21
	s_add_co_i32 s23, s20, 1
	s_cmp_ge_u32 s21, s3
	s_mul_i32 s22, s8, s7
	s_cselect_b32 s23, s23, s20
	s_abs_i32 s21, s7
	s_abs_i32 s20, s22
	s_cvt_f32_u32 s3, s21
	s_cvt_f32_u32 s7, s20
	s_wait_alu 0xfffe
	s_delay_alu instid0(SALU_CYCLE_1) | instskip(NEXT) | instid1(SALU_CYCLE_1)
	v_rcp_iflag_f32_e32 v1, s3
	v_rcp_iflag_f32_e32 v2, s7
	s_mul_i32 s7, s76, s10
	s_mov_b32 s3, 0
	s_delay_alu instid0(TRANS32_DEP_2) | instskip(NEXT) | instid1(TRANS32_DEP_1)
	v_readfirstlane_b32 s24, v1
	v_readfirstlane_b32 s10, v2
	s_wait_alu 0xfffe
	v_cmpx_gt_i32_e64 s7, v0
	s_cbranch_execz .LBB61_20
; %bb.1:
	s_mul_f32 s24, s24, 0x4f7ffffe
	s_ashr_i32 s28, ttmp9, 31
	s_ashr_i32 s25, s8, 31
	s_mul_f32 s10, s10, 0x4f7ffffe
	s_cvt_u32_f32 s27, s24
	s_sub_co_i32 s26, 0, s21
	s_xor_b32 s24, s28, s25
	s_cvt_u32_f32 s10, s10
	s_xor_b32 s23, s23, s24
	s_mul_i32 s26, s26, s27
	s_sub_co_i32 s23, s23, s24
	s_mul_hi_u32 s25, s27, s26
	s_sub_co_i32 s29, 0, s20
	s_abs_i32 s24, s23
	s_add_co_i32 s26, s27, s25
	s_mov_b32 s25, s3
	s_mov_b32 s27, s3
	s_mul_i32 s29, s29, s10
	s_mul_u64 s[26:27], s[24:25], s[26:27]
	s_mul_hi_u32 s25, s10, s29
	s_ashr_i32 s29, s22, 31
	s_add_co_i32 s22, s10, s25
	s_mul_i32 s10, s27, s21
	s_ashr_i32 s30, s23, 31
	s_mul_i32 s23, s23, s8
	s_sub_co_i32 s8, s24, s10
	s_sub_co_i32 s34, ttmp9, s23
	s_sub_co_i32 s10, s8, s21
	s_cmp_ge_u32 s8, s21
	s_mov_b32 s23, s3
	s_cselect_b32 s8, s10, s8
	s_mul_u64 s[22:23], s[2:3], s[22:23]
	s_sub_co_i32 s10, s8, s21
	s_cmp_ge_u32 s8, s21
	s_load_b512 s[36:51], s[0:1], 0x28
	s_cselect_b32 s8, s10, s8
	s_load_b128 s[24:27], s[0:1], 0xa8
	s_xor_b32 s8, s8, s30
	s_load_b512 s[52:67], s[0:1], 0x68
	s_sub_co_i32 s22, s8, s30
	s_mul_i32 s8, s23, s20
	s_xor_b32 s10, s28, s29
	s_sub_co_i32 s2, s2, s8
	s_add_co_i32 s8, s23, 1
	s_wait_alu 0xfffe
	s_sub_co_i32 s21, s2, s20
	s_cmp_ge_u32 s2, s20
	s_load_b128 s[28:31], s[0:1], 0xf8
	s_cselect_b32 s8, s8, s23
	s_cselect_b32 s2, s21, s2
	s_add_co_i32 s21, s8, 1
	s_wait_alu 0xfffe
	s_cmp_ge_u32 s2, s20
	s_load_b64 s[82:83], s[0:1], 0x20
	s_cselect_b32 s2, s21, s8
	s_load_b32 s8, s[0:1], 0x108
	s_xor_b32 s2, s2, s10
	s_ashr_i32 s23, s22, 31
	s_wait_alu 0xfffe
	s_sub_co_i32 s78, s2, s10
	s_wait_kmcnt 0x0
	s_mul_u64 s[20:21], s[46:47], s[22:23]
	s_ashr_i32 s79, s78, 31
	s_ashr_i32 s35, s34, 31
	s_lshl_b64 s[46:47], s[20:21], 2
	s_mul_u64 s[20:21], s[26:27], s[22:23]
	s_mul_u64 s[22:23], s[24:25], s[78:79]
	;; [unrolled: 1-line block ×3, first 2 shown]
	s_lshl_b64 s[72:73], s[20:21], 2
	s_lshl_b64 s[74:75], s[22:23], 2
	;; [unrolled: 1-line block ×3, first 2 shown]
	s_load_b256 s[20:27], s[0:1], 0x0
	s_mul_u64 s[44:45], s[44:45], s[78:79]
	s_load_b32 s2, s[0:1], 0x11c
	s_lshl_b64 s[44:45], s[44:45], 2
	s_cmp_gt_i32 s9, 0
	s_cselect_b32 s33, -1, 0
	s_cmp_gt_i32 s30, 0
	s_cselect_b32 s66, -1, 0
	;; [unrolled: 2-line block ×4, first 2 shown]
	s_abs_i32 s69, s12
	s_abs_i32 s70, s11
	s_cvt_f32_u32 s0, s69
	s_cvt_f32_u32 s71, s70
	s_lshl_b64 s[48:49], s[48:49], 2
	s_delay_alu instid0(SALU_CYCLE_1)
	v_rcp_iflag_f32_e32 v1, s0
	s_wait_kmcnt 0x0
	s_add_nc_u64 s[0:1], s[20:21], s[46:47]
	v_cmp_neq_f64_e64 s46, s[24:25], 1.0
	v_cmp_neq_f64_e64 s47, s[26:27], 0
	v_rcp_iflag_f32_e32 v2, s71
	s_abs_i32 s71, s76
	s_wait_alu 0xfffe
	s_add_nc_u64 s[10:11], s[0:1], s[44:45]
	s_cvt_f32_u32 s20, s71
	s_add_nc_u64 s[0:1], s[82:83], s[72:73]
	s_and_b32 s72, s2, 0xffff
	v_readfirstlane_b32 s21, v1
	v_rcp_iflag_f32_e32 v1, s20
	s_wait_alu 0xfffe
	s_add_nc_u64 s[0:1], s[0:1], s[74:75]
	s_sub_co_i32 s2, 0, s69
	v_readfirstlane_b32 s45, v2
	s_mul_f32 s44, s21, 0x4f7ffffe
	s_wait_alu 0xfffe
	s_add_nc_u64 s[20:21], s[0:1], s[80:81]
	s_ashr_i32 s73, s12, 31
	s_ashr_i32 s76, s76, 31
	s_mul_f32 s1, s45, 0x4f7ffffe
	s_cvt_u32_f32 s0, s44
	v_readfirstlane_b32 s44, v1
	s_sub_co_i32 s45, 0, s70
	s_wait_alu 0xfffe
	s_cvt_u32_f32 s1, s1
	s_mul_i32 s2, s2, s0
	s_mul_f32 s44, s44, 0x4f7ffffe
	s_wait_alu 0xfffe
	s_mul_hi_u32 s2, s0, s2
	s_mul_i32 s45, s45, s1
	s_wait_alu 0xfffe
	s_add_co_i32 s74, s0, s2
	s_mul_hi_u32 s0, s1, s45
	s_cvt_u32_f32 s2, s44
	s_wait_alu 0xfffe
	s_add_co_i32 s75, s1, s0
	s_sub_co_i32 s0, 0, s71
	s_wait_alu 0xfffe
	s_mul_i32 s44, s0, s2
	s_mul_u64 s[0:1], s[56:57], s[34:35]
	s_mul_u64 s[34:35], s[58:59], s[78:79]
	s_wait_alu 0xfffe
	s_lshl_b64 s[0:1], s[0:1], 2
	s_lshl_b64 s[34:35], s[34:35], 2
	s_mul_hi_u32 s44, s2, s44
	s_wait_alu 0xfffe
	s_add_nc_u64 s[0:1], s[0:1], s[34:35]
	s_add_co_i32 s77, s2, s44
	s_wait_alu 0xfffe
	s_add_nc_u64 s[22:23], s[22:23], s[0:1]
	s_lshl_b64 s[34:35], s[54:55], 2
	s_lshl_b64 s[44:45], s[52:53], 2
	s_or_b32 s78, s46, s47
	s_lshl_b64 s[46:47], s[50:51], 2
	s_mov_b32 s79, 0
	s_branch .LBB61_3
.LBB61_2:                               ;   in Loop: Header=BB61_3 Depth=1
	s_delay_alu instid0(VALU_DEP_1) | instskip(SKIP_1) | instid1(VALU_DEP_1)
	v_cvt_f32_f64_e32 v1, v[1:2]
	v_add_nc_u32_e32 v0, s72, v0
	v_cmp_le_i32_e32 vcc_lo, s7, v0
	s_or_b32 s79, vcc_lo, s79
	global_store_b32 v[3:4], v1, off
	s_and_not1_b32 exec_lo, exec_lo, s79
	s_cbranch_execz .LBB61_20
.LBB61_3:                               ; =>This Loop Header: Depth=1
                                        ;     Child Loop BB61_6 Depth 2
                                        ;       Child Loop BB61_9 Depth 3
                                        ;         Child Loop BB61_12 Depth 4
                                        ;           Child Loop BB61_15 Depth 5
	v_sub_nc_u32_e32 v1, 0, v0
	s_delay_alu instid0(VALU_DEP_1) | instskip(NEXT) | instid1(VALU_DEP_1)
	v_max_i32_e32 v1, v0, v1
	v_mul_hi_u32 v2, v1, s74
	s_delay_alu instid0(VALU_DEP_1) | instskip(NEXT) | instid1(VALU_DEP_1)
	v_mul_lo_u32 v3, v2, s69
	v_sub_nc_u32_e32 v3, v1, v3
	s_delay_alu instid0(VALU_DEP_1) | instskip(SKIP_2) | instid1(VALU_DEP_2)
	v_subrev_nc_u32_e32 v5, s69, v3
	v_cmp_le_u32_e32 vcc_lo, s69, v3
	s_wait_alu 0xfffd
	v_dual_cndmask_b32 v3, v3, v5 :: v_dual_add_nc_u32 v4, 1, v2
	s_delay_alu instid0(VALU_DEP_1) | instskip(SKIP_1) | instid1(VALU_DEP_3)
	v_cndmask_b32_e32 v2, v2, v4, vcc_lo
	v_ashrrev_i32_e32 v4, 31, v0
	v_cmp_le_u32_e32 vcc_lo, s69, v3
	s_delay_alu instid0(VALU_DEP_3) | instskip(NEXT) | instid1(VALU_DEP_3)
	v_add_nc_u32_e32 v5, 1, v2
	v_xor_b32_e32 v6, s73, v4
	v_xor_b32_e32 v4, s76, v4
	s_wait_alu 0xfffd
	s_delay_alu instid0(VALU_DEP_3) | instskip(SKIP_1) | instid1(VALU_DEP_1)
	v_cndmask_b32_e32 v2, v2, v5, vcc_lo
	v_mul_hi_u32 v5, v1, s77
	v_mul_lo_u32 v7, v5, s71
	s_delay_alu instid0(VALU_DEP_1) | instskip(NEXT) | instid1(VALU_DEP_1)
	v_sub_nc_u32_e32 v1, v1, v7
	v_subrev_nc_u32_e32 v7, s71, v1
	v_cmp_le_u32_e32 vcc_lo, s71, v1
	s_wait_alu 0xfffd
	s_delay_alu instid0(VALU_DEP_2) | instskip(SKIP_1) | instid1(VALU_DEP_1)
	v_cndmask_b32_e32 v1, v1, v7, vcc_lo
	v_xor_b32_e32 v2, v2, v6
	v_sub_nc_u32_e32 v2, v2, v6
	s_delay_alu instid0(VALU_DEP_1) | instskip(NEXT) | instid1(VALU_DEP_1)
	v_sub_nc_u32_e32 v3, 0, v2
	v_max_i32_e32 v3, v2, v3
	s_delay_alu instid0(VALU_DEP_1) | instskip(NEXT) | instid1(VALU_DEP_1)
	v_mul_hi_u32 v6, v3, s75
	v_mul_lo_u32 v6, v6, s70
	s_delay_alu instid0(VALU_DEP_1) | instskip(NEXT) | instid1(VALU_DEP_1)
	v_sub_nc_u32_e32 v3, v3, v6
	v_subrev_nc_u32_e32 v8, s70, v3
	v_cmp_le_u32_e64 s0, s70, v3
	s_wait_alu 0xf1ff
	s_delay_alu instid0(VALU_DEP_1) | instskip(NEXT) | instid1(VALU_DEP_1)
	v_cndmask_b32_e64 v3, v3, v8, s0
	v_subrev_nc_u32_e32 v7, s70, v3
	v_add_nc_u32_e32 v6, 1, v5
	s_delay_alu instid0(VALU_DEP_1) | instskip(SKIP_1) | instid1(VALU_DEP_2)
	v_cndmask_b32_e32 v5, v5, v6, vcc_lo
	v_cmp_le_u32_e32 vcc_lo, s71, v1
	v_add_nc_u32_e32 v6, 1, v5
	s_wait_alu 0xfffd
	s_delay_alu instid0(VALU_DEP_1) | instskip(SKIP_3) | instid1(VALU_DEP_4)
	v_cndmask_b32_e32 v1, v5, v6, vcc_lo
	v_cmp_le_u32_e32 vcc_lo, s70, v3
	v_ashrrev_i32_e32 v6, 31, v2
	v_mul_lo_u32 v2, v2, s12
	v_xor_b32_e32 v1, v1, v4
	s_wait_alu 0xfffd
	v_cndmask_b32_e32 v3, v3, v7, vcc_lo
	s_and_not1_b32 vcc_lo, exec_lo, s33
	s_delay_alu instid0(VALU_DEP_2) | instskip(NEXT) | instid1(VALU_DEP_2)
	v_sub_nc_u32_e32 v7, v1, v4
	v_xor_b32_e32 v3, v3, v6
	v_sub_nc_u32_e32 v5, v0, v2
	s_delay_alu instid0(VALU_DEP_2)
	v_sub_nc_u32_e32 v6, v3, v6
	s_wait_alu 0xfffe
	s_cbranch_vccnz .LBB61_17
; %bb.4:                                ;   in Loop: Header=BB61_3 Depth=1
	v_mul_lo_u32 v3, v7, s13
	s_delay_alu instid0(VALU_DEP_2)
	v_mul_lo_u32 v4, v6, s14
	v_mul_lo_u32 v8, v5, s15
	v_mov_b32_e32 v1, 0
	v_mov_b32_e32 v2, 0
	s_mov_b32 s2, 0
	s_mov_b64 s[50:51], s[22:23]
	v_subrev_nc_u32_e32 v3, s19, v3
	v_subrev_nc_u32_e32 v4, s28, v4
	;; [unrolled: 1-line block ×3, first 2 shown]
	s_branch .LBB61_6
.LBB61_5:                               ;   in Loop: Header=BB61_6 Depth=2
	s_add_co_i32 s2, s2, 1
	s_add_nc_u64 s[50:51], s[50:51], s[34:35]
	s_wait_alu 0xfffe
	s_cmp_eq_u32 s2, s9
	s_cbranch_scc1 .LBB61_18
.LBB61_6:                               ;   Parent Loop BB61_3 Depth=1
                                        ; =>  This Loop Header: Depth=2
                                        ;       Child Loop BB61_9 Depth 3
                                        ;         Child Loop BB61_12 Depth 4
                                        ;           Child Loop BB61_15 Depth 5
	s_and_not1_b32 vcc_lo, exec_lo, s66
	s_wait_alu 0xfffe
	s_cbranch_vccnz .LBB61_5
; %bb.7:                                ;   in Loop: Header=BB61_6 Depth=2
	s_mul_u64 s[0:1], s[42:43], s[2:3]
	s_mov_b32 s80, 0
	s_wait_alu 0xfffe
	s_lshl_b64 s[0:1], s[0:1], 2
	s_mov_b64 s[54:55], s[50:51]
	s_wait_alu 0xfffe
	s_add_nc_u64 s[52:53], s[10:11], s[0:1]
	s_branch .LBB61_9
.LBB61_8:                               ;   in Loop: Header=BB61_9 Depth=3
	s_add_co_i32 s80, s80, 1
	s_add_nc_u64 s[54:55], s[54:55], s[44:45]
	s_wait_alu 0xfffe
	s_cmp_eq_u32 s80, s30
	s_cbranch_scc1 .LBB61_5
.LBB61_9:                               ;   Parent Loop BB61_3 Depth=1
                                        ;     Parent Loop BB61_6 Depth=2
                                        ; =>    This Loop Header: Depth=3
                                        ;         Child Loop BB61_12 Depth 4
                                        ;           Child Loop BB61_15 Depth 5
	s_and_not1_b32 vcc_lo, exec_lo, s67
	s_wait_alu 0xfffe
	s_cbranch_vccnz .LBB61_8
; %bb.10:                               ;   in Loop: Header=BB61_9 Depth=3
	v_mad_co_u64_u32 v[9:10], null, s80, s16, v[3:4]
	s_mov_b64 s[56:57], s[54:55]
	v_mad_co_u64_u32 v[10:11], null, s40, v9, 0
	v_cmp_gt_i32_e32 vcc_lo, 0, v9
	v_cmp_le_i32_e64 s0, s4, v9
	s_or_b32 s81, vcc_lo, s0
	v_mad_co_u64_u32 v[11:12], null, s41, v9, v[11:12]
	s_delay_alu instid0(VALU_DEP_1) | instskip(NEXT) | instid1(VALU_DEP_1)
	v_lshlrev_b64_e32 v[10:11], 2, v[10:11]
	v_add_co_u32 v9, s1, s52, v10
	s_wait_alu 0xf1ff
	s_delay_alu instid0(VALU_DEP_2)
	v_add_co_ci_u32_e64 v10, null, s53, v11, s1
	s_mov_b32 s1, 0
	s_branch .LBB61_12
.LBB61_11:                              ;   in Loop: Header=BB61_12 Depth=4
	s_add_co_i32 s1, s1, 1
	s_add_nc_u64 s[56:57], s[56:57], s[46:47]
	s_wait_alu 0xfffe
	s_cmp_eq_u32 s1, s31
	s_cbranch_scc1 .LBB61_8
.LBB61_12:                              ;   Parent Loop BB61_3 Depth=1
                                        ;     Parent Loop BB61_6 Depth=2
                                        ;       Parent Loop BB61_9 Depth=3
                                        ; =>      This Loop Header: Depth=4
                                        ;           Child Loop BB61_15 Depth 5
	s_and_not1_b32 vcc_lo, exec_lo, s68
	s_wait_alu 0xfffe
	s_cbranch_vccnz .LBB61_11
; %bb.13:                               ;   in Loop: Header=BB61_12 Depth=4
	v_mad_co_u64_u32 v[11:12], null, s1, s17, v[4:5]
	s_mov_b64 s[58:59], s[56:57]
	s_mov_b32 s83, s8
	v_mad_co_u64_u32 v[12:13], null, s38, v11, 0
	v_cmp_gt_i32_e32 vcc_lo, 0, v11
	v_cmp_le_i32_e64 s0, s5, v11
	s_or_b32 s0, vcc_lo, s0
	v_mad_co_u64_u32 v[13:14], null, s39, v11, v[13:14]
	s_wait_alu 0xfffe
	s_or_b32 s82, s81, s0
	s_delay_alu instid0(VALU_DEP_1) | instskip(SKIP_1) | instid1(VALU_DEP_2)
	v_lshlrev_b64_e32 v[11:12], 2, v[12:13]
	v_mov_b32_e32 v13, v8
	v_add_co_u32 v11, vcc_lo, v9, v11
	s_wait_alu 0xfffd
	s_delay_alu instid0(VALU_DEP_3)
	v_add_co_ci_u32_e64 v12, null, v10, v12, vcc_lo
	s_branch .LBB61_15
.LBB61_14:                              ;   in Loop: Header=BB61_15 Depth=5
	s_wait_alu 0xfffe
	s_or_b32 exec_lo, exec_lo, s0
	v_add_nc_u32_e32 v13, s18, v13
	s_add_co_i32 s83, s83, -1
	s_add_nc_u64 s[58:59], s[58:59], s[48:49]
	s_cmp_eq_u32 s83, 0
	s_cbranch_scc1 .LBB61_11
.LBB61_15:                              ;   Parent Loop BB61_3 Depth=1
                                        ;     Parent Loop BB61_6 Depth=2
                                        ;       Parent Loop BB61_9 Depth=3
                                        ;         Parent Loop BB61_12 Depth=4
                                        ; =>        This Inner Loop Header: Depth=5
	v_cmp_gt_i32_e32 vcc_lo, 0, v13
	v_cmp_le_i32_e64 s0, s6, v13
	s_or_b32 s0, vcc_lo, s0
	s_wait_alu 0xfffe
	s_nor_b32 s84, s82, s0
	s_wait_alu 0xfffe
	s_and_saveexec_b32 s0, s84
	s_cbranch_execz .LBB61_14
; %bb.16:                               ;   in Loop: Header=BB61_15 Depth=5
	v_mad_co_u64_u32 v[14:15], null, s36, v13, 0
	s_load_b32 s84, s[58:59], 0x0
	v_mad_co_u64_u32 v[15:16], null, s37, v13, v[15:16]
	s_delay_alu instid0(VALU_DEP_1) | instskip(SKIP_2) | instid1(VALU_DEP_2)
	v_lshlrev_b64_e32 v[14:15], 2, v[14:15]
	s_wait_kmcnt 0x0
	v_cvt_f64_f32_e32 v[16:17], s84
	v_add_co_u32 v14, vcc_lo, v11, v14
	s_wait_alu 0xfffd
	s_delay_alu instid0(VALU_DEP_3) | instskip(SKIP_3) | instid1(VALU_DEP_1)
	v_add_co_ci_u32_e64 v15, null, v12, v15, vcc_lo
	global_load_b32 v14, v[14:15], off
	s_wait_loadcnt 0x0
	v_cvt_f64_f32_e32 v[14:15], v14
	v_fma_f64 v[1:2], v[14:15], v[16:17], v[1:2]
	s_branch .LBB61_14
.LBB61_17:                              ;   in Loop: Header=BB61_3 Depth=1
	v_mov_b32_e32 v1, 0
	v_mov_b32_e32 v2, 0
.LBB61_18:                              ;   in Loop: Header=BB61_3 Depth=1
	v_ashrrev_i32_e32 v8, 31, v7
	v_mul_lo_u32 v9, s65, v7
	v_mad_co_u64_u32 v[3:4], null, s64, v7, 0
	v_ashrrev_i32_e32 v10, 31, v6
	s_delay_alu instid0(VALU_DEP_4)
	v_mul_lo_u32 v8, s64, v8
	v_mul_lo_u32 v11, s63, v6
	v_mad_co_u64_u32 v[6:7], null, s62, v6, 0
	v_ashrrev_i32_e32 v12, 31, v5
	v_mul_lo_u32 v10, s62, v10
	v_mul_lo_u32 v13, s61, v5
	v_add3_u32 v4, v4, v8, v9
	v_mad_co_u64_u32 v[8:9], null, s60, v5, 0
	v_mul_lo_u32 v5, s60, v12
	v_add3_u32 v7, v7, v10, v11
	s_delay_alu instid0(VALU_DEP_4) | instskip(NEXT) | instid1(VALU_DEP_3)
	v_lshlrev_b64_e32 v[3:4], 2, v[3:4]
	v_add3_u32 v9, v9, v5, v13
	s_delay_alu instid0(VALU_DEP_3) | instskip(NEXT) | instid1(VALU_DEP_3)
	v_lshlrev_b64_e32 v[5:6], 2, v[6:7]
	v_add_co_u32 v7, vcc_lo, s20, v3
	s_wait_alu 0xfffd
	s_delay_alu instid0(VALU_DEP_4) | instskip(SKIP_1) | instid1(VALU_DEP_3)
	v_add_co_ci_u32_e64 v10, null, s21, v4, vcc_lo
	v_lshlrev_b64_e32 v[3:4], 2, v[8:9]
	v_add_co_u32 v5, vcc_lo, v7, v5
	s_wait_alu 0xfffd
	s_delay_alu instid0(VALU_DEP_3) | instskip(NEXT) | instid1(VALU_DEP_2)
	v_add_co_ci_u32_e64 v6, null, v10, v6, vcc_lo
	v_add_co_u32 v3, vcc_lo, v5, v3
	s_wait_alu 0xfffd
	s_delay_alu instid0(VALU_DEP_2)
	v_add_co_ci_u32_e64 v4, null, v6, v4, vcc_lo
	s_and_not1_b32 vcc_lo, exec_lo, s78
	s_wait_alu 0xfffe
	s_cbranch_vccnz .LBB61_2
; %bb.19:                               ;   in Loop: Header=BB61_3 Depth=1
	global_load_b32 v5, v[3:4], off
	s_wait_loadcnt 0x0
	v_cvt_f64_f32_e32 v[5:6], v5
	s_delay_alu instid0(VALU_DEP_1) | instskip(NEXT) | instid1(VALU_DEP_1)
	v_mul_f64_e32 v[5:6], s[26:27], v[5:6]
	v_fma_f64 v[1:2], s[24:25], v[1:2], v[5:6]
	s_branch .LBB61_2
.LBB61_20:
	s_endpgm
	.section	.rodata,"a",@progbits
	.p2align	6, 0x0
	.amdhsa_kernel naive_conv_ab_nonpacked_fwd_ncdhw_float_double_float_0
		.amdhsa_group_segment_fixed_size 0
		.amdhsa_private_segment_fixed_size 0
		.amdhsa_kernarg_size 528
		.amdhsa_user_sgpr_count 2
		.amdhsa_user_sgpr_dispatch_ptr 0
		.amdhsa_user_sgpr_queue_ptr 0
		.amdhsa_user_sgpr_kernarg_segment_ptr 1
		.amdhsa_user_sgpr_dispatch_id 0
		.amdhsa_user_sgpr_private_segment_size 0
		.amdhsa_wavefront_size32 1
		.amdhsa_uses_dynamic_stack 0
		.amdhsa_enable_private_segment 0
		.amdhsa_system_sgpr_workgroup_id_x 1
		.amdhsa_system_sgpr_workgroup_id_y 0
		.amdhsa_system_sgpr_workgroup_id_z 0
		.amdhsa_system_sgpr_workgroup_info 0
		.amdhsa_system_vgpr_workitem_id 0
		.amdhsa_next_free_vgpr 18
		.amdhsa_next_free_sgpr 85
		.amdhsa_reserve_vcc 1
		.amdhsa_float_round_mode_32 0
		.amdhsa_float_round_mode_16_64 0
		.amdhsa_float_denorm_mode_32 3
		.amdhsa_float_denorm_mode_16_64 3
		.amdhsa_fp16_overflow 0
		.amdhsa_workgroup_processor_mode 1
		.amdhsa_memory_ordered 1
		.amdhsa_forward_progress 1
		.amdhsa_inst_pref_size 16
		.amdhsa_round_robin_scheduling 0
		.amdhsa_exception_fp_ieee_invalid_op 0
		.amdhsa_exception_fp_denorm_src 0
		.amdhsa_exception_fp_ieee_div_zero 0
		.amdhsa_exception_fp_ieee_overflow 0
		.amdhsa_exception_fp_ieee_underflow 0
		.amdhsa_exception_fp_ieee_inexact 0
		.amdhsa_exception_int_div_zero 0
	.end_amdhsa_kernel
	.text
.Lfunc_end61:
	.size	naive_conv_ab_nonpacked_fwd_ncdhw_float_double_float_0, .Lfunc_end61-naive_conv_ab_nonpacked_fwd_ncdhw_float_double_float_0
                                        ; -- End function
	.set naive_conv_ab_nonpacked_fwd_ncdhw_float_double_float_0.num_vgpr, 18
	.set naive_conv_ab_nonpacked_fwd_ncdhw_float_double_float_0.num_agpr, 0
	.set naive_conv_ab_nonpacked_fwd_ncdhw_float_double_float_0.numbered_sgpr, 85
	.set naive_conv_ab_nonpacked_fwd_ncdhw_float_double_float_0.num_named_barrier, 0
	.set naive_conv_ab_nonpacked_fwd_ncdhw_float_double_float_0.private_seg_size, 0
	.set naive_conv_ab_nonpacked_fwd_ncdhw_float_double_float_0.uses_vcc, 1
	.set naive_conv_ab_nonpacked_fwd_ncdhw_float_double_float_0.uses_flat_scratch, 0
	.set naive_conv_ab_nonpacked_fwd_ncdhw_float_double_float_0.has_dyn_sized_stack, 0
	.set naive_conv_ab_nonpacked_fwd_ncdhw_float_double_float_0.has_recursion, 0
	.set naive_conv_ab_nonpacked_fwd_ncdhw_float_double_float_0.has_indirect_call, 0
	.section	.AMDGPU.csdata,"",@progbits
; Kernel info:
; codeLenInByte = 2032
; TotalNumSgprs: 87
; NumVgprs: 18
; ScratchSize: 0
; MemoryBound: 0
; FloatMode: 240
; IeeeMode: 1
; LDSByteSize: 0 bytes/workgroup (compile time only)
; SGPRBlocks: 0
; VGPRBlocks: 2
; NumSGPRsForWavesPerEU: 87
; NumVGPRsForWavesPerEU: 18
; Occupancy: 16
; WaveLimiterHint : 1
; COMPUTE_PGM_RSRC2:SCRATCH_EN: 0
; COMPUTE_PGM_RSRC2:USER_SGPR: 2
; COMPUTE_PGM_RSRC2:TRAP_HANDLER: 0
; COMPUTE_PGM_RSRC2:TGID_X_EN: 1
; COMPUTE_PGM_RSRC2:TGID_Y_EN: 0
; COMPUTE_PGM_RSRC2:TGID_Z_EN: 0
; COMPUTE_PGM_RSRC2:TIDIG_COMP_CNT: 0
	.text
	.protected	naive_conv_ab_packed_fwd_ncdhw_float_double_float_1 ; -- Begin function naive_conv_ab_packed_fwd_ncdhw_float_double_float_1
	.globl	naive_conv_ab_packed_fwd_ncdhw_float_double_float_1
	.p2align	8
	.type	naive_conv_ab_packed_fwd_ncdhw_float_double_float_1,@function
naive_conv_ab_packed_fwd_ncdhw_float_double_float_1: ; @naive_conv_ab_packed_fwd_ncdhw_float_double_float_1
; %bb.0:
	s_load_b512 s[4:19], s[0:1], 0xb8
	s_mov_b32 s25, exec_lo
	s_wait_kmcnt 0x0
	s_abs_i32 s3, s8
	s_mul_i32 s48, s12, s11
	s_cvt_f32_u32 s2, s3
	s_mul_i32 s33, s48, s10
	s_delay_alu instid0(SALU_CYCLE_2) | instskip(NEXT) | instid1(TRANS32_DEP_1)
	v_rcp_iflag_f32_e32 v1, s2
	v_readfirstlane_b32 s2, v1
	s_mul_f32 s2, s2, 0x4f7ffffe
	s_wait_alu 0xfffe
	s_delay_alu instid0(SALU_CYCLE_2) | instskip(SKIP_2) | instid1(SALU_CYCLE_1)
	s_cvt_u32_f32 s20, s2
	s_sub_co_i32 s2, 0, s3
	s_wait_alu 0xfffe
	s_mul_i32 s2, s2, s20
	s_wait_alu 0xfffe
	s_mul_hi_u32 s21, s20, s2
	s_abs_i32 s2, ttmp9
	s_add_co_i32 s20, s20, s21
	s_wait_alu 0xfffe
	s_mul_hi_u32 s20, s2, s20
	s_delay_alu instid0(SALU_CYCLE_1) | instskip(SKIP_2) | instid1(SALU_CYCLE_1)
	s_mul_i32 s21, s20, s3
	s_add_co_i32 s22, s20, 1
	s_sub_co_i32 s21, s2, s21
	s_sub_co_i32 s23, s21, s3
	s_cmp_ge_u32 s21, s3
	s_cselect_b32 s20, s22, s20
	s_cselect_b32 s21, s23, s21
	s_add_co_i32 s23, s20, 1
	s_cmp_ge_u32 s21, s3
	s_mul_i32 s22, s8, s7
	s_cselect_b32 s23, s23, s20
	s_abs_i32 s20, s7
	s_abs_i32 s7, s22
	s_cvt_f32_u32 s3, s20
	s_cvt_f32_u32 s21, s7
	s_wait_alu 0xfffe
	s_delay_alu instid0(SALU_CYCLE_1) | instskip(NEXT) | instid1(SALU_CYCLE_1)
	v_rcp_iflag_f32_e32 v1, s3
	v_rcp_iflag_f32_e32 v2, s21
	s_mov_b32 s3, 0
	s_delay_alu instid0(TRANS32_DEP_2) | instskip(NEXT) | instid1(TRANS32_DEP_1)
	v_readfirstlane_b32 s21, v1
	v_readfirstlane_b32 s24, v2
	v_cmpx_gt_i32_e64 s33, v0
	s_cbranch_execz .LBB62_20
; %bb.1:
	s_mul_f32 s25, s21, 0x4f7ffffe
	s_ashr_i32 s28, ttmp9, 31
	s_ashr_i32 s21, s8, 31
	s_sub_co_i32 s26, 0, s20
	s_cvt_u32_f32 s25, s25
	s_wait_alu 0xfffe
	s_xor_b32 s27, s28, s21
	s_mul_f32 s29, s24, 0x4f7ffffe
	s_xor_b32 s23, s23, s27
	s_mul_i32 s26, s26, s25
	s_sub_co_i32 s23, s23, s27
	s_mul_hi_u32 s26, s25, s26
	s_cvt_u32_f32 s29, s29
	s_abs_i32 s24, s23
	s_add_co_i32 s26, s25, s26
	s_mov_b32 s25, s3
	s_mov_b32 s27, s3
	s_sub_co_i32 s30, 0, s7
	s_mul_u64 s[26:27], s[24:25], s[26:27]
	s_mul_i32 s30, s30, s29
	s_ashr_i32 s31, s23, 31
	s_mul_hi_u32 s25, s29, s30
	s_ashr_i32 s30, s22, 31
	s_mul_i32 s22, s27, s20
	s_mul_i32 s23, s23, s8
	s_sub_co_i32 s24, s24, s22
	s_add_co_i32 s26, s29, s25
	s_sub_co_i32 s22, ttmp9, s23
	s_sub_co_i32 s23, s24, s20
	s_cmp_ge_u32 s24, s20
	s_mov_b32 s27, s3
	s_cselect_b32 s23, s23, s24
	s_mul_u64 s[24:25], s[2:3], s[26:27]
	s_sub_co_i32 s24, s23, s20
	s_cmp_ge_u32 s23, s20
	s_clause 0x1
	s_load_b64 s[34:35], s[0:1], 0x108
	s_load_b32 s49, s[0:1], 0x11c
	s_cselect_b32 s20, s24, s23
	s_xor_b32 s23, s28, s30
	s_wait_alu 0xfffe
	s_xor_b32 s20, s20, s31
	s_mov_b32 s36, s4
	s_wait_alu 0xfffe
	s_sub_co_i32 s24, s20, s31
	s_mul_i32 s20, s25, s7
	s_clause 0x1
	s_load_b128 s[28:31], s[0:1], 0xf8
	s_load_b64 s[56:57], s[0:1], 0x20
	s_sub_co_i32 s2, s2, s20
	s_add_co_i32 s20, s25, 1
	s_wait_alu 0xfffe
	s_sub_co_i32 s26, s2, s7
	s_cmp_ge_u32 s2, s7
	s_mov_b32 s40, s9
	s_cselect_b32 s20, s20, s25
	s_cselect_b32 s2, s26, s2
	s_wait_alu 0xfffe
	s_add_co_i32 s25, s20, 1
	s_cmp_ge_u32 s2, s7
	s_mov_b32 s38, s5
	s_cselect_b32 s2, s25, s20
	s_wait_kmcnt 0x0
	s_mul_i32 s26, s35, s9
	s_wait_alu 0xfffe
	s_xor_b32 s2, s2, s23
	s_ashr_i32 s25, s24, 31
	s_wait_alu 0xfffe
	s_sub_co_i32 s42, s2, s23
	s_ashr_i32 s27, s26, 31
	s_ashr_i32 s37, s4, 31
	s_ashr_i32 s39, s5, 31
	s_ashr_i32 s43, s42, 31
	s_ashr_i32 s41, s9, 31
	s_mul_u64 s[26:27], s[24:25], s[26:27]
	s_mul_u64 s[4:5], s[42:43], s[40:41]
	;; [unrolled: 1-line block ×3, first 2 shown]
	s_ashr_i32 s7, s6, 31
	s_add_nc_u64 s[4:5], s[4:5], s[26:27]
	s_mul_u64 s[26:27], s[44:45], s[6:7]
	s_mul_i32 s44, s35, s8
	s_mov_b32 s20, s8
	s_mul_u64 s[4:5], s[26:27], s[4:5]
	s_wait_alu 0xfffe
	s_mul_u64 s[20:21], s[42:43], s[20:21]
	s_ashr_i32 s23, s22, 31
	s_ashr_i32 s45, s44, 31
	;; [unrolled: 1-line block ×3, first 2 shown]
	s_mov_b32 s26, s10
	s_ashr_i32 s43, s11, 31
	s_mov_b32 s42, s11
	s_mul_u64 s[24:25], s[24:25], s[44:45]
	s_mul_u64 s[26:27], s[42:43], s[26:27]
	s_wait_alu 0xfffe
	s_add_nc_u64 s[52:53], s[20:21], s[22:23]
	s_ashr_i32 s45, s12, 31
	s_mov_b32 s44, s12
	s_add_nc_u64 s[20:21], s[52:53], s[24:25]
	s_mul_u64 s[22:23], s[26:27], s[44:45]
	s_lshl_b64 s[50:51], s[4:5], 2
	s_wait_alu 0xfffe
	s_mul_u64 s[20:21], s[22:23], s[20:21]
	s_ashr_i32 s5, s30, 31
	s_wait_alu 0xfffe
	s_lshl_b64 s[54:55], s[20:21], 2
	s_load_b256 s[20:27], s[0:1], 0x0
	s_ashr_i32 s47, s31, 31
	s_ashr_i32 s35, s34, 31
	s_cmp_gt_i32 s9, 0
	s_mov_b32 s46, s31
	s_cselect_b32 s43, -1, 0
	s_cmp_gt_i32 s30, 0
	s_mov_b32 s4, s30
	s_cselect_b32 s60, -1, 0
	s_cmp_gt_i32 s31, 0
	s_cselect_b32 s61, -1, 0
	s_cmp_gt_i32 s34, 0
	s_cselect_b32 s62, -1, 0
	s_abs_i32 s12, s12
	s_abs_i32 s1, s11
	s_cvt_f32_u32 s0, s12
	s_cvt_f32_u32 s2, s1
	s_abs_i32 s63, s48
	s_wait_kmcnt 0x0
	s_add_nc_u64 s[8:9], s[20:21], s[50:51]
	v_rcp_iflag_f32_e32 v1, s0
	v_cmp_neq_f64_e64 s0, s[24:25], 1.0
	v_cmp_neq_f64_e64 s50, s[26:27], 0
	s_wait_alu 0xfffe
	v_rcp_iflag_f32_e32 v2, s2
	s_cvt_f32_u32 s2, s63
	s_sub_co_i32 s21, 0, s12
	s_sub_co_i32 s30, 0, s1
	s_and_b32 s64, s49, 0xffff
	s_ashr_i32 s66, s48, 31
	v_readfirstlane_b32 s10, v1
	s_wait_alu 0xfffe
	v_rcp_iflag_f32_e32 v1, s2
	s_delay_alu instid0(TRANS32_DEP_2)
	v_readfirstlane_b32 s20, v2
	v_mov_b32_e32 v2, 0
	s_mul_f32 s2, s10, 0x4f7ffffe
	s_add_nc_u64 s[10:11], s[56:57], s[54:55]
	s_mul_f32 s20, s20, 0x4f7ffffe
	s_wait_alu 0xfffe
	s_cvt_u32_f32 s2, s2
	s_delay_alu instid0(TRANS32_DEP_1)
	v_readfirstlane_b32 s31, v1
	s_cvt_u32_f32 s20, s20
	s_wait_alu 0xfffe
	s_mul_i32 s21, s21, s2
	s_wait_alu 0xfffe
	s_mul_hi_u32 s21, s2, s21
	s_mul_i32 s30, s30, s20
	s_mul_f32 s51, s31, 0x4f7ffffe
	s_mul_hi_u32 s49, s20, s30
	s_mul_u64 s[30:31], s[34:35], s[46:47]
	s_wait_alu 0xfffe
	s_add_co_i32 s47, s2, s21
	s_add_co_i32 s65, s20, s49
	s_cvt_u32_f32 s2, s51
	s_mul_u64 s[48:49], s[30:31], s[4:5]
	s_sub_co_i32 s5, 0, s63
	s_mul_u64 s[20:21], s[48:49], s[52:53]
	s_wait_alu 0xfffe
	s_mul_i32 s5, s5, s2
	s_mul_u64 s[20:21], s[20:21], s[40:41]
	s_mul_hi_u32 s5, s2, s5
	s_wait_alu 0xfffe
	s_lshl_b64 s[20:21], s[20:21], 2
	s_add_co_i32 s5, s2, s5
	s_wait_alu 0xfffe
	s_add_nc_u64 s[20:21], s[22:23], s[20:21]
	s_lshl_b64 s[22:23], s[48:49], 2
	s_or_b32 s41, s0, s50
	s_lshl_b64 s[30:31], s[30:31], 2
	s_lshl_b64 s[48:49], s[34:35], 2
	s_mov_b32 s35, 0
	s_branch .LBB62_3
.LBB62_2:                               ;   in Loop: Header=BB62_3 Depth=1
	s_delay_alu instid0(VALU_DEP_1) | instskip(SKIP_1) | instid1(VALU_DEP_1)
	v_cvt_f32_f64_e32 v1, v[3:4]
	v_add_nc_u32_e32 v0, s64, v0
	v_cmp_le_i32_e32 vcc_lo, s33, v0
	s_or_b32 s35, vcc_lo, s35
	global_store_b32 v[5:6], v1, off
	s_and_not1_b32 exec_lo, exec_lo, s35
	s_cbranch_execz .LBB62_20
.LBB62_3:                               ; =>This Loop Header: Depth=1
                                        ;     Child Loop BB62_6 Depth 2
                                        ;       Child Loop BB62_9 Depth 3
                                        ;         Child Loop BB62_12 Depth 4
                                        ;           Child Loop BB62_15 Depth 5
	v_sub_nc_u32_e32 v1, 0, v0
	s_delay_alu instid0(VALU_DEP_1) | instskip(NEXT) | instid1(VALU_DEP_1)
	v_max_i32_e32 v1, v0, v1
	v_mul_hi_u32 v3, v1, s47
	s_delay_alu instid0(VALU_DEP_1) | instskip(NEXT) | instid1(VALU_DEP_1)
	v_mul_lo_u32 v4, v3, s12
	v_sub_nc_u32_e32 v4, v1, v4
	s_delay_alu instid0(VALU_DEP_1) | instskip(SKIP_2) | instid1(VALU_DEP_2)
	v_subrev_nc_u32_e32 v6, s12, v4
	v_cmp_le_u32_e32 vcc_lo, s12, v4
	s_wait_alu 0xfffd
	v_dual_cndmask_b32 v4, v4, v6 :: v_dual_add_nc_u32 v5, 1, v3
	s_delay_alu instid0(VALU_DEP_1) | instskip(SKIP_1) | instid1(VALU_DEP_3)
	v_cndmask_b32_e32 v3, v3, v5, vcc_lo
	v_ashrrev_i32_e32 v5, 31, v0
	v_cmp_le_u32_e32 vcc_lo, s12, v4
	s_delay_alu instid0(VALU_DEP_3) | instskip(NEXT) | instid1(VALU_DEP_3)
	v_add_nc_u32_e32 v6, 1, v3
	v_xor_b32_e32 v7, s45, v5
	s_wait_alu 0xfffd
	s_delay_alu instid0(VALU_DEP_2) | instskip(SKIP_1) | instid1(VALU_DEP_2)
	v_cndmask_b32_e32 v3, v3, v6, vcc_lo
	v_mul_hi_u32 v6, v1, s5
	v_xor_b32_e32 v3, v3, v7
	s_delay_alu instid0(VALU_DEP_2) | instskip(NEXT) | instid1(VALU_DEP_2)
	v_mul_lo_u32 v8, v6, s63
	v_sub_nc_u32_e32 v3, v3, v7
	s_delay_alu instid0(VALU_DEP_1) | instskip(NEXT) | instid1(VALU_DEP_3)
	v_sub_nc_u32_e32 v4, 0, v3
	v_sub_nc_u32_e32 v1, v1, v8
	s_delay_alu instid0(VALU_DEP_2) | instskip(NEXT) | instid1(VALU_DEP_2)
	v_max_i32_e32 v4, v3, v4
	v_subrev_nc_u32_e32 v8, s63, v1
	v_cmp_le_u32_e32 vcc_lo, s63, v1
	s_delay_alu instid0(VALU_DEP_3) | instskip(SKIP_1) | instid1(VALU_DEP_3)
	v_mul_hi_u32 v7, v4, s65
	s_wait_alu 0xfffd
	v_cndmask_b32_e32 v1, v1, v8, vcc_lo
	v_xor_b32_e32 v8, s66, v5
	s_delay_alu instid0(VALU_DEP_3) | instskip(NEXT) | instid1(VALU_DEP_1)
	v_mul_lo_u32 v7, v7, s1
	v_sub_nc_u32_e32 v4, v4, v7
	v_add_nc_u32_e32 v7, 1, v6
	s_delay_alu instid0(VALU_DEP_2) | instskip(NEXT) | instid1(VALU_DEP_2)
	v_subrev_nc_u32_e32 v9, s1, v4
	v_cndmask_b32_e32 v6, v6, v7, vcc_lo
	v_cmp_le_u32_e64 s0, s1, v4
	v_cmp_le_u32_e32 vcc_lo, s63, v1
	s_delay_alu instid0(VALU_DEP_3) | instskip(SKIP_1) | instid1(VALU_DEP_3)
	v_add_nc_u32_e32 v7, 1, v6
	s_wait_alu 0xf1ff
	v_cndmask_b32_e64 v4, v4, v9, s0
	s_wait_alu 0xfffd
	s_delay_alu instid0(VALU_DEP_2) | instskip(NEXT) | instid1(VALU_DEP_2)
	v_cndmask_b32_e32 v1, v6, v7, vcc_lo
	v_subrev_nc_u32_e32 v5, s1, v4
	v_cmp_le_u32_e32 vcc_lo, s1, v4
	v_ashrrev_i32_e32 v6, 31, v3
	v_mul_lo_u32 v3, v3, s44
	v_xor_b32_e32 v1, v1, v8
	s_wait_alu 0xfffd
	v_cndmask_b32_e32 v4, v4, v5, vcc_lo
	s_and_not1_b32 vcc_lo, exec_lo, s43
	s_delay_alu instid0(VALU_DEP_2) | instskip(NEXT) | instid1(VALU_DEP_2)
	v_sub_nc_u32_e32 v11, v1, v8
	v_xor_b32_e32 v4, v4, v6
	v_sub_nc_u32_e32 v5, v0, v3
	s_delay_alu instid0(VALU_DEP_2)
	v_sub_nc_u32_e32 v6, v4, v6
	s_wait_alu 0xfffe
	s_cbranch_vccnz .LBB62_17
; %bb.4:                                ;   in Loop: Header=BB62_3 Depth=1
	v_mul_lo_u32 v1, v11, s13
	s_delay_alu instid0(VALU_DEP_2)
	v_mul_lo_u32 v8, v6, s14
	v_mul_lo_u32 v9, v5, s15
	v_mov_b32_e32 v3, 0
	v_mov_b32_e32 v4, 0
	s_mov_b32 s2, 0
	s_mov_b64 s[50:51], s[20:21]
	v_subrev_nc_u32_e32 v7, s19, v1
	v_subrev_nc_u32_e32 v8, s28, v8
	;; [unrolled: 1-line block ×3, first 2 shown]
	s_branch .LBB62_6
.LBB62_5:                               ;   in Loop: Header=BB62_6 Depth=2
	s_add_co_i32 s2, s2, 1
	s_add_nc_u64 s[50:51], s[50:51], s[22:23]
	s_wait_alu 0xfffe
	s_cmp_eq_u32 s2, s40
	s_cbranch_scc1 .LBB62_18
.LBB62_6:                               ;   Parent Loop BB62_3 Depth=1
                                        ; =>  This Loop Header: Depth=2
                                        ;       Child Loop BB62_9 Depth 3
                                        ;         Child Loop BB62_12 Depth 4
                                        ;           Child Loop BB62_15 Depth 5
	s_and_not1_b32 vcc_lo, exec_lo, s60
	s_wait_alu 0xfffe
	s_cbranch_vccnz .LBB62_5
; %bb.7:                                ;   in Loop: Header=BB62_6 Depth=2
	s_mul_u64 s[52:53], s[2:3], s[36:37]
	s_mov_b32 s67, 0
	s_mov_b64 s[54:55], s[50:51]
	s_branch .LBB62_9
.LBB62_8:                               ;   in Loop: Header=BB62_9 Depth=3
	s_add_co_i32 s67, s67, 1
	s_add_nc_u64 s[54:55], s[54:55], s[30:31]
	s_wait_alu 0xfffe
	s_cmp_eq_u32 s67, s4
	s_cbranch_scc1 .LBB62_5
.LBB62_9:                               ;   Parent Loop BB62_3 Depth=1
                                        ;     Parent Loop BB62_6 Depth=2
                                        ; =>    This Loop Header: Depth=3
                                        ;         Child Loop BB62_12 Depth 4
                                        ;           Child Loop BB62_15 Depth 5
	s_and_not1_b32 vcc_lo, exec_lo, s61
	s_wait_alu 0xfffe
	s_cbranch_vccnz .LBB62_8
; %bb.10:                               ;   in Loop: Header=BB62_9 Depth=3
	v_mad_co_u64_u32 v[13:14], null, s67, s16, v[7:8]
	s_mov_b32 s68, 0
	s_mov_b64 s[56:57], s[54:55]
	v_add_co_u32 v1, s0, s52, v13
	s_wait_alu 0xf1ff
	v_add_co_ci_u32_e64 v9, null, s53, 0, s0
	v_cmp_gt_i32_e32 vcc_lo, 0, v13
	s_delay_alu instid0(VALU_DEP_3) | instskip(SKIP_1) | instid1(VALU_DEP_4)
	v_mul_lo_u32 v15, v1, s39
	v_cmp_le_i32_e64 s0, s36, v13
	v_mul_lo_u32 v14, v9, s38
	v_mad_co_u64_u32 v[9:10], null, v1, s38, 0
	s_or_b32 s69, vcc_lo, s0
	v_add3_u32 v10, v10, v15, v14
	s_branch .LBB62_12
.LBB62_11:                              ;   in Loop: Header=BB62_12 Depth=4
	s_add_co_i32 s68, s68, 1
	s_add_nc_u64 s[56:57], s[56:57], s[48:49]
	s_wait_alu 0xfffe
	s_cmp_eq_u32 s68, s46
	s_cbranch_scc1 .LBB62_8
.LBB62_12:                              ;   Parent Loop BB62_3 Depth=1
                                        ;     Parent Loop BB62_6 Depth=2
                                        ;       Parent Loop BB62_9 Depth=3
                                        ; =>      This Loop Header: Depth=4
                                        ;           Child Loop BB62_15 Depth 5
	s_and_not1_b32 vcc_lo, exec_lo, s62
	s_wait_alu 0xfffe
	s_cbranch_vccnz .LBB62_11
; %bb.13:                               ;   in Loop: Header=BB62_12 Depth=4
	v_mad_co_u64_u32 v[13:14], null, s68, s17, v[8:9]
	s_mov_b64 s[58:59], s[56:57]
	s_mov_b32 s71, s34
	v_add_co_u32 v1, vcc_lo, v9, v13
	s_wait_alu 0xfffd
	v_add_co_ci_u32_e64 v14, null, 0, v10, vcc_lo
	v_cmp_gt_i32_e32 vcc_lo, 0, v13
	s_delay_alu instid0(VALU_DEP_3) | instskip(SKIP_1) | instid1(VALU_DEP_4)
	v_mul_lo_u32 v17, v1, s7
	v_cmp_le_i32_e64 s0, s38, v13
	v_mul_lo_u32 v16, v14, s6
	v_mad_co_u64_u32 v[14:15], null, v1, s6, 0
	v_mov_b32_e32 v1, v12
	s_delay_alu instid0(VALU_DEP_4) | instskip(SKIP_2) | instid1(VALU_DEP_2)
	s_or_b32 s0, vcc_lo, s0
	s_wait_alu 0xfffe
	s_or_b32 s70, s69, s0
	v_add3_u32 v15, v15, v17, v16
	s_delay_alu instid0(VALU_DEP_1) | instskip(NEXT) | instid1(VALU_DEP_1)
	v_lshlrev_b64_e32 v[13:14], 2, v[14:15]
	v_add_co_u32 v13, vcc_lo, s8, v13
	s_wait_alu 0xfffd
	s_delay_alu instid0(VALU_DEP_2)
	v_add_co_ci_u32_e64 v14, null, s9, v14, vcc_lo
	s_branch .LBB62_15
.LBB62_14:                              ;   in Loop: Header=BB62_15 Depth=5
	s_wait_alu 0xfffe
	s_or_b32 exec_lo, exec_lo, s0
	v_add_nc_u32_e32 v1, s18, v1
	s_add_co_i32 s71, s71, -1
	s_add_nc_u64 s[58:59], s[58:59], 4
	s_cmp_eq_u32 s71, 0
	s_cbranch_scc1 .LBB62_11
.LBB62_15:                              ;   Parent Loop BB62_3 Depth=1
                                        ;     Parent Loop BB62_6 Depth=2
                                        ;       Parent Loop BB62_9 Depth=3
                                        ;         Parent Loop BB62_12 Depth=4
                                        ; =>        This Inner Loop Header: Depth=5
	v_cmp_gt_i32_e32 vcc_lo, 0, v1
	v_cmp_le_i32_e64 s0, s6, v1
	s_or_b32 s0, vcc_lo, s0
	s_wait_alu 0xfffe
	s_nor_b32 s72, s70, s0
	s_wait_alu 0xfffe
	s_and_saveexec_b32 s0, s72
	s_cbranch_execz .LBB62_14
; %bb.16:                               ;   in Loop: Header=BB62_15 Depth=5
	v_lshlrev_b64_e32 v[15:16], 2, v[1:2]
	s_load_b32 s72, s[58:59], 0x0
	s_delay_alu instid0(VALU_DEP_1) | instskip(SKIP_1) | instid1(VALU_DEP_2)
	v_add_co_u32 v15, vcc_lo, v13, v15
	s_wait_alu 0xfffd
	v_add_co_ci_u32_e64 v16, null, v14, v16, vcc_lo
	global_load_b32 v15, v[15:16], off
	s_wait_kmcnt 0x0
	s_and_b32 s72, s72, 0xffffe000
	s_wait_alu 0xfffe
	v_cvt_f64_f32_e32 v[17:18], s72
	s_wait_loadcnt 0x0
	v_and_b32_e32 v15, 0xffffe000, v15
	s_delay_alu instid0(VALU_DEP_1) | instskip(NEXT) | instid1(VALU_DEP_1)
	v_cvt_f64_f32_e32 v[15:16], v15
	v_fma_f64 v[3:4], v[15:16], v[17:18], v[3:4]
	s_branch .LBB62_14
.LBB62_17:                              ;   in Loop: Header=BB62_3 Depth=1
	v_mov_b32_e32 v3, 0
	v_mov_b32_e32 v4, 0
.LBB62_18:                              ;   in Loop: Header=BB62_3 Depth=1
	v_ashrrev_i32_e32 v7, 31, v6
	s_delay_alu instid0(VALU_DEP_1) | instskip(NEXT) | instid1(VALU_DEP_1)
	v_mad_co_i64_i32 v[6:7], null, v11, s42, v[6:7]
	v_mul_lo_u32 v1, v7, s44
	s_delay_alu instid0(VALU_DEP_2) | instskip(SKIP_2) | instid1(VALU_DEP_1)
	v_mul_lo_u32 v9, v6, s45
	v_mad_co_u64_u32 v[7:8], null, v6, s44, 0
	v_ashrrev_i32_e32 v6, 31, v5
	v_lshlrev_b64_e32 v[5:6], 2, v[5:6]
	s_delay_alu instid0(VALU_DEP_3) | instskip(NEXT) | instid1(VALU_DEP_1)
	v_add3_u32 v8, v8, v9, v1
	v_lshlrev_b64_e32 v[7:8], 2, v[7:8]
	s_delay_alu instid0(VALU_DEP_1) | instskip(SKIP_1) | instid1(VALU_DEP_2)
	v_add_co_u32 v1, vcc_lo, s10, v7
	s_wait_alu 0xfffd
	v_add_co_ci_u32_e64 v7, null, s11, v8, vcc_lo
	s_delay_alu instid0(VALU_DEP_2) | instskip(SKIP_1) | instid1(VALU_DEP_2)
	v_add_co_u32 v5, vcc_lo, v1, v5
	s_wait_alu 0xfffd
	v_add_co_ci_u32_e64 v6, null, v7, v6, vcc_lo
	s_and_not1_b32 vcc_lo, exec_lo, s41
	s_wait_alu 0xfffe
	s_cbranch_vccnz .LBB62_2
; %bb.19:                               ;   in Loop: Header=BB62_3 Depth=1
	global_load_b32 v1, v[5:6], off
	s_wait_loadcnt 0x0
	v_cvt_f64_f32_e32 v[7:8], v1
	s_delay_alu instid0(VALU_DEP_1) | instskip(NEXT) | instid1(VALU_DEP_1)
	v_mul_f64_e32 v[7:8], s[26:27], v[7:8]
	v_fma_f64 v[3:4], s[24:25], v[3:4], v[7:8]
	s_branch .LBB62_2
.LBB62_20:
	s_endpgm
	.section	.rodata,"a",@progbits
	.p2align	6, 0x0
	.amdhsa_kernel naive_conv_ab_packed_fwd_ncdhw_float_double_float_1
		.amdhsa_group_segment_fixed_size 0
		.amdhsa_private_segment_fixed_size 0
		.amdhsa_kernarg_size 528
		.amdhsa_user_sgpr_count 2
		.amdhsa_user_sgpr_dispatch_ptr 0
		.amdhsa_user_sgpr_queue_ptr 0
		.amdhsa_user_sgpr_kernarg_segment_ptr 1
		.amdhsa_user_sgpr_dispatch_id 0
		.amdhsa_user_sgpr_private_segment_size 0
		.amdhsa_wavefront_size32 1
		.amdhsa_uses_dynamic_stack 0
		.amdhsa_enable_private_segment 0
		.amdhsa_system_sgpr_workgroup_id_x 1
		.amdhsa_system_sgpr_workgroup_id_y 0
		.amdhsa_system_sgpr_workgroup_id_z 0
		.amdhsa_system_sgpr_workgroup_info 0
		.amdhsa_system_vgpr_workitem_id 0
		.amdhsa_next_free_vgpr 19
		.amdhsa_next_free_sgpr 73
		.amdhsa_reserve_vcc 1
		.amdhsa_float_round_mode_32 0
		.amdhsa_float_round_mode_16_64 0
		.amdhsa_float_denorm_mode_32 3
		.amdhsa_float_denorm_mode_16_64 3
		.amdhsa_fp16_overflow 0
		.amdhsa_workgroup_processor_mode 1
		.amdhsa_memory_ordered 1
		.amdhsa_forward_progress 1
		.amdhsa_inst_pref_size 17
		.amdhsa_round_robin_scheduling 0
		.amdhsa_exception_fp_ieee_invalid_op 0
		.amdhsa_exception_fp_denorm_src 0
		.amdhsa_exception_fp_ieee_div_zero 0
		.amdhsa_exception_fp_ieee_overflow 0
		.amdhsa_exception_fp_ieee_underflow 0
		.amdhsa_exception_fp_ieee_inexact 0
		.amdhsa_exception_int_div_zero 0
	.end_amdhsa_kernel
	.text
.Lfunc_end62:
	.size	naive_conv_ab_packed_fwd_ncdhw_float_double_float_1, .Lfunc_end62-naive_conv_ab_packed_fwd_ncdhw_float_double_float_1
                                        ; -- End function
	.set naive_conv_ab_packed_fwd_ncdhw_float_double_float_1.num_vgpr, 19
	.set naive_conv_ab_packed_fwd_ncdhw_float_double_float_1.num_agpr, 0
	.set naive_conv_ab_packed_fwd_ncdhw_float_double_float_1.numbered_sgpr, 73
	.set naive_conv_ab_packed_fwd_ncdhw_float_double_float_1.num_named_barrier, 0
	.set naive_conv_ab_packed_fwd_ncdhw_float_double_float_1.private_seg_size, 0
	.set naive_conv_ab_packed_fwd_ncdhw_float_double_float_1.uses_vcc, 1
	.set naive_conv_ab_packed_fwd_ncdhw_float_double_float_1.uses_flat_scratch, 0
	.set naive_conv_ab_packed_fwd_ncdhw_float_double_float_1.has_dyn_sized_stack, 0
	.set naive_conv_ab_packed_fwd_ncdhw_float_double_float_1.has_recursion, 0
	.set naive_conv_ab_packed_fwd_ncdhw_float_double_float_1.has_indirect_call, 0
	.section	.AMDGPU.csdata,"",@progbits
; Kernel info:
; codeLenInByte = 2088
; TotalNumSgprs: 75
; NumVgprs: 19
; ScratchSize: 0
; MemoryBound: 0
; FloatMode: 240
; IeeeMode: 1
; LDSByteSize: 0 bytes/workgroup (compile time only)
; SGPRBlocks: 0
; VGPRBlocks: 2
; NumSGPRsForWavesPerEU: 75
; NumVGPRsForWavesPerEU: 19
; Occupancy: 16
; WaveLimiterHint : 1
; COMPUTE_PGM_RSRC2:SCRATCH_EN: 0
; COMPUTE_PGM_RSRC2:USER_SGPR: 2
; COMPUTE_PGM_RSRC2:TRAP_HANDLER: 0
; COMPUTE_PGM_RSRC2:TGID_X_EN: 1
; COMPUTE_PGM_RSRC2:TGID_Y_EN: 0
; COMPUTE_PGM_RSRC2:TGID_Z_EN: 0
; COMPUTE_PGM_RSRC2:TIDIG_COMP_CNT: 0
	.text
	.protected	naive_conv_ab_nonpacked_fwd_ncdhw_float_double_float_1 ; -- Begin function naive_conv_ab_nonpacked_fwd_ncdhw_float_double_float_1
	.globl	naive_conv_ab_nonpacked_fwd_ncdhw_float_double_float_1
	.p2align	8
	.type	naive_conv_ab_nonpacked_fwd_ncdhw_float_double_float_1,@function
naive_conv_ab_nonpacked_fwd_ncdhw_float_double_float_1: ; @naive_conv_ab_nonpacked_fwd_ncdhw_float_double_float_1
; %bb.0:
	s_load_b512 s[4:19], s[0:1], 0xb8
	s_mov_b32 s25, exec_lo
	s_wait_kmcnt 0x0
	s_abs_i32 s3, s8
	s_mul_i32 s76, s12, s11
	s_cvt_f32_u32 s2, s3
	s_delay_alu instid0(SALU_CYCLE_3) | instskip(NEXT) | instid1(TRANS32_DEP_1)
	v_rcp_iflag_f32_e32 v1, s2
	v_readfirstlane_b32 s2, v1
	s_mul_f32 s2, s2, 0x4f7ffffe
	s_wait_alu 0xfffe
	s_delay_alu instid0(SALU_CYCLE_2) | instskip(SKIP_2) | instid1(SALU_CYCLE_1)
	s_cvt_u32_f32 s20, s2
	s_sub_co_i32 s2, 0, s3
	s_wait_alu 0xfffe
	s_mul_i32 s2, s2, s20
	s_wait_alu 0xfffe
	s_mul_hi_u32 s21, s20, s2
	s_abs_i32 s2, ttmp9
	s_add_co_i32 s20, s20, s21
	s_wait_alu 0xfffe
	s_mul_hi_u32 s20, s2, s20
	s_delay_alu instid0(SALU_CYCLE_1) | instskip(SKIP_2) | instid1(SALU_CYCLE_1)
	s_mul_i32 s21, s20, s3
	s_add_co_i32 s22, s20, 1
	s_sub_co_i32 s21, s2, s21
	s_sub_co_i32 s23, s21, s3
	s_cmp_ge_u32 s21, s3
	s_cselect_b32 s20, s22, s20
	s_cselect_b32 s21, s23, s21
	s_add_co_i32 s23, s20, 1
	s_cmp_ge_u32 s21, s3
	s_mul_i32 s22, s8, s7
	s_cselect_b32 s23, s23, s20
	s_abs_i32 s21, s7
	s_abs_i32 s20, s22
	s_cvt_f32_u32 s3, s21
	s_cvt_f32_u32 s7, s20
	s_wait_alu 0xfffe
	s_delay_alu instid0(SALU_CYCLE_1) | instskip(NEXT) | instid1(SALU_CYCLE_1)
	v_rcp_iflag_f32_e32 v1, s3
	v_rcp_iflag_f32_e32 v2, s7
	s_mul_i32 s7, s76, s10
	s_mov_b32 s3, 0
	s_delay_alu instid0(TRANS32_DEP_2) | instskip(NEXT) | instid1(TRANS32_DEP_1)
	v_readfirstlane_b32 s24, v1
	v_readfirstlane_b32 s10, v2
	s_wait_alu 0xfffe
	v_cmpx_gt_i32_e64 s7, v0
	s_cbranch_execz .LBB63_20
; %bb.1:
	s_mul_f32 s24, s24, 0x4f7ffffe
	s_ashr_i32 s28, ttmp9, 31
	s_ashr_i32 s25, s8, 31
	s_mul_f32 s10, s10, 0x4f7ffffe
	s_cvt_u32_f32 s27, s24
	s_sub_co_i32 s26, 0, s21
	s_xor_b32 s24, s28, s25
	s_cvt_u32_f32 s10, s10
	s_xor_b32 s23, s23, s24
	s_mul_i32 s26, s26, s27
	s_sub_co_i32 s23, s23, s24
	s_mul_hi_u32 s25, s27, s26
	s_sub_co_i32 s29, 0, s20
	s_abs_i32 s24, s23
	s_add_co_i32 s26, s27, s25
	s_mov_b32 s25, s3
	s_mov_b32 s27, s3
	s_mul_i32 s29, s29, s10
	s_mul_u64 s[26:27], s[24:25], s[26:27]
	s_mul_hi_u32 s25, s10, s29
	s_ashr_i32 s29, s22, 31
	s_add_co_i32 s22, s10, s25
	s_mul_i32 s10, s27, s21
	s_ashr_i32 s30, s23, 31
	s_mul_i32 s23, s23, s8
	s_sub_co_i32 s8, s24, s10
	s_sub_co_i32 s34, ttmp9, s23
	s_sub_co_i32 s10, s8, s21
	s_cmp_ge_u32 s8, s21
	s_mov_b32 s23, s3
	s_cselect_b32 s8, s10, s8
	s_mul_u64 s[22:23], s[2:3], s[22:23]
	s_sub_co_i32 s10, s8, s21
	s_cmp_ge_u32 s8, s21
	s_load_b512 s[36:51], s[0:1], 0x28
	s_cselect_b32 s8, s10, s8
	s_load_b128 s[24:27], s[0:1], 0xa8
	s_xor_b32 s8, s8, s30
	s_load_b512 s[52:67], s[0:1], 0x68
	s_sub_co_i32 s22, s8, s30
	s_mul_i32 s8, s23, s20
	s_xor_b32 s10, s28, s29
	s_sub_co_i32 s2, s2, s8
	s_add_co_i32 s8, s23, 1
	s_wait_alu 0xfffe
	s_sub_co_i32 s21, s2, s20
	s_cmp_ge_u32 s2, s20
	s_load_b128 s[28:31], s[0:1], 0xf8
	s_cselect_b32 s8, s8, s23
	s_cselect_b32 s2, s21, s2
	s_add_co_i32 s21, s8, 1
	s_wait_alu 0xfffe
	s_cmp_ge_u32 s2, s20
	s_load_b64 s[82:83], s[0:1], 0x20
	s_cselect_b32 s2, s21, s8
	s_load_b32 s8, s[0:1], 0x108
	s_xor_b32 s2, s2, s10
	s_ashr_i32 s23, s22, 31
	s_wait_alu 0xfffe
	s_sub_co_i32 s78, s2, s10
	s_wait_kmcnt 0x0
	s_mul_u64 s[20:21], s[46:47], s[22:23]
	s_ashr_i32 s79, s78, 31
	s_ashr_i32 s35, s34, 31
	s_lshl_b64 s[46:47], s[20:21], 2
	s_mul_u64 s[20:21], s[26:27], s[22:23]
	s_mul_u64 s[22:23], s[24:25], s[78:79]
	;; [unrolled: 1-line block ×3, first 2 shown]
	s_lshl_b64 s[72:73], s[20:21], 2
	s_lshl_b64 s[74:75], s[22:23], 2
	;; [unrolled: 1-line block ×3, first 2 shown]
	s_load_b256 s[20:27], s[0:1], 0x0
	s_mul_u64 s[44:45], s[44:45], s[78:79]
	s_load_b32 s2, s[0:1], 0x11c
	s_lshl_b64 s[44:45], s[44:45], 2
	s_cmp_gt_i32 s9, 0
	s_cselect_b32 s33, -1, 0
	s_cmp_gt_i32 s30, 0
	s_cselect_b32 s66, -1, 0
	;; [unrolled: 2-line block ×4, first 2 shown]
	s_abs_i32 s69, s12
	s_abs_i32 s70, s11
	s_cvt_f32_u32 s0, s69
	s_cvt_f32_u32 s71, s70
	s_lshl_b64 s[48:49], s[48:49], 2
	s_delay_alu instid0(SALU_CYCLE_1)
	v_rcp_iflag_f32_e32 v1, s0
	s_wait_kmcnt 0x0
	s_add_nc_u64 s[0:1], s[20:21], s[46:47]
	v_cmp_neq_f64_e64 s46, s[24:25], 1.0
	v_cmp_neq_f64_e64 s47, s[26:27], 0
	v_rcp_iflag_f32_e32 v2, s71
	s_abs_i32 s71, s76
	s_wait_alu 0xfffe
	s_add_nc_u64 s[10:11], s[0:1], s[44:45]
	s_cvt_f32_u32 s20, s71
	s_add_nc_u64 s[0:1], s[82:83], s[72:73]
	s_and_b32 s72, s2, 0xffff
	v_readfirstlane_b32 s21, v1
	v_rcp_iflag_f32_e32 v1, s20
	s_wait_alu 0xfffe
	s_add_nc_u64 s[0:1], s[0:1], s[74:75]
	s_sub_co_i32 s2, 0, s69
	v_readfirstlane_b32 s45, v2
	s_mul_f32 s44, s21, 0x4f7ffffe
	s_wait_alu 0xfffe
	s_add_nc_u64 s[20:21], s[0:1], s[80:81]
	s_ashr_i32 s73, s12, 31
	s_ashr_i32 s76, s76, 31
	s_mul_f32 s1, s45, 0x4f7ffffe
	s_cvt_u32_f32 s0, s44
	v_readfirstlane_b32 s44, v1
	s_sub_co_i32 s45, 0, s70
	s_wait_alu 0xfffe
	s_cvt_u32_f32 s1, s1
	s_mul_i32 s2, s2, s0
	s_mul_f32 s44, s44, 0x4f7ffffe
	s_wait_alu 0xfffe
	s_mul_hi_u32 s2, s0, s2
	s_mul_i32 s45, s45, s1
	s_wait_alu 0xfffe
	s_add_co_i32 s74, s0, s2
	s_mul_hi_u32 s0, s1, s45
	s_cvt_u32_f32 s2, s44
	s_wait_alu 0xfffe
	s_add_co_i32 s75, s1, s0
	s_sub_co_i32 s0, 0, s71
	s_wait_alu 0xfffe
	s_mul_i32 s44, s0, s2
	s_mul_u64 s[0:1], s[56:57], s[34:35]
	s_mul_u64 s[34:35], s[58:59], s[78:79]
	s_wait_alu 0xfffe
	s_lshl_b64 s[0:1], s[0:1], 2
	s_lshl_b64 s[34:35], s[34:35], 2
	s_mul_hi_u32 s44, s2, s44
	s_wait_alu 0xfffe
	s_add_nc_u64 s[0:1], s[0:1], s[34:35]
	s_add_co_i32 s77, s2, s44
	s_wait_alu 0xfffe
	s_add_nc_u64 s[22:23], s[22:23], s[0:1]
	s_lshl_b64 s[34:35], s[54:55], 2
	s_lshl_b64 s[44:45], s[52:53], 2
	s_or_b32 s78, s46, s47
	s_lshl_b64 s[46:47], s[50:51], 2
	s_mov_b32 s79, 0
	s_branch .LBB63_3
.LBB63_2:                               ;   in Loop: Header=BB63_3 Depth=1
	s_delay_alu instid0(VALU_DEP_1) | instskip(SKIP_1) | instid1(VALU_DEP_1)
	v_cvt_f32_f64_e32 v1, v[1:2]
	v_add_nc_u32_e32 v0, s72, v0
	v_cmp_le_i32_e32 vcc_lo, s7, v0
	s_or_b32 s79, vcc_lo, s79
	global_store_b32 v[3:4], v1, off
	s_and_not1_b32 exec_lo, exec_lo, s79
	s_cbranch_execz .LBB63_20
.LBB63_3:                               ; =>This Loop Header: Depth=1
                                        ;     Child Loop BB63_6 Depth 2
                                        ;       Child Loop BB63_9 Depth 3
                                        ;         Child Loop BB63_12 Depth 4
                                        ;           Child Loop BB63_15 Depth 5
	v_sub_nc_u32_e32 v1, 0, v0
	s_delay_alu instid0(VALU_DEP_1) | instskip(NEXT) | instid1(VALU_DEP_1)
	v_max_i32_e32 v1, v0, v1
	v_mul_hi_u32 v2, v1, s74
	s_delay_alu instid0(VALU_DEP_1) | instskip(NEXT) | instid1(VALU_DEP_1)
	v_mul_lo_u32 v3, v2, s69
	v_sub_nc_u32_e32 v3, v1, v3
	s_delay_alu instid0(VALU_DEP_1) | instskip(SKIP_2) | instid1(VALU_DEP_2)
	v_subrev_nc_u32_e32 v5, s69, v3
	v_cmp_le_u32_e32 vcc_lo, s69, v3
	s_wait_alu 0xfffd
	v_dual_cndmask_b32 v3, v3, v5 :: v_dual_add_nc_u32 v4, 1, v2
	s_delay_alu instid0(VALU_DEP_1) | instskip(SKIP_1) | instid1(VALU_DEP_3)
	v_cndmask_b32_e32 v2, v2, v4, vcc_lo
	v_ashrrev_i32_e32 v4, 31, v0
	v_cmp_le_u32_e32 vcc_lo, s69, v3
	s_delay_alu instid0(VALU_DEP_3) | instskip(NEXT) | instid1(VALU_DEP_3)
	v_add_nc_u32_e32 v5, 1, v2
	v_xor_b32_e32 v6, s73, v4
	v_xor_b32_e32 v4, s76, v4
	s_wait_alu 0xfffd
	s_delay_alu instid0(VALU_DEP_3) | instskip(SKIP_1) | instid1(VALU_DEP_1)
	v_cndmask_b32_e32 v2, v2, v5, vcc_lo
	v_mul_hi_u32 v5, v1, s77
	v_mul_lo_u32 v7, v5, s71
	s_delay_alu instid0(VALU_DEP_1) | instskip(NEXT) | instid1(VALU_DEP_1)
	v_sub_nc_u32_e32 v1, v1, v7
	v_subrev_nc_u32_e32 v7, s71, v1
	v_cmp_le_u32_e32 vcc_lo, s71, v1
	s_wait_alu 0xfffd
	s_delay_alu instid0(VALU_DEP_2) | instskip(SKIP_1) | instid1(VALU_DEP_1)
	v_cndmask_b32_e32 v1, v1, v7, vcc_lo
	v_xor_b32_e32 v2, v2, v6
	v_sub_nc_u32_e32 v2, v2, v6
	s_delay_alu instid0(VALU_DEP_1) | instskip(NEXT) | instid1(VALU_DEP_1)
	v_sub_nc_u32_e32 v3, 0, v2
	v_max_i32_e32 v3, v2, v3
	s_delay_alu instid0(VALU_DEP_1) | instskip(NEXT) | instid1(VALU_DEP_1)
	v_mul_hi_u32 v6, v3, s75
	v_mul_lo_u32 v6, v6, s70
	s_delay_alu instid0(VALU_DEP_1) | instskip(NEXT) | instid1(VALU_DEP_1)
	v_sub_nc_u32_e32 v3, v3, v6
	v_subrev_nc_u32_e32 v8, s70, v3
	v_cmp_le_u32_e64 s0, s70, v3
	s_wait_alu 0xf1ff
	s_delay_alu instid0(VALU_DEP_1) | instskip(NEXT) | instid1(VALU_DEP_1)
	v_cndmask_b32_e64 v3, v3, v8, s0
	v_subrev_nc_u32_e32 v7, s70, v3
	v_add_nc_u32_e32 v6, 1, v5
	s_delay_alu instid0(VALU_DEP_1) | instskip(SKIP_1) | instid1(VALU_DEP_2)
	v_cndmask_b32_e32 v5, v5, v6, vcc_lo
	v_cmp_le_u32_e32 vcc_lo, s71, v1
	v_add_nc_u32_e32 v6, 1, v5
	s_wait_alu 0xfffd
	s_delay_alu instid0(VALU_DEP_1) | instskip(SKIP_3) | instid1(VALU_DEP_4)
	v_cndmask_b32_e32 v1, v5, v6, vcc_lo
	v_cmp_le_u32_e32 vcc_lo, s70, v3
	v_ashrrev_i32_e32 v6, 31, v2
	v_mul_lo_u32 v2, v2, s12
	v_xor_b32_e32 v1, v1, v4
	s_wait_alu 0xfffd
	v_cndmask_b32_e32 v3, v3, v7, vcc_lo
	s_and_not1_b32 vcc_lo, exec_lo, s33
	s_delay_alu instid0(VALU_DEP_2) | instskip(NEXT) | instid1(VALU_DEP_2)
	v_sub_nc_u32_e32 v7, v1, v4
	v_xor_b32_e32 v3, v3, v6
	v_sub_nc_u32_e32 v5, v0, v2
	s_delay_alu instid0(VALU_DEP_2)
	v_sub_nc_u32_e32 v6, v3, v6
	s_wait_alu 0xfffe
	s_cbranch_vccnz .LBB63_17
; %bb.4:                                ;   in Loop: Header=BB63_3 Depth=1
	v_mul_lo_u32 v3, v7, s13
	s_delay_alu instid0(VALU_DEP_2)
	v_mul_lo_u32 v4, v6, s14
	v_mul_lo_u32 v8, v5, s15
	v_mov_b32_e32 v1, 0
	v_mov_b32_e32 v2, 0
	s_mov_b32 s2, 0
	s_mov_b64 s[50:51], s[22:23]
	v_subrev_nc_u32_e32 v3, s19, v3
	v_subrev_nc_u32_e32 v4, s28, v4
	;; [unrolled: 1-line block ×3, first 2 shown]
	s_branch .LBB63_6
.LBB63_5:                               ;   in Loop: Header=BB63_6 Depth=2
	s_add_co_i32 s2, s2, 1
	s_add_nc_u64 s[50:51], s[50:51], s[34:35]
	s_wait_alu 0xfffe
	s_cmp_eq_u32 s2, s9
	s_cbranch_scc1 .LBB63_18
.LBB63_6:                               ;   Parent Loop BB63_3 Depth=1
                                        ; =>  This Loop Header: Depth=2
                                        ;       Child Loop BB63_9 Depth 3
                                        ;         Child Loop BB63_12 Depth 4
                                        ;           Child Loop BB63_15 Depth 5
	s_and_not1_b32 vcc_lo, exec_lo, s66
	s_wait_alu 0xfffe
	s_cbranch_vccnz .LBB63_5
; %bb.7:                                ;   in Loop: Header=BB63_6 Depth=2
	s_mul_u64 s[0:1], s[42:43], s[2:3]
	s_mov_b32 s80, 0
	s_wait_alu 0xfffe
	s_lshl_b64 s[0:1], s[0:1], 2
	s_mov_b64 s[54:55], s[50:51]
	s_wait_alu 0xfffe
	s_add_nc_u64 s[52:53], s[10:11], s[0:1]
	s_branch .LBB63_9
.LBB63_8:                               ;   in Loop: Header=BB63_9 Depth=3
	s_add_co_i32 s80, s80, 1
	s_add_nc_u64 s[54:55], s[54:55], s[44:45]
	s_wait_alu 0xfffe
	s_cmp_eq_u32 s80, s30
	s_cbranch_scc1 .LBB63_5
.LBB63_9:                               ;   Parent Loop BB63_3 Depth=1
                                        ;     Parent Loop BB63_6 Depth=2
                                        ; =>    This Loop Header: Depth=3
                                        ;         Child Loop BB63_12 Depth 4
                                        ;           Child Loop BB63_15 Depth 5
	s_and_not1_b32 vcc_lo, exec_lo, s67
	s_wait_alu 0xfffe
	s_cbranch_vccnz .LBB63_8
; %bb.10:                               ;   in Loop: Header=BB63_9 Depth=3
	v_mad_co_u64_u32 v[9:10], null, s80, s16, v[3:4]
	s_mov_b64 s[56:57], s[54:55]
	v_mad_co_u64_u32 v[10:11], null, s40, v9, 0
	v_cmp_gt_i32_e32 vcc_lo, 0, v9
	v_cmp_le_i32_e64 s0, s4, v9
	s_or_b32 s81, vcc_lo, s0
	v_mad_co_u64_u32 v[11:12], null, s41, v9, v[11:12]
	s_delay_alu instid0(VALU_DEP_1) | instskip(NEXT) | instid1(VALU_DEP_1)
	v_lshlrev_b64_e32 v[10:11], 2, v[10:11]
	v_add_co_u32 v9, s1, s52, v10
	s_wait_alu 0xf1ff
	s_delay_alu instid0(VALU_DEP_2)
	v_add_co_ci_u32_e64 v10, null, s53, v11, s1
	s_mov_b32 s1, 0
	s_branch .LBB63_12
.LBB63_11:                              ;   in Loop: Header=BB63_12 Depth=4
	s_add_co_i32 s1, s1, 1
	s_add_nc_u64 s[56:57], s[56:57], s[46:47]
	s_wait_alu 0xfffe
	s_cmp_eq_u32 s1, s31
	s_cbranch_scc1 .LBB63_8
.LBB63_12:                              ;   Parent Loop BB63_3 Depth=1
                                        ;     Parent Loop BB63_6 Depth=2
                                        ;       Parent Loop BB63_9 Depth=3
                                        ; =>      This Loop Header: Depth=4
                                        ;           Child Loop BB63_15 Depth 5
	s_and_not1_b32 vcc_lo, exec_lo, s68
	s_wait_alu 0xfffe
	s_cbranch_vccnz .LBB63_11
; %bb.13:                               ;   in Loop: Header=BB63_12 Depth=4
	v_mad_co_u64_u32 v[11:12], null, s1, s17, v[4:5]
	s_mov_b64 s[58:59], s[56:57]
	s_mov_b32 s83, s8
	v_mad_co_u64_u32 v[12:13], null, s38, v11, 0
	v_cmp_gt_i32_e32 vcc_lo, 0, v11
	v_cmp_le_i32_e64 s0, s5, v11
	s_or_b32 s0, vcc_lo, s0
	v_mad_co_u64_u32 v[13:14], null, s39, v11, v[13:14]
	s_wait_alu 0xfffe
	s_or_b32 s82, s81, s0
	s_delay_alu instid0(VALU_DEP_1) | instskip(SKIP_1) | instid1(VALU_DEP_2)
	v_lshlrev_b64_e32 v[11:12], 2, v[12:13]
	v_mov_b32_e32 v13, v8
	v_add_co_u32 v11, vcc_lo, v9, v11
	s_wait_alu 0xfffd
	s_delay_alu instid0(VALU_DEP_3)
	v_add_co_ci_u32_e64 v12, null, v10, v12, vcc_lo
	s_branch .LBB63_15
.LBB63_14:                              ;   in Loop: Header=BB63_15 Depth=5
	s_wait_alu 0xfffe
	s_or_b32 exec_lo, exec_lo, s0
	v_add_nc_u32_e32 v13, s18, v13
	s_add_co_i32 s83, s83, -1
	s_add_nc_u64 s[58:59], s[58:59], s[48:49]
	s_cmp_eq_u32 s83, 0
	s_cbranch_scc1 .LBB63_11
.LBB63_15:                              ;   Parent Loop BB63_3 Depth=1
                                        ;     Parent Loop BB63_6 Depth=2
                                        ;       Parent Loop BB63_9 Depth=3
                                        ;         Parent Loop BB63_12 Depth=4
                                        ; =>        This Inner Loop Header: Depth=5
	v_cmp_gt_i32_e32 vcc_lo, 0, v13
	v_cmp_le_i32_e64 s0, s6, v13
	s_or_b32 s0, vcc_lo, s0
	s_wait_alu 0xfffe
	s_nor_b32 s84, s82, s0
	s_wait_alu 0xfffe
	s_and_saveexec_b32 s0, s84
	s_cbranch_execz .LBB63_14
; %bb.16:                               ;   in Loop: Header=BB63_15 Depth=5
	v_mad_co_u64_u32 v[14:15], null, s36, v13, 0
	s_load_b32 s84, s[58:59], 0x0
	v_mad_co_u64_u32 v[15:16], null, s37, v13, v[15:16]
	s_delay_alu instid0(VALU_DEP_1) | instskip(SKIP_2) | instid1(VALU_DEP_1)
	v_lshlrev_b64_e32 v[14:15], 2, v[14:15]
	s_wait_kmcnt 0x0
	s_and_b32 s84, s84, 0xffffe000
	v_add_co_u32 v14, vcc_lo, v11, v14
	s_wait_alu 0xfffd
	s_delay_alu instid0(VALU_DEP_2)
	v_add_co_ci_u32_e64 v15, null, v12, v15, vcc_lo
	s_wait_alu 0xfffe
	v_cvt_f64_f32_e32 v[16:17], s84
	global_load_b32 v14, v[14:15], off
	s_wait_loadcnt 0x0
	v_and_b32_e32 v14, 0xffffe000, v14
	s_delay_alu instid0(VALU_DEP_1) | instskip(NEXT) | instid1(VALU_DEP_1)
	v_cvt_f64_f32_e32 v[14:15], v14
	v_fma_f64 v[1:2], v[14:15], v[16:17], v[1:2]
	s_branch .LBB63_14
.LBB63_17:                              ;   in Loop: Header=BB63_3 Depth=1
	v_mov_b32_e32 v1, 0
	v_mov_b32_e32 v2, 0
.LBB63_18:                              ;   in Loop: Header=BB63_3 Depth=1
	v_ashrrev_i32_e32 v8, 31, v7
	v_mul_lo_u32 v9, s65, v7
	v_mad_co_u64_u32 v[3:4], null, s64, v7, 0
	v_ashrrev_i32_e32 v10, 31, v6
	s_delay_alu instid0(VALU_DEP_4)
	v_mul_lo_u32 v8, s64, v8
	v_mul_lo_u32 v11, s63, v6
	v_mad_co_u64_u32 v[6:7], null, s62, v6, 0
	v_ashrrev_i32_e32 v12, 31, v5
	v_mul_lo_u32 v10, s62, v10
	v_mul_lo_u32 v13, s61, v5
	v_add3_u32 v4, v4, v8, v9
	v_mad_co_u64_u32 v[8:9], null, s60, v5, 0
	v_mul_lo_u32 v5, s60, v12
	v_add3_u32 v7, v7, v10, v11
	s_delay_alu instid0(VALU_DEP_4) | instskip(NEXT) | instid1(VALU_DEP_3)
	v_lshlrev_b64_e32 v[3:4], 2, v[3:4]
	v_add3_u32 v9, v9, v5, v13
	s_delay_alu instid0(VALU_DEP_3) | instskip(NEXT) | instid1(VALU_DEP_3)
	v_lshlrev_b64_e32 v[5:6], 2, v[6:7]
	v_add_co_u32 v7, vcc_lo, s20, v3
	s_wait_alu 0xfffd
	s_delay_alu instid0(VALU_DEP_4) | instskip(SKIP_1) | instid1(VALU_DEP_3)
	v_add_co_ci_u32_e64 v10, null, s21, v4, vcc_lo
	v_lshlrev_b64_e32 v[3:4], 2, v[8:9]
	v_add_co_u32 v5, vcc_lo, v7, v5
	s_wait_alu 0xfffd
	s_delay_alu instid0(VALU_DEP_3) | instskip(NEXT) | instid1(VALU_DEP_2)
	v_add_co_ci_u32_e64 v6, null, v10, v6, vcc_lo
	v_add_co_u32 v3, vcc_lo, v5, v3
	s_wait_alu 0xfffd
	s_delay_alu instid0(VALU_DEP_2)
	v_add_co_ci_u32_e64 v4, null, v6, v4, vcc_lo
	s_and_not1_b32 vcc_lo, exec_lo, s78
	s_wait_alu 0xfffe
	s_cbranch_vccnz .LBB63_2
; %bb.19:                               ;   in Loop: Header=BB63_3 Depth=1
	global_load_b32 v5, v[3:4], off
	s_wait_loadcnt 0x0
	v_cvt_f64_f32_e32 v[5:6], v5
	s_delay_alu instid0(VALU_DEP_1) | instskip(NEXT) | instid1(VALU_DEP_1)
	v_mul_f64_e32 v[5:6], s[26:27], v[5:6]
	v_fma_f64 v[1:2], s[24:25], v[1:2], v[5:6]
	s_branch .LBB63_2
.LBB63_20:
	s_endpgm
	.section	.rodata,"a",@progbits
	.p2align	6, 0x0
	.amdhsa_kernel naive_conv_ab_nonpacked_fwd_ncdhw_float_double_float_1
		.amdhsa_group_segment_fixed_size 0
		.amdhsa_private_segment_fixed_size 0
		.amdhsa_kernarg_size 528
		.amdhsa_user_sgpr_count 2
		.amdhsa_user_sgpr_dispatch_ptr 0
		.amdhsa_user_sgpr_queue_ptr 0
		.amdhsa_user_sgpr_kernarg_segment_ptr 1
		.amdhsa_user_sgpr_dispatch_id 0
		.amdhsa_user_sgpr_private_segment_size 0
		.amdhsa_wavefront_size32 1
		.amdhsa_uses_dynamic_stack 0
		.amdhsa_enable_private_segment 0
		.amdhsa_system_sgpr_workgroup_id_x 1
		.amdhsa_system_sgpr_workgroup_id_y 0
		.amdhsa_system_sgpr_workgroup_id_z 0
		.amdhsa_system_sgpr_workgroup_info 0
		.amdhsa_system_vgpr_workitem_id 0
		.amdhsa_next_free_vgpr 18
		.amdhsa_next_free_sgpr 85
		.amdhsa_reserve_vcc 1
		.amdhsa_float_round_mode_32 0
		.amdhsa_float_round_mode_16_64 0
		.amdhsa_float_denorm_mode_32 3
		.amdhsa_float_denorm_mode_16_64 3
		.amdhsa_fp16_overflow 0
		.amdhsa_workgroup_processor_mode 1
		.amdhsa_memory_ordered 1
		.amdhsa_forward_progress 1
		.amdhsa_inst_pref_size 17
		.amdhsa_round_robin_scheduling 0
		.amdhsa_exception_fp_ieee_invalid_op 0
		.amdhsa_exception_fp_denorm_src 0
		.amdhsa_exception_fp_ieee_div_zero 0
		.amdhsa_exception_fp_ieee_overflow 0
		.amdhsa_exception_fp_ieee_underflow 0
		.amdhsa_exception_fp_ieee_inexact 0
		.amdhsa_exception_int_div_zero 0
	.end_amdhsa_kernel
	.text
.Lfunc_end63:
	.size	naive_conv_ab_nonpacked_fwd_ncdhw_float_double_float_1, .Lfunc_end63-naive_conv_ab_nonpacked_fwd_ncdhw_float_double_float_1
                                        ; -- End function
	.set naive_conv_ab_nonpacked_fwd_ncdhw_float_double_float_1.num_vgpr, 18
	.set naive_conv_ab_nonpacked_fwd_ncdhw_float_double_float_1.num_agpr, 0
	.set naive_conv_ab_nonpacked_fwd_ncdhw_float_double_float_1.numbered_sgpr, 85
	.set naive_conv_ab_nonpacked_fwd_ncdhw_float_double_float_1.num_named_barrier, 0
	.set naive_conv_ab_nonpacked_fwd_ncdhw_float_double_float_1.private_seg_size, 0
	.set naive_conv_ab_nonpacked_fwd_ncdhw_float_double_float_1.uses_vcc, 1
	.set naive_conv_ab_nonpacked_fwd_ncdhw_float_double_float_1.uses_flat_scratch, 0
	.set naive_conv_ab_nonpacked_fwd_ncdhw_float_double_float_1.has_dyn_sized_stack, 0
	.set naive_conv_ab_nonpacked_fwd_ncdhw_float_double_float_1.has_recursion, 0
	.set naive_conv_ab_nonpacked_fwd_ncdhw_float_double_float_1.has_indirect_call, 0
	.section	.AMDGPU.csdata,"",@progbits
; Kernel info:
; codeLenInByte = 2056
; TotalNumSgprs: 87
; NumVgprs: 18
; ScratchSize: 0
; MemoryBound: 0
; FloatMode: 240
; IeeeMode: 1
; LDSByteSize: 0 bytes/workgroup (compile time only)
; SGPRBlocks: 0
; VGPRBlocks: 2
; NumSGPRsForWavesPerEU: 87
; NumVGPRsForWavesPerEU: 18
; Occupancy: 16
; WaveLimiterHint : 1
; COMPUTE_PGM_RSRC2:SCRATCH_EN: 0
; COMPUTE_PGM_RSRC2:USER_SGPR: 2
; COMPUTE_PGM_RSRC2:TRAP_HANDLER: 0
; COMPUTE_PGM_RSRC2:TGID_X_EN: 1
; COMPUTE_PGM_RSRC2:TGID_Y_EN: 0
; COMPUTE_PGM_RSRC2:TGID_Z_EN: 0
; COMPUTE_PGM_RSRC2:TIDIG_COMP_CNT: 0
	.text
	.protected	naive_conv_ab_packed_fwd_ncdhw_half_double_half_0 ; -- Begin function naive_conv_ab_packed_fwd_ncdhw_half_double_half_0
	.globl	naive_conv_ab_packed_fwd_ncdhw_half_double_half_0
	.p2align	8
	.type	naive_conv_ab_packed_fwd_ncdhw_half_double_half_0,@function
naive_conv_ab_packed_fwd_ncdhw_half_double_half_0: ; @naive_conv_ab_packed_fwd_ncdhw_half_double_half_0
; %bb.0:
	s_load_b512 s[4:19], s[0:1], 0xb8
	s_mov_b32 s25, exec_lo
	s_wait_kmcnt 0x0
	s_abs_i32 s3, s8
	s_mul_i32 s48, s12, s11
	s_cvt_f32_u32 s2, s3
	s_mul_i32 s33, s48, s10
	s_delay_alu instid0(SALU_CYCLE_2) | instskip(NEXT) | instid1(TRANS32_DEP_1)
	v_rcp_iflag_f32_e32 v1, s2
	v_readfirstlane_b32 s2, v1
	s_mul_f32 s2, s2, 0x4f7ffffe
	s_wait_alu 0xfffe
	s_delay_alu instid0(SALU_CYCLE_2) | instskip(SKIP_2) | instid1(SALU_CYCLE_1)
	s_cvt_u32_f32 s20, s2
	s_sub_co_i32 s2, 0, s3
	s_wait_alu 0xfffe
	s_mul_i32 s2, s2, s20
	s_wait_alu 0xfffe
	s_mul_hi_u32 s21, s20, s2
	s_abs_i32 s2, ttmp9
	s_add_co_i32 s20, s20, s21
	s_wait_alu 0xfffe
	s_mul_hi_u32 s20, s2, s20
	s_delay_alu instid0(SALU_CYCLE_1) | instskip(SKIP_2) | instid1(SALU_CYCLE_1)
	s_mul_i32 s21, s20, s3
	s_add_co_i32 s22, s20, 1
	s_sub_co_i32 s21, s2, s21
	s_sub_co_i32 s23, s21, s3
	s_cmp_ge_u32 s21, s3
	s_cselect_b32 s20, s22, s20
	s_cselect_b32 s21, s23, s21
	s_add_co_i32 s22, s20, 1
	s_cmp_ge_u32 s21, s3
	s_mul_i32 s21, s8, s7
	s_cselect_b32 s22, s22, s20
	s_abs_i32 s20, s7
	s_abs_i32 s7, s21
	s_cvt_f32_u32 s3, s20
	s_cvt_f32_u32 s23, s7
	s_wait_alu 0xfffe
	s_delay_alu instid0(SALU_CYCLE_1) | instskip(NEXT) | instid1(SALU_CYCLE_1)
	v_rcp_iflag_f32_e32 v1, s3
	v_rcp_iflag_f32_e32 v2, s23
	s_mov_b32 s3, 0
	s_delay_alu instid0(TRANS32_DEP_2) | instskip(NEXT) | instid1(TRANS32_DEP_1)
	v_readfirstlane_b32 s24, v1
	v_readfirstlane_b32 s23, v2
	v_cmpx_gt_i32_e64 s33, v0
	s_cbranch_execz .LBB64_22
; %bb.1:
	s_mul_f32 s24, s24, 0x4f7ffffe
	s_ashr_i32 s26, ttmp9, 31
	s_ashr_i32 s43, s8, 31
	s_mul_f32 s28, s23, 0x4f7ffffe
	s_cvt_u32_f32 s24, s24
	s_sub_co_i32 s25, 0, s20
	s_xor_b32 s27, s26, s43
	s_cvt_u32_f32 s28, s28
	s_xor_b32 s22, s22, s27
	s_mul_i32 s25, s25, s24
	s_wait_alu 0xfffe
	s_sub_co_i32 s27, s22, s27
	s_mul_hi_u32 s23, s24, s25
	s_sub_co_i32 s29, 0, s7
	s_abs_i32 s22, s27
	s_wait_alu 0xfffe
	s_add_co_i32 s24, s24, s23
	s_mov_b32 s23, s3
	s_mov_b32 s25, s3
	s_mul_i32 s29, s29, s28
	s_wait_alu 0xfffe
	s_mul_u64 s[24:25], s[22:23], s[24:25]
	s_mul_hi_u32 s23, s28, s29
	s_ashr_i32 s30, s27, 31
	s_wait_alu 0xfffe
	s_add_co_i32 s24, s28, s23
	s_mul_i32 s23, s25, s20
	s_mul_i32 s27, s27, s8
	s_wait_alu 0xfffe
	s_sub_co_i32 s22, s22, s23
	s_ashr_i32 s21, s21, 31
	s_sub_co_i32 s44, ttmp9, s27
	s_wait_alu 0xfffe
	s_sub_co_i32 s23, s22, s20
	s_cmp_ge_u32 s22, s20
	s_mov_b32 s25, s3
	s_wait_alu 0xfffe
	s_cselect_b32 s27, s23, s22
	s_mul_u64 s[22:23], s[2:3], s[24:25]
	s_clause 0x1
	s_load_b64 s[34:35], s[0:1], 0x108
	s_load_b32 s49, s[0:1], 0x11c
	s_sub_co_i32 s22, s27, s20
	s_cmp_ge_u32 s27, s20
	s_mov_b32 s36, s4
	s_wait_alu 0xfffe
	s_cselect_b32 s20, s22, s27
	s_xor_b32 s22, s26, s21
	s_xor_b32 s20, s20, s30
	s_mov_b32 s40, s9
	s_sub_co_i32 s46, s20, s30
	s_mul_i32 s20, s23, s7
	s_load_b128 s[28:31], s[0:1], 0xf8
	s_sub_co_i32 s2, s2, s20
	s_add_co_i32 s20, s23, 1
	s_wait_alu 0xfffe
	s_sub_co_i32 s21, s2, s7
	s_cmp_ge_u32 s2, s7
	s_mov_b32 s38, s5
	s_cselect_b32 s20, s20, s23
	s_cselect_b32 s2, s21, s2
	s_add_co_i32 s21, s20, 1
	s_wait_alu 0xfffe
	s_cmp_ge_u32 s2, s7
	s_mov_b32 s42, s8
	s_cselect_b32 s2, s21, s20
	s_wait_kmcnt 0x0
	s_mul_i32 s20, s35, s9
	s_wait_alu 0xfffe
	s_xor_b32 s2, s2, s22
	s_ashr_i32 s47, s46, 31
	s_ashr_i32 s21, s20, 31
	s_wait_alu 0xfffe
	s_sub_co_i32 s50, s2, s22
	s_mul_u64 s[52:53], s[46:47], s[20:21]
	s_load_b256 s[20:27], s[0:1], 0x0
	s_ashr_i32 s37, s4, 31
	s_ashr_i32 s39, s5, 31
	;; [unrolled: 1-line block ×4, first 2 shown]
	s_mul_u64 s[54:55], s[38:39], s[36:37]
	s_mul_u64 s[4:5], s[50:51], s[40:41]
	s_ashr_i32 s7, s6, 31
	s_add_nc_u64 s[4:5], s[4:5], s[52:53]
	s_mul_u64 s[52:53], s[54:55], s[6:7]
	s_mul_i32 s54, s35, s8
	s_mul_u64 s[50:51], s[50:51], s[42:43]
	s_ashr_i32 s45, s44, 31
	s_ashr_i32 s55, s54, 31
	;; [unrolled: 1-line block ×3, first 2 shown]
	s_mov_b32 s56, s10
	s_ashr_i32 s43, s11, 31
	s_mov_b32 s42, s11
	s_mul_u64 s[46:47], s[46:47], s[54:55]
	s_mul_u64 s[54:55], s[42:43], s[56:57]
	s_add_nc_u64 s[50:51], s[50:51], s[44:45]
	s_ashr_i32 s45, s12, 31
	s_mov_b32 s44, s12
	s_add_nc_u64 s[56:57], s[50:51], s[46:47]
	s_mul_u64 s[54:55], s[54:55], s[44:45]
	s_wait_kmcnt 0x0
	v_cmp_neq_f64_e64 s2, s[24:25], 1.0
	v_cmp_neq_f64_e64 s58, s[26:27], 0
	s_mul_u64 s[4:5], s[52:53], s[4:5]
	s_mul_u64 s[54:55], s[54:55], s[56:57]
	s_lshl_b64 s[52:53], s[4:5], 1
	s_ashr_i32 s35, s34, 31
	s_lshl_b64 s[54:55], s[54:55], 1
	s_load_b64 s[56:57], s[0:1], 0x20
	s_ashr_i32 s5, s30, 31
	s_ashr_i32 s47, s31, 31
	s_cmp_gt_i32 s9, 0
	s_add_nc_u64 s[8:9], s[20:21], s[52:53]
	s_cselect_b32 s43, -1, 0
	s_cmp_gt_i32 s30, 0
	s_mov_b32 s46, s31
	s_cselect_b32 s60, -1, 0
	s_cmp_gt_i32 s31, 0
	v_mov_b32_e32 v11, 0x7e00
	s_cselect_b32 s61, -1, 0
	s_cmp_gt_i32 s34, 0
	s_cselect_b32 s62, -1, 0
	s_abs_i32 s12, s12
	s_abs_i32 s1, s11
	s_cvt_f32_u32 s0, s12
	s_cvt_f32_u32 s4, s1
	s_abs_i32 s63, s48
	s_and_b32 s65, s49, 0xffff
	v_rcp_iflag_f32_e32 v1, s0
	v_rcp_iflag_f32_e32 v2, s4
	s_cvt_f32_u32 s0, s63
	s_mov_b32 s4, s30
	s_ashr_i32 s67, s48, 31
	s_wait_kmcnt 0x0
	s_add_nc_u64 s[10:11], s[56:57], s[54:55]
	s_delay_alu instid0(TRANS32_DEP_2) | instskip(SKIP_2) | instid1(TRANS32_DEP_2)
	v_readfirstlane_b32 s20, v1
	s_wait_alu 0xfffe
	v_rcp_iflag_f32_e32 v1, s0
	v_readfirstlane_b32 s21, v2
	s_or_b32 s64, s2, s58
	v_mov_b32_e32 v2, 0
	s_mul_f32 s0, s20, 0x4f7ffffe
	s_sub_co_i32 s20, 0, s12
	s_mul_f32 s2, s21, 0x4f7ffffe
	s_sub_co_i32 s21, 0, s1
	s_wait_alu 0xfffe
	s_cvt_u32_f32 s0, s0
	v_readfirstlane_b32 s30, v1
	s_cvt_u32_f32 s2, s2
	s_wait_alu 0xfffe
	s_mul_i32 s20, s20, s0
	s_delay_alu instid0(SALU_CYCLE_1)
	s_mul_hi_u32 s20, s0, s20
	s_mul_f32 s49, s30, 0x4f7ffffe
	s_mul_i32 s21, s21, s2
	s_mul_u64 s[30:31], s[34:35], s[46:47]
	s_mul_hi_u32 s21, s2, s21
	s_add_co_i32 s47, s0, s20
	s_cvt_u32_f32 s0, s49
	s_mul_u64 s[48:49], s[30:31], s[4:5]
	s_add_co_i32 s66, s2, s21
	s_sub_co_i32 s2, 0, s63
	s_mul_u64 s[20:21], s[48:49], s[50:51]
	s_wait_alu 0xfffe
	s_mul_i32 s2, s2, s0
	s_mul_u64 s[20:21], s[20:21], s[40:41]
	s_wait_alu 0xfffe
	s_mul_hi_u32 s2, s0, s2
	s_lshl_b64 s[20:21], s[20:21], 1
	s_wait_alu 0xfffe
	s_add_co_i32 s5, s0, s2
	s_add_nc_u64 s[20:21], s[22:23], s[20:21]
	s_lshl_b64 s[22:23], s[48:49], 1
	s_lshl_b64 s[30:31], s[30:31], 1
	;; [unrolled: 1-line block ×3, first 2 shown]
	s_mov_b32 s35, 0
	s_branch .LBB64_3
.LBB64_2:                               ;   in Loop: Header=BB64_3 Depth=1
	v_add_nc_u32_e32 v0, s65, v0
	s_delay_alu instid0(VALU_DEP_1) | instskip(SKIP_1) | instid1(SALU_CYCLE_1)
	v_cmp_le_i32_e32 vcc_lo, s33, v0
	s_or_b32 s35, vcc_lo, s35
	s_and_not1_b32 exec_lo, exec_lo, s35
	s_cbranch_execz .LBB64_22
.LBB64_3:                               ; =>This Loop Header: Depth=1
                                        ;     Child Loop BB64_6 Depth 2
                                        ;       Child Loop BB64_9 Depth 3
                                        ;         Child Loop BB64_12 Depth 4
                                        ;           Child Loop BB64_15 Depth 5
	v_sub_nc_u32_e32 v1, 0, v0
	s_delay_alu instid0(VALU_DEP_1) | instskip(NEXT) | instid1(VALU_DEP_1)
	v_max_i32_e32 v1, v0, v1
	v_mul_hi_u32 v3, v1, s47
	s_delay_alu instid0(VALU_DEP_1) | instskip(NEXT) | instid1(VALU_DEP_1)
	v_mul_lo_u32 v4, v3, s12
	v_sub_nc_u32_e32 v4, v1, v4
	s_delay_alu instid0(VALU_DEP_1) | instskip(SKIP_2) | instid1(VALU_DEP_2)
	v_subrev_nc_u32_e32 v6, s12, v4
	v_cmp_le_u32_e32 vcc_lo, s12, v4
	s_wait_alu 0xfffd
	v_dual_cndmask_b32 v4, v4, v6 :: v_dual_add_nc_u32 v5, 1, v3
	s_delay_alu instid0(VALU_DEP_1) | instskip(SKIP_1) | instid1(VALU_DEP_3)
	v_cndmask_b32_e32 v3, v3, v5, vcc_lo
	v_ashrrev_i32_e32 v5, 31, v0
	v_cmp_le_u32_e32 vcc_lo, s12, v4
	s_delay_alu instid0(VALU_DEP_3) | instskip(NEXT) | instid1(VALU_DEP_3)
	v_add_nc_u32_e32 v6, 1, v3
	v_xor_b32_e32 v7, s45, v5
	s_wait_alu 0xfffd
	s_delay_alu instid0(VALU_DEP_2) | instskip(SKIP_2) | instid1(VALU_DEP_2)
	v_cndmask_b32_e32 v3, v3, v6, vcc_lo
	s_wait_alu 0xfffe
	v_mul_hi_u32 v6, v1, s5
	v_xor_b32_e32 v3, v3, v7
	s_delay_alu instid0(VALU_DEP_2) | instskip(NEXT) | instid1(VALU_DEP_2)
	v_mul_lo_u32 v8, v6, s63
	v_sub_nc_u32_e32 v3, v3, v7
	s_delay_alu instid0(VALU_DEP_1) | instskip(NEXT) | instid1(VALU_DEP_3)
	v_sub_nc_u32_e32 v4, 0, v3
	v_sub_nc_u32_e32 v1, v1, v8
	s_delay_alu instid0(VALU_DEP_2) | instskip(NEXT) | instid1(VALU_DEP_2)
	v_max_i32_e32 v4, v3, v4
	v_subrev_nc_u32_e32 v8, s63, v1
	v_cmp_le_u32_e32 vcc_lo, s63, v1
	s_delay_alu instid0(VALU_DEP_3) | instskip(SKIP_1) | instid1(VALU_DEP_3)
	v_mul_hi_u32 v7, v4, s66
	s_wait_alu 0xfffd
	v_cndmask_b32_e32 v1, v1, v8, vcc_lo
	v_xor_b32_e32 v8, s67, v5
	s_delay_alu instid0(VALU_DEP_3) | instskip(NEXT) | instid1(VALU_DEP_1)
	v_mul_lo_u32 v7, v7, s1
	v_sub_nc_u32_e32 v4, v4, v7
	v_add_nc_u32_e32 v7, 1, v6
	s_delay_alu instid0(VALU_DEP_2) | instskip(NEXT) | instid1(VALU_DEP_2)
	v_subrev_nc_u32_e32 v9, s1, v4
	v_cndmask_b32_e32 v6, v6, v7, vcc_lo
	v_cmp_le_u32_e64 s0, s1, v4
	v_cmp_le_u32_e32 vcc_lo, s63, v1
	s_delay_alu instid0(VALU_DEP_3) | instskip(SKIP_1) | instid1(VALU_DEP_3)
	v_add_nc_u32_e32 v7, 1, v6
	s_wait_alu 0xf1ff
	v_cndmask_b32_e64 v4, v4, v9, s0
	s_wait_alu 0xfffd
	s_delay_alu instid0(VALU_DEP_2) | instskip(NEXT) | instid1(VALU_DEP_2)
	v_cndmask_b32_e32 v1, v6, v7, vcc_lo
	v_subrev_nc_u32_e32 v5, s1, v4
	v_cmp_le_u32_e32 vcc_lo, s1, v4
	v_ashrrev_i32_e32 v6, 31, v3
	v_mul_lo_u32 v3, v3, s44
	v_xor_b32_e32 v1, v1, v8
	s_wait_alu 0xfffd
	v_cndmask_b32_e32 v4, v4, v5, vcc_lo
	s_and_not1_b32 vcc_lo, exec_lo, s43
	s_delay_alu instid0(VALU_DEP_2) | instskip(NEXT) | instid1(VALU_DEP_2)
	v_sub_nc_u32_e32 v12, v1, v8
	v_xor_b32_e32 v4, v4, v6
	v_sub_nc_u32_e32 v5, v0, v3
	s_delay_alu instid0(VALU_DEP_2)
	v_sub_nc_u32_e32 v6, v4, v6
	s_wait_alu 0xfffe
	s_cbranch_vccnz .LBB64_17
; %bb.4:                                ;   in Loop: Header=BB64_3 Depth=1
	v_mul_lo_u32 v1, v12, s13
	s_delay_alu instid0(VALU_DEP_2)
	v_mul_lo_u32 v8, v6, s14
	v_mul_lo_u32 v9, v5, s15
	v_mov_b32_e32 v3, 0
	v_mov_b32_e32 v4, 0
	s_mov_b32 s2, 0
	s_mov_b64 s[50:51], s[20:21]
	v_subrev_nc_u32_e32 v7, s19, v1
	v_subrev_nc_u32_e32 v8, s28, v8
	v_subrev_nc_u32_e32 v13, s29, v9
	s_branch .LBB64_6
.LBB64_5:                               ;   in Loop: Header=BB64_6 Depth=2
	s_add_co_i32 s2, s2, 1
	s_add_nc_u64 s[50:51], s[50:51], s[22:23]
	s_wait_alu 0xfffe
	s_cmp_eq_u32 s2, s40
	s_cbranch_scc1 .LBB64_18
.LBB64_6:                               ;   Parent Loop BB64_3 Depth=1
                                        ; =>  This Loop Header: Depth=2
                                        ;       Child Loop BB64_9 Depth 3
                                        ;         Child Loop BB64_12 Depth 4
                                        ;           Child Loop BB64_15 Depth 5
	s_and_not1_b32 vcc_lo, exec_lo, s60
	s_wait_alu 0xfffe
	s_cbranch_vccnz .LBB64_5
; %bb.7:                                ;   in Loop: Header=BB64_6 Depth=2
	s_mul_u64 s[52:53], s[2:3], s[36:37]
	s_mov_b32 s41, 0
	s_mov_b64 s[54:55], s[50:51]
	s_branch .LBB64_9
.LBB64_8:                               ;   in Loop: Header=BB64_9 Depth=3
	s_add_co_i32 s41, s41, 1
	s_add_nc_u64 s[54:55], s[54:55], s[30:31]
	s_wait_alu 0xfffe
	s_cmp_eq_u32 s41, s4
	s_cbranch_scc1 .LBB64_5
.LBB64_9:                               ;   Parent Loop BB64_3 Depth=1
                                        ;     Parent Loop BB64_6 Depth=2
                                        ; =>    This Loop Header: Depth=3
                                        ;         Child Loop BB64_12 Depth 4
                                        ;           Child Loop BB64_15 Depth 5
	s_and_not1_b32 vcc_lo, exec_lo, s61
	s_wait_alu 0xfffe
	s_cbranch_vccnz .LBB64_8
; %bb.10:                               ;   in Loop: Header=BB64_9 Depth=3
	v_mad_co_u64_u32 v[14:15], null, s41, s16, v[7:8]
	s_mov_b32 s68, 0
	s_mov_b64 s[56:57], s[54:55]
	v_add_co_u32 v1, s0, s52, v14
	s_wait_alu 0xf1ff
	v_add_co_ci_u32_e64 v9, null, s53, 0, s0
	v_cmp_gt_i32_e32 vcc_lo, 0, v14
	s_delay_alu instid0(VALU_DEP_3) | instskip(SKIP_1) | instid1(VALU_DEP_4)
	v_mul_lo_u32 v16, v1, s39
	v_cmp_le_i32_e64 s0, s36, v14
	v_mul_lo_u32 v15, v9, s38
	v_mad_co_u64_u32 v[9:10], null, v1, s38, 0
	s_or_b32 s69, vcc_lo, s0
	v_add3_u32 v10, v10, v16, v15
	s_branch .LBB64_12
.LBB64_11:                              ;   in Loop: Header=BB64_12 Depth=4
	s_add_co_i32 s68, s68, 1
	s_add_nc_u64 s[56:57], s[56:57], s[48:49]
	s_wait_alu 0xfffe
	s_cmp_eq_u32 s68, s46
	s_cbranch_scc1 .LBB64_8
.LBB64_12:                              ;   Parent Loop BB64_3 Depth=1
                                        ;     Parent Loop BB64_6 Depth=2
                                        ;       Parent Loop BB64_9 Depth=3
                                        ; =>      This Loop Header: Depth=4
                                        ;           Child Loop BB64_15 Depth 5
	s_and_not1_b32 vcc_lo, exec_lo, s62
	s_wait_alu 0xfffe
	s_cbranch_vccnz .LBB64_11
; %bb.13:                               ;   in Loop: Header=BB64_12 Depth=4
	v_mad_co_u64_u32 v[14:15], null, s68, s17, v[8:9]
	s_mov_b64 s[58:59], s[56:57]
	s_mov_b32 s71, s34
	v_add_co_u32 v1, vcc_lo, v9, v14
	s_wait_alu 0xfffd
	v_add_co_ci_u32_e64 v15, null, 0, v10, vcc_lo
	v_cmp_gt_i32_e32 vcc_lo, 0, v14
	s_delay_alu instid0(VALU_DEP_3) | instskip(SKIP_1) | instid1(VALU_DEP_4)
	v_mul_lo_u32 v18, v1, s7
	v_cmp_le_i32_e64 s0, s38, v14
	v_mul_lo_u32 v17, v15, s6
	v_mad_co_u64_u32 v[15:16], null, v1, s6, 0
	v_mov_b32_e32 v1, v13
	s_delay_alu instid0(VALU_DEP_4) | instskip(SKIP_2) | instid1(VALU_DEP_2)
	s_or_b32 s0, vcc_lo, s0
	s_wait_alu 0xfffe
	s_or_b32 s70, s69, s0
	v_add3_u32 v16, v16, v18, v17
	s_delay_alu instid0(VALU_DEP_1) | instskip(NEXT) | instid1(VALU_DEP_1)
	v_lshlrev_b64_e32 v[14:15], 1, v[15:16]
	v_add_co_u32 v14, vcc_lo, s8, v14
	s_wait_alu 0xfffd
	s_delay_alu instid0(VALU_DEP_2)
	v_add_co_ci_u32_e64 v15, null, s9, v15, vcc_lo
	s_branch .LBB64_15
.LBB64_14:                              ;   in Loop: Header=BB64_15 Depth=5
	s_wait_alu 0xfffe
	s_or_b32 exec_lo, exec_lo, s0
	v_add_nc_u32_e32 v1, s18, v1
	s_add_co_i32 s71, s71, -1
	s_add_nc_u64 s[58:59], s[58:59], 2
	s_cmp_eq_u32 s71, 0
	s_cbranch_scc1 .LBB64_11
.LBB64_15:                              ;   Parent Loop BB64_3 Depth=1
                                        ;     Parent Loop BB64_6 Depth=2
                                        ;       Parent Loop BB64_9 Depth=3
                                        ;         Parent Loop BB64_12 Depth=4
                                        ; =>        This Inner Loop Header: Depth=5
	v_cmp_gt_i32_e32 vcc_lo, 0, v1
	v_cmp_le_i32_e64 s0, s6, v1
	s_or_b32 s0, vcc_lo, s0
	s_wait_alu 0xfffe
	s_nor_b32 s72, s70, s0
	s_delay_alu instid0(SALU_CYCLE_1)
	s_and_saveexec_b32 s0, s72
	s_cbranch_execz .LBB64_14
; %bb.16:                               ;   in Loop: Header=BB64_15 Depth=5
	v_lshlrev_b64_e32 v[16:17], 1, v[1:2]
	s_delay_alu instid0(VALU_DEP_1) | instskip(SKIP_1) | instid1(VALU_DEP_2)
	v_add_co_u32 v16, vcc_lo, v14, v16
	s_wait_alu 0xfffd
	v_add_co_ci_u32_e64 v17, null, v15, v17, vcc_lo
	global_load_u16 v16, v[16:17], off
	global_load_u16 v17, v2, s[58:59]
	s_wait_loadcnt 0x1
	v_cvt_f32_f16_e32 v16, v16
	s_wait_loadcnt 0x0
	v_cvt_f32_f16_e32 v18, v17
	s_delay_alu instid0(VALU_DEP_2) | instskip(NEXT) | instid1(VALU_DEP_2)
	v_cvt_f64_f32_e32 v[16:17], v16
	v_cvt_f64_f32_e32 v[18:19], v18
	s_delay_alu instid0(VALU_DEP_1)
	v_fma_f64 v[3:4], v[16:17], v[18:19], v[3:4]
	s_branch .LBB64_14
.LBB64_17:                              ;   in Loop: Header=BB64_3 Depth=1
	v_mov_b32_e32 v3, 0
	v_mov_b32_e32 v4, 0
.LBB64_18:                              ;   in Loop: Header=BB64_3 Depth=1
	v_ashrrev_i32_e32 v7, 31, v6
	s_and_b32 vcc_lo, exec_lo, s64
	s_mov_b32 s0, -1
	s_delay_alu instid0(VALU_DEP_1) | instskip(SKIP_1) | instid1(VALU_DEP_1)
	v_mad_co_i64_i32 v[7:8], null, v12, s42, v[6:7]
	v_ashrrev_i32_e32 v6, 31, v5
	v_mad_co_u64_u32 v[5:6], null, v7, s44, v[5:6]
	v_mul_lo_u32 v1, v7, s45
	s_delay_alu instid0(VALU_DEP_4) | instskip(NEXT) | instid1(VALU_DEP_1)
	v_mul_lo_u32 v7, v8, s44
	v_add3_u32 v6, v7, v6, v1
	s_delay_alu instid0(VALU_DEP_1)
	v_lshlrev_b64_e32 v[5:6], 1, v[5:6]
	s_wait_alu 0xfffe
	s_cbranch_vccz .LBB64_20
; %bb.19:                               ;   in Loop: Header=BB64_3 Depth=1
	s_delay_alu instid0(VALU_DEP_1) | instskip(SKIP_1) | instid1(VALU_DEP_2)
	v_add_co_u32 v7, vcc_lo, s10, v5
	s_wait_alu 0xfffd
	v_add_co_ci_u32_e64 v8, null, s11, v6, vcc_lo
	s_mov_b32 s0, 0
	global_load_u16 v1, v[7:8], off
	s_wait_loadcnt 0x0
	v_cvt_f32_f16_e32 v1, v1
	s_delay_alu instid0(VALU_DEP_1) | instskip(NEXT) | instid1(VALU_DEP_1)
	v_cvt_f64_f32_e32 v[9:10], v1
	v_mul_f64_e32 v[9:10], s[26:27], v[9:10]
	s_delay_alu instid0(VALU_DEP_1) | instskip(NEXT) | instid1(VALU_DEP_1)
	v_fma_f64 v[9:10], s[24:25], v[3:4], v[9:10]
	v_and_or_b32 v1, 0x1ff, v10, v9
	v_lshrrev_b32_e32 v9, 8, v10
	v_bfe_u32 v12, v10, 20, 11
	s_delay_alu instid0(VALU_DEP_3) | instskip(NEXT) | instid1(VALU_DEP_2)
	v_cmp_ne_u32_e32 vcc_lo, 0, v1
	v_sub_nc_u32_e32 v13, 0x3f1, v12
	s_wait_alu 0xfffd
	v_cndmask_b32_e64 v1, 0, 1, vcc_lo
	s_delay_alu instid0(VALU_DEP_1) | instskip(NEXT) | instid1(VALU_DEP_3)
	v_and_or_b32 v1, 0xffe, v9, v1
	v_med3_i32 v9, v13, 0, 13
	s_delay_alu instid0(VALU_DEP_2) | instskip(NEXT) | instid1(VALU_DEP_1)
	v_or_b32_e32 v13, 0x1000, v1
	v_lshrrev_b32_e32 v14, v9, v13
	s_delay_alu instid0(VALU_DEP_1) | instskip(NEXT) | instid1(VALU_DEP_1)
	v_lshlrev_b32_e32 v9, v9, v14
	v_cmp_ne_u32_e32 vcc_lo, v9, v13
	s_wait_alu 0xfffd
	v_cndmask_b32_e64 v9, 0, 1, vcc_lo
	s_delay_alu instid0(VALU_DEP_1) | instskip(SKIP_1) | instid1(VALU_DEP_1)
	v_or_b32_e32 v9, v14, v9
	v_add_nc_u32_e32 v12, 0xfffffc10, v12
	v_lshl_or_b32 v13, v12, 12, v1
	v_cmp_gt_i32_e32 vcc_lo, 1, v12
	s_wait_alu 0xfffd
	s_delay_alu instid0(VALU_DEP_2) | instskip(NEXT) | instid1(VALU_DEP_1)
	v_cndmask_b32_e32 v9, v13, v9, vcc_lo
	v_and_b32_e32 v13, 7, v9
	v_lshrrev_b32_e32 v9, 2, v9
	s_delay_alu instid0(VALU_DEP_2)
	v_cmp_lt_i32_e32 vcc_lo, 5, v13
	s_wait_alu 0xfffd
	v_cndmask_b32_e64 v14, 0, 1, vcc_lo
	v_cmp_eq_u32_e32 vcc_lo, 3, v13
	s_wait_alu 0xfffd
	v_cndmask_b32_e64 v13, 0, 1, vcc_lo
	v_cmp_ne_u32_e32 vcc_lo, 0, v1
	s_delay_alu instid0(VALU_DEP_2) | instskip(SKIP_3) | instid1(VALU_DEP_3)
	v_or_b32_e32 v13, v13, v14
	s_wait_alu 0xfffd
	v_cndmask_b32_e32 v1, 0x7c00, v11, vcc_lo
	v_cmp_gt_i32_e32 vcc_lo, 31, v12
	v_add_nc_u32_e32 v9, v9, v13
	s_wait_alu 0xfffd
	s_delay_alu instid0(VALU_DEP_1) | instskip(SKIP_2) | instid1(VALU_DEP_2)
	v_cndmask_b32_e32 v9, 0x7c00, v9, vcc_lo
	v_cmp_eq_u32_e32 vcc_lo, 0x40f, v12
	s_wait_alu 0xfffd
	v_cndmask_b32_e32 v1, v9, v1, vcc_lo
	v_lshrrev_b32_e32 v9, 16, v10
	s_delay_alu instid0(VALU_DEP_1)
	v_and_or_b32 v1, 0x8000, v9, v1
	global_store_b16 v[7:8], v1, off
.LBB64_20:                              ;   in Loop: Header=BB64_3 Depth=1
	s_wait_alu 0xfffe
	s_and_not1_b32 vcc_lo, exec_lo, s0
	s_wait_alu 0xfffe
	s_cbranch_vccnz .LBB64_2
; %bb.21:                               ;   in Loop: Header=BB64_3 Depth=1
	v_and_or_b32 v1, 0x1ff, v4, v3
	v_lshrrev_b32_e32 v3, 8, v4
	v_bfe_u32 v7, v4, 20, 11
	v_lshrrev_b32_e32 v4, 16, v4
	s_delay_alu instid0(VALU_DEP_4) | instskip(NEXT) | instid1(VALU_DEP_3)
	v_cmp_ne_u32_e32 vcc_lo, 0, v1
	v_sub_nc_u32_e32 v8, 0x3f1, v7
	v_add_nc_u32_e32 v7, 0xfffffc10, v7
	s_wait_alu 0xfffd
	v_cndmask_b32_e64 v1, 0, 1, vcc_lo
	s_delay_alu instid0(VALU_DEP_1) | instskip(SKIP_1) | instid1(VALU_DEP_2)
	v_and_or_b32 v1, 0xffe, v3, v1
	v_med3_i32 v3, v8, 0, 13
	v_or_b32_e32 v8, 0x1000, v1
	s_delay_alu instid0(VALU_DEP_1) | instskip(NEXT) | instid1(VALU_DEP_1)
	v_lshrrev_b32_e32 v9, v3, v8
	v_lshlrev_b32_e32 v3, v3, v9
	s_delay_alu instid0(VALU_DEP_1) | instskip(SKIP_4) | instid1(VALU_DEP_2)
	v_cmp_ne_u32_e32 vcc_lo, v3, v8
	v_lshl_or_b32 v8, v7, 12, v1
	s_wait_alu 0xfffd
	v_cndmask_b32_e64 v3, 0, 1, vcc_lo
	v_cmp_gt_i32_e32 vcc_lo, 1, v7
	v_or_b32_e32 v3, v9, v3
	s_wait_alu 0xfffd
	s_delay_alu instid0(VALU_DEP_1) | instskip(NEXT) | instid1(VALU_DEP_1)
	v_cndmask_b32_e32 v3, v8, v3, vcc_lo
	v_and_b32_e32 v8, 7, v3
	v_lshrrev_b32_e32 v3, 2, v3
	s_delay_alu instid0(VALU_DEP_2)
	v_cmp_lt_i32_e32 vcc_lo, 5, v8
	s_wait_alu 0xfffd
	v_cndmask_b32_e64 v9, 0, 1, vcc_lo
	v_cmp_eq_u32_e32 vcc_lo, 3, v8
	s_wait_alu 0xfffd
	v_cndmask_b32_e64 v8, 0, 1, vcc_lo
	v_cmp_ne_u32_e32 vcc_lo, 0, v1
	s_delay_alu instid0(VALU_DEP_2) | instskip(SKIP_3) | instid1(VALU_DEP_3)
	v_or_b32_e32 v8, v8, v9
	s_wait_alu 0xfffd
	v_cndmask_b32_e32 v1, 0x7c00, v11, vcc_lo
	v_cmp_gt_i32_e32 vcc_lo, 31, v7
	v_add_nc_u32_e32 v3, v3, v8
	s_wait_alu 0xfffd
	s_delay_alu instid0(VALU_DEP_1) | instskip(SKIP_2) | instid1(VALU_DEP_2)
	v_cndmask_b32_e32 v3, 0x7c00, v3, vcc_lo
	v_cmp_eq_u32_e32 vcc_lo, 0x40f, v7
	s_wait_alu 0xfffd
	v_cndmask_b32_e32 v1, v3, v1, vcc_lo
	v_add_co_u32 v3, vcc_lo, s10, v5
	s_delay_alu instid0(VALU_DEP_2)
	v_and_or_b32 v1, 0x8000, v4, v1
	s_wait_alu 0xfffd
	v_add_co_ci_u32_e64 v4, null, s11, v6, vcc_lo
	global_store_b16 v[3:4], v1, off
	s_branch .LBB64_2
.LBB64_22:
	s_endpgm
	.section	.rodata,"a",@progbits
	.p2align	6, 0x0
	.amdhsa_kernel naive_conv_ab_packed_fwd_ncdhw_half_double_half_0
		.amdhsa_group_segment_fixed_size 0
		.amdhsa_private_segment_fixed_size 0
		.amdhsa_kernarg_size 528
		.amdhsa_user_sgpr_count 2
		.amdhsa_user_sgpr_dispatch_ptr 0
		.amdhsa_user_sgpr_queue_ptr 0
		.amdhsa_user_sgpr_kernarg_segment_ptr 1
		.amdhsa_user_sgpr_dispatch_id 0
		.amdhsa_user_sgpr_private_segment_size 0
		.amdhsa_wavefront_size32 1
		.amdhsa_uses_dynamic_stack 0
		.amdhsa_enable_private_segment 0
		.amdhsa_system_sgpr_workgroup_id_x 1
		.amdhsa_system_sgpr_workgroup_id_y 0
		.amdhsa_system_sgpr_workgroup_id_z 0
		.amdhsa_system_sgpr_workgroup_info 0
		.amdhsa_system_vgpr_workitem_id 0
		.amdhsa_next_free_vgpr 20
		.amdhsa_next_free_sgpr 73
		.amdhsa_reserve_vcc 1
		.amdhsa_float_round_mode_32 0
		.amdhsa_float_round_mode_16_64 0
		.amdhsa_float_denorm_mode_32 3
		.amdhsa_float_denorm_mode_16_64 3
		.amdhsa_fp16_overflow 0
		.amdhsa_workgroup_processor_mode 1
		.amdhsa_memory_ordered 1
		.amdhsa_forward_progress 1
		.amdhsa_inst_pref_size 21
		.amdhsa_round_robin_scheduling 0
		.amdhsa_exception_fp_ieee_invalid_op 0
		.amdhsa_exception_fp_denorm_src 0
		.amdhsa_exception_fp_ieee_div_zero 0
		.amdhsa_exception_fp_ieee_overflow 0
		.amdhsa_exception_fp_ieee_underflow 0
		.amdhsa_exception_fp_ieee_inexact 0
		.amdhsa_exception_int_div_zero 0
	.end_amdhsa_kernel
	.text
.Lfunc_end64:
	.size	naive_conv_ab_packed_fwd_ncdhw_half_double_half_0, .Lfunc_end64-naive_conv_ab_packed_fwd_ncdhw_half_double_half_0
                                        ; -- End function
	.set naive_conv_ab_packed_fwd_ncdhw_half_double_half_0.num_vgpr, 20
	.set naive_conv_ab_packed_fwd_ncdhw_half_double_half_0.num_agpr, 0
	.set naive_conv_ab_packed_fwd_ncdhw_half_double_half_0.numbered_sgpr, 73
	.set naive_conv_ab_packed_fwd_ncdhw_half_double_half_0.num_named_barrier, 0
	.set naive_conv_ab_packed_fwd_ncdhw_half_double_half_0.private_seg_size, 0
	.set naive_conv_ab_packed_fwd_ncdhw_half_double_half_0.uses_vcc, 1
	.set naive_conv_ab_packed_fwd_ncdhw_half_double_half_0.uses_flat_scratch, 0
	.set naive_conv_ab_packed_fwd_ncdhw_half_double_half_0.has_dyn_sized_stack, 0
	.set naive_conv_ab_packed_fwd_ncdhw_half_double_half_0.has_recursion, 0
	.set naive_conv_ab_packed_fwd_ncdhw_half_double_half_0.has_indirect_call, 0
	.section	.AMDGPU.csdata,"",@progbits
; Kernel info:
; codeLenInByte = 2684
; TotalNumSgprs: 75
; NumVgprs: 20
; ScratchSize: 0
; MemoryBound: 0
; FloatMode: 240
; IeeeMode: 1
; LDSByteSize: 0 bytes/workgroup (compile time only)
; SGPRBlocks: 0
; VGPRBlocks: 2
; NumSGPRsForWavesPerEU: 75
; NumVGPRsForWavesPerEU: 20
; Occupancy: 16
; WaveLimiterHint : 1
; COMPUTE_PGM_RSRC2:SCRATCH_EN: 0
; COMPUTE_PGM_RSRC2:USER_SGPR: 2
; COMPUTE_PGM_RSRC2:TRAP_HANDLER: 0
; COMPUTE_PGM_RSRC2:TGID_X_EN: 1
; COMPUTE_PGM_RSRC2:TGID_Y_EN: 0
; COMPUTE_PGM_RSRC2:TGID_Z_EN: 0
; COMPUTE_PGM_RSRC2:TIDIG_COMP_CNT: 0
	.text
	.protected	naive_conv_ab_nonpacked_fwd_ncdhw_half_double_half_0 ; -- Begin function naive_conv_ab_nonpacked_fwd_ncdhw_half_double_half_0
	.globl	naive_conv_ab_nonpacked_fwd_ncdhw_half_double_half_0
	.p2align	8
	.type	naive_conv_ab_nonpacked_fwd_ncdhw_half_double_half_0,@function
naive_conv_ab_nonpacked_fwd_ncdhw_half_double_half_0: ; @naive_conv_ab_nonpacked_fwd_ncdhw_half_double_half_0
; %bb.0:
	s_load_b512 s[4:19], s[0:1], 0xb8
	s_wait_kmcnt 0x0
	s_abs_i32 s3, s8
	s_mul_i32 s79, s12, s11
	s_cvt_f32_u32 s2, s3
	s_delay_alu instid0(SALU_CYCLE_3) | instskip(NEXT) | instid1(TRANS32_DEP_1)
	v_rcp_iflag_f32_e32 v1, s2
	v_readfirstlane_b32 s2, v1
	s_mul_f32 s2, s2, 0x4f7ffffe
	s_wait_alu 0xfffe
	s_delay_alu instid0(SALU_CYCLE_2) | instskip(SKIP_2) | instid1(SALU_CYCLE_1)
	s_cvt_u32_f32 s20, s2
	s_sub_co_i32 s2, 0, s3
	s_wait_alu 0xfffe
	s_mul_i32 s2, s2, s20
	s_wait_alu 0xfffe
	s_mul_hi_u32 s21, s20, s2
	s_abs_i32 s2, ttmp9
	s_add_co_i32 s20, s20, s21
	s_wait_alu 0xfffe
	s_mul_hi_u32 s20, s2, s20
	s_delay_alu instid0(SALU_CYCLE_1) | instskip(SKIP_2) | instid1(SALU_CYCLE_1)
	s_mul_i32 s21, s20, s3
	s_add_co_i32 s22, s20, 1
	s_sub_co_i32 s21, s2, s21
	s_sub_co_i32 s23, s21, s3
	s_cmp_ge_u32 s21, s3
	s_cselect_b32 s22, s22, s20
	s_cselect_b32 s20, s23, s21
	s_add_co_i32 s21, s22, 1
	s_cmp_ge_u32 s20, s3
	s_mul_i32 s20, s8, s7
	s_cselect_b32 s21, s21, s22
	s_abs_i32 s29, s7
	s_abs_i32 s28, s20
	s_cvt_f32_u32 s3, s29
	s_cvt_f32_u32 s7, s28
	s_mov_b32 s23, exec_lo
	s_wait_alu 0xfffe
	v_rcp_iflag_f32_e32 v1, s3
	v_rcp_iflag_f32_e32 v2, s7
	s_mul_i32 s7, s79, s10
	s_mov_b32 s3, 0
	s_delay_alu instid0(TRANS32_DEP_2) | instskip(NEXT) | instid1(TRANS32_DEP_1)
	v_readfirstlane_b32 s22, v1
	v_readfirstlane_b32 s10, v2
	s_wait_alu 0xfffe
	v_cmpx_gt_i32_e64 s7, v0
	s_cbranch_execz .LBB65_22
; %bb.1:
	s_mul_f32 s22, s22, 0x4f7ffffe
	s_ashr_i32 s33, ttmp9, 31
	s_ashr_i32 s23, s8, 31
	s_mul_f32 s10, s10, 0x4f7ffffe
	s_cvt_u32_f32 s25, s22
	s_sub_co_i32 s24, 0, s29
	s_xor_b32 s22, s33, s23
	s_cvt_u32_f32 s10, s10
	s_xor_b32 s21, s21, s22
	s_mul_i32 s24, s24, s25
	s_sub_co_i32 s21, s21, s22
	s_mul_hi_u32 s23, s25, s24
	s_sub_co_i32 s26, 0, s28
	s_abs_i32 s22, s21
	s_add_co_i32 s24, s25, s23
	s_mov_b32 s23, s3
	s_mov_b32 s25, s3
	s_mul_i32 s26, s26, s10
	s_mul_u64 s[24:25], s[22:23], s[24:25]
	s_mul_hi_u32 s23, s10, s26
	s_ashr_i32 s35, s21, 31
	s_add_co_i32 s30, s10, s23
	s_mul_i32 s10, s25, s29
	s_mul_i32 s21, s21, s8
	s_sub_co_i32 s8, s22, s10
	s_ashr_i32 s52, s20, 31
	s_sub_co_i32 s34, ttmp9, s21
	s_sub_co_i32 s10, s8, s29
	s_cmp_ge_u32 s8, s29
	s_mov_b32 s31, s3
	s_cselect_b32 s8, s10, s8
	s_mul_u64 s[30:31], s[2:3], s[30:31]
	s_sub_co_i32 s10, s8, s29
	s_cmp_ge_u32 s8, s29
	s_load_b512 s[36:51], s[0:1], 0x28
	s_cselect_b32 s8, s10, s8
	s_xor_b32 s10, s33, s52
	s_xor_b32 s8, s8, s35
	s_load_b128 s[72:75], s[0:1], 0xa8
	s_sub_co_i32 s70, s8, s35
	s_mul_i32 s8, s31, s28
	s_load_b512 s[52:67], s[0:1], 0x68
	s_sub_co_i32 s2, s2, s8
	s_add_co_i32 s8, s31, 1
	s_wait_alu 0xfffe
	s_sub_co_i32 s29, s2, s28
	s_cmp_ge_u32 s2, s28
	s_load_b256 s[20:27], s[0:1], 0x0
	s_cselect_b32 s8, s8, s31
	s_cselect_b32 s2, s29, s2
	s_add_co_i32 s29, s8, 1
	s_wait_alu 0xfffe
	s_cmp_ge_u32 s2, s28
	s_load_b64 s[82:83], s[0:1], 0x20
	s_cselect_b32 s2, s29, s8
	s_clause 0x2
	s_load_b128 s[28:31], s[0:1], 0xf8
	s_load_b32 s8, s[0:1], 0x108
	s_load_b32 s84, s[0:1], 0x11c
	s_xor_b32 s2, s2, s10
	s_ashr_i32 s71, s70, 31
	s_wait_alu 0xfffe
	s_sub_co_i32 s68, s2, s10
	s_ashr_i32 s35, s34, 31
	s_ashr_i32 s69, s68, 31
	s_wait_kmcnt 0x0
	s_mul_u64 s[46:47], s[46:47], s[70:71]
	s_mul_u64 s[44:45], s[44:45], s[68:69]
	;; [unrolled: 1-line block ×5, first 2 shown]
	s_lshl_b64 s[46:47], s[46:47], 1
	s_lshl_b64 s[44:45], s[44:45], 1
	;; [unrolled: 1-line block ×5, first 2 shown]
	v_cmp_neq_f64_e64 s2, s[24:25], 1.0
	v_cmp_neq_f64_e64 s78, s[26:27], 0
	s_cmp_gt_i32 s9, 0
	v_dual_mov_b32 v5, 0 :: v_dual_mov_b32 v6, 0x7e00
	s_cselect_b32 s33, -1, 0
	s_cmp_gt_i32 s30, 0
	s_cselect_b32 s66, -1, 0
	s_cmp_gt_i32 s31, 0
	s_cselect_b32 s67, -1, 0
	s_cmp_gt_i32 s8, 0
	s_cselect_b32 s70, -1, 0
	s_abs_i32 s71, s12
	s_abs_i32 s72, s11
	s_cvt_f32_u32 s0, s71
	s_cvt_f32_u32 s10, s72
	s_abs_i32 s73, s79
	s_ashr_i32 s79, s79, 31
	v_rcp_iflag_f32_e32 v1, s0
	v_rcp_iflag_f32_e32 v2, s10
	s_add_nc_u64 s[0:1], s[20:21], s[46:47]
	s_cvt_f32_u32 s46, s73
	s_add_nc_u64 s[20:21], s[82:83], s[74:75]
	s_wait_alu 0xfffe
	s_add_nc_u64 s[10:11], s[0:1], s[44:45]
	s_add_nc_u64 s[0:1], s[20:21], s[76:77]
	s_sub_co_i32 s45, 0, s72
	s_wait_alu 0xfffe
	s_add_nc_u64 s[20:21], s[0:1], s[80:81]
	s_and_b32 s75, s84, 0xffff
	v_readfirstlane_b32 s47, v1
	v_rcp_iflag_f32_e32 v1, s46
	v_readfirstlane_b32 s1, v2
	s_ashr_i32 s76, s12, 31
	s_lshl_b64 s[48:49], s[48:49], 1
	s_mul_f32 s0, s47, 0x4f7ffffe
	s_lshl_b64 s[46:47], s[50:51], 1
	s_mul_f32 s1, s1, 0x4f7ffffe
	s_or_b32 s74, s2, s78
	s_wait_alu 0xfffe
	s_cvt_u32_f32 s0, s0
	s_sub_co_i32 s2, 0, s71
	v_readfirstlane_b32 s44, v1
	s_cvt_u32_f32 s1, s1
	s_wait_alu 0xfffe
	s_mul_i32 s2, s2, s0
	s_wait_alu 0xfffe
	s_mul_hi_u32 s2, s0, s2
	s_mul_f32 s44, s44, 0x4f7ffffe
	s_mul_i32 s45, s45, s1
	s_wait_alu 0xfffe
	s_add_co_i32 s77, s0, s2
	s_mul_hi_u32 s0, s1, s45
	s_cvt_u32_f32 s2, s44
	s_wait_alu 0xfffe
	s_add_co_i32 s78, s1, s0
	s_sub_co_i32 s0, 0, s73
	s_wait_alu 0xfffe
	s_mul_i32 s44, s0, s2
	s_mul_u64 s[0:1], s[56:57], s[34:35]
	s_mul_u64 s[34:35], s[58:59], s[68:69]
	s_wait_alu 0xfffe
	s_lshl_b64 s[0:1], s[0:1], 1
	s_lshl_b64 s[34:35], s[34:35], 1
	s_mul_hi_u32 s44, s2, s44
	s_wait_alu 0xfffe
	s_add_nc_u64 s[0:1], s[0:1], s[34:35]
	s_add_co_i32 s68, s2, s44
	s_wait_alu 0xfffe
	s_add_nc_u64 s[22:23], s[22:23], s[0:1]
	s_lshl_b64 s[34:35], s[54:55], 1
	s_lshl_b64 s[44:45], s[52:53], 1
	s_mov_b32 s69, 0
	s_branch .LBB65_3
.LBB65_2:                               ;   in Loop: Header=BB65_3 Depth=1
	v_add_nc_u32_e32 v0, s75, v0
	s_delay_alu instid0(VALU_DEP_1)
	v_cmp_le_i32_e32 vcc_lo, s7, v0
	s_or_b32 s69, vcc_lo, s69
	s_wait_alu 0xfffe
	s_and_not1_b32 exec_lo, exec_lo, s69
	s_cbranch_execz .LBB65_22
.LBB65_3:                               ; =>This Loop Header: Depth=1
                                        ;     Child Loop BB65_6 Depth 2
                                        ;       Child Loop BB65_9 Depth 3
                                        ;         Child Loop BB65_12 Depth 4
                                        ;           Child Loop BB65_15 Depth 5
	v_sub_nc_u32_e32 v1, 0, v0
	s_delay_alu instid0(VALU_DEP_1) | instskip(NEXT) | instid1(VALU_DEP_1)
	v_max_i32_e32 v1, v0, v1
	v_mul_hi_u32 v2, v1, s77
	s_delay_alu instid0(VALU_DEP_1) | instskip(NEXT) | instid1(VALU_DEP_1)
	v_mul_lo_u32 v3, v2, s71
	v_sub_nc_u32_e32 v3, v1, v3
	s_delay_alu instid0(VALU_DEP_1) | instskip(SKIP_2) | instid1(VALU_DEP_2)
	v_subrev_nc_u32_e32 v7, s71, v3
	v_cmp_le_u32_e32 vcc_lo, s71, v3
	s_wait_alu 0xfffd
	v_dual_cndmask_b32 v3, v3, v7 :: v_dual_add_nc_u32 v4, 1, v2
	s_delay_alu instid0(VALU_DEP_1) | instskip(SKIP_1) | instid1(VALU_DEP_3)
	v_cndmask_b32_e32 v2, v2, v4, vcc_lo
	v_ashrrev_i32_e32 v4, 31, v0
	v_cmp_le_u32_e32 vcc_lo, s71, v3
	s_delay_alu instid0(VALU_DEP_3) | instskip(NEXT) | instid1(VALU_DEP_3)
	v_add_nc_u32_e32 v7, 1, v2
	v_xor_b32_e32 v8, s76, v4
	v_xor_b32_e32 v4, s79, v4
	s_wait_alu 0xfffd
	s_delay_alu instid0(VALU_DEP_3) | instskip(SKIP_1) | instid1(VALU_DEP_2)
	v_cndmask_b32_e32 v2, v2, v7, vcc_lo
	v_mul_hi_u32 v7, v1, s68
	v_xor_b32_e32 v2, v2, v8
	s_delay_alu instid0(VALU_DEP_2) | instskip(NEXT) | instid1(VALU_DEP_2)
	v_mul_lo_u32 v9, v7, s73
	v_sub_nc_u32_e32 v2, v2, v8
	s_delay_alu instid0(VALU_DEP_1) | instskip(NEXT) | instid1(VALU_DEP_3)
	v_sub_nc_u32_e32 v3, 0, v2
	v_sub_nc_u32_e32 v1, v1, v9
	s_delay_alu instid0(VALU_DEP_2) | instskip(NEXT) | instid1(VALU_DEP_2)
	v_max_i32_e32 v3, v2, v3
	v_subrev_nc_u32_e32 v9, s73, v1
	v_cmp_le_u32_e32 vcc_lo, s73, v1
	s_delay_alu instid0(VALU_DEP_3) | instskip(SKIP_1) | instid1(VALU_DEP_3)
	v_mul_hi_u32 v8, v3, s78
	s_wait_alu 0xfffd
	v_cndmask_b32_e32 v1, v1, v9, vcc_lo
	s_delay_alu instid0(VALU_DEP_2) | instskip(NEXT) | instid1(VALU_DEP_1)
	v_mul_lo_u32 v8, v8, s72
	v_sub_nc_u32_e32 v3, v3, v8
	s_delay_alu instid0(VALU_DEP_1) | instskip(SKIP_2) | instid1(VALU_DEP_1)
	v_subrev_nc_u32_e32 v10, s72, v3
	v_cmp_le_u32_e64 s0, s72, v3
	s_wait_alu 0xf1ff
	v_cndmask_b32_e64 v3, v3, v10, s0
	s_delay_alu instid0(VALU_DEP_1) | instskip(SKIP_1) | instid1(VALU_DEP_1)
	v_subrev_nc_u32_e32 v9, s72, v3
	v_add_nc_u32_e32 v8, 1, v7
	v_cndmask_b32_e32 v7, v7, v8, vcc_lo
	v_cmp_le_u32_e32 vcc_lo, s73, v1
	s_delay_alu instid0(VALU_DEP_2) | instskip(SKIP_1) | instid1(VALU_DEP_1)
	v_add_nc_u32_e32 v8, 1, v7
	s_wait_alu 0xfffd
	v_cndmask_b32_e32 v1, v7, v8, vcc_lo
	v_cmp_le_u32_e32 vcc_lo, s72, v3
	v_ashrrev_i32_e32 v7, 31, v2
	v_mul_lo_u32 v2, v2, s12
	s_delay_alu instid0(VALU_DEP_4) | instskip(SKIP_3) | instid1(VALU_DEP_1)
	v_xor_b32_e32 v1, v1, v4
	s_wait_alu 0xfffd
	v_cndmask_b32_e32 v3, v3, v9, vcc_lo
	s_and_not1_b32 vcc_lo, exec_lo, s33
	v_xor_b32_e32 v3, v3, v7
	s_delay_alu instid0(VALU_DEP_4) | instskip(NEXT) | instid1(VALU_DEP_2)
	v_sub_nc_u32_e32 v9, v0, v2
	v_sub_nc_u32_e32 v8, v3, v7
	;; [unrolled: 1-line block ×3, first 2 shown]
	s_wait_alu 0xfffe
	s_cbranch_vccnz .LBB65_17
; %bb.4:                                ;   in Loop: Header=BB65_3 Depth=1
	s_delay_alu instid0(VALU_DEP_1)
	v_mul_lo_u32 v3, v7, s13
	v_mul_lo_u32 v4, v8, s14
	;; [unrolled: 1-line block ×3, first 2 shown]
	v_mov_b32_e32 v1, 0
	v_mov_b32_e32 v2, 0
	s_mov_b32 s2, 0
	s_mov_b64 s[50:51], s[22:23]
	v_subrev_nc_u32_e32 v3, s19, v3
	v_subrev_nc_u32_e32 v4, s28, v4
	;; [unrolled: 1-line block ×3, first 2 shown]
	s_branch .LBB65_6
.LBB65_5:                               ;   in Loop: Header=BB65_6 Depth=2
	s_add_co_i32 s2, s2, 1
	s_add_nc_u64 s[50:51], s[50:51], s[34:35]
	s_wait_alu 0xfffe
	s_cmp_eq_u32 s2, s9
	s_cbranch_scc1 .LBB65_18
.LBB65_6:                               ;   Parent Loop BB65_3 Depth=1
                                        ; =>  This Loop Header: Depth=2
                                        ;       Child Loop BB65_9 Depth 3
                                        ;         Child Loop BB65_12 Depth 4
                                        ;           Child Loop BB65_15 Depth 5
	s_and_not1_b32 vcc_lo, exec_lo, s66
	s_wait_alu 0xfffe
	s_cbranch_vccnz .LBB65_5
; %bb.7:                                ;   in Loop: Header=BB65_6 Depth=2
	s_mul_u64 s[0:1], s[42:43], s[2:3]
	s_mov_b32 s80, 0
	s_wait_alu 0xfffe
	s_lshl_b64 s[0:1], s[0:1], 1
	s_mov_b64 s[54:55], s[50:51]
	s_wait_alu 0xfffe
	s_add_nc_u64 s[52:53], s[10:11], s[0:1]
	s_branch .LBB65_9
.LBB65_8:                               ;   in Loop: Header=BB65_9 Depth=3
	s_add_co_i32 s80, s80, 1
	s_add_nc_u64 s[54:55], s[54:55], s[44:45]
	s_wait_alu 0xfffe
	s_cmp_eq_u32 s80, s30
	s_cbranch_scc1 .LBB65_5
.LBB65_9:                               ;   Parent Loop BB65_3 Depth=1
                                        ;     Parent Loop BB65_6 Depth=2
                                        ; =>    This Loop Header: Depth=3
                                        ;         Child Loop BB65_12 Depth 4
                                        ;           Child Loop BB65_15 Depth 5
	s_and_not1_b32 vcc_lo, exec_lo, s67
	s_wait_alu 0xfffe
	s_cbranch_vccnz .LBB65_8
; %bb.10:                               ;   in Loop: Header=BB65_9 Depth=3
	v_mad_co_u64_u32 v[11:12], null, s80, s16, v[3:4]
	s_mov_b64 s[56:57], s[54:55]
	v_mad_co_u64_u32 v[12:13], null, s40, v11, 0
	v_cmp_gt_i32_e32 vcc_lo, 0, v11
	v_cmp_le_i32_e64 s0, s4, v11
	s_or_b32 s81, vcc_lo, s0
	v_mad_co_u64_u32 v[13:14], null, s41, v11, v[13:14]
	s_delay_alu instid0(VALU_DEP_1) | instskip(NEXT) | instid1(VALU_DEP_1)
	v_lshlrev_b64_e32 v[12:13], 1, v[12:13]
	v_add_co_u32 v11, s1, s52, v12
	s_wait_alu 0xf1ff
	s_delay_alu instid0(VALU_DEP_2)
	v_add_co_ci_u32_e64 v12, null, s53, v13, s1
	s_mov_b32 s1, 0
	s_branch .LBB65_12
.LBB65_11:                              ;   in Loop: Header=BB65_12 Depth=4
	s_add_co_i32 s1, s1, 1
	s_add_nc_u64 s[56:57], s[56:57], s[46:47]
	s_wait_alu 0xfffe
	s_cmp_eq_u32 s1, s31
	s_cbranch_scc1 .LBB65_8
.LBB65_12:                              ;   Parent Loop BB65_3 Depth=1
                                        ;     Parent Loop BB65_6 Depth=2
                                        ;       Parent Loop BB65_9 Depth=3
                                        ; =>      This Loop Header: Depth=4
                                        ;           Child Loop BB65_15 Depth 5
	s_and_not1_b32 vcc_lo, exec_lo, s70
	s_wait_alu 0xfffe
	s_cbranch_vccnz .LBB65_11
; %bb.13:                               ;   in Loop: Header=BB65_12 Depth=4
	v_mad_co_u64_u32 v[13:14], null, s1, s17, v[4:5]
	s_mov_b64 s[58:59], s[56:57]
	s_mov_b32 s83, s8
	v_mad_co_u64_u32 v[14:15], null, s38, v13, 0
	v_cmp_gt_i32_e32 vcc_lo, 0, v13
	v_cmp_le_i32_e64 s0, s5, v13
	s_or_b32 s0, vcc_lo, s0
	v_mad_co_u64_u32 v[15:16], null, s39, v13, v[15:16]
	s_wait_alu 0xfffe
	s_or_b32 s82, s81, s0
	s_delay_alu instid0(VALU_DEP_1) | instskip(SKIP_1) | instid1(VALU_DEP_2)
	v_lshlrev_b64_e32 v[13:14], 1, v[14:15]
	v_mov_b32_e32 v15, v10
	v_add_co_u32 v13, vcc_lo, v11, v13
	s_wait_alu 0xfffd
	s_delay_alu instid0(VALU_DEP_3)
	v_add_co_ci_u32_e64 v14, null, v12, v14, vcc_lo
	s_branch .LBB65_15
.LBB65_14:                              ;   in Loop: Header=BB65_15 Depth=5
	s_wait_alu 0xfffe
	s_or_b32 exec_lo, exec_lo, s0
	v_add_nc_u32_e32 v15, s18, v15
	s_add_co_i32 s83, s83, -1
	s_add_nc_u64 s[58:59], s[58:59], s[48:49]
	s_cmp_eq_u32 s83, 0
	s_cbranch_scc1 .LBB65_11
.LBB65_15:                              ;   Parent Loop BB65_3 Depth=1
                                        ;     Parent Loop BB65_6 Depth=2
                                        ;       Parent Loop BB65_9 Depth=3
                                        ;         Parent Loop BB65_12 Depth=4
                                        ; =>        This Inner Loop Header: Depth=5
	v_cmp_gt_i32_e32 vcc_lo, 0, v15
	v_cmp_le_i32_e64 s0, s6, v15
	s_or_b32 s0, vcc_lo, s0
	s_wait_alu 0xfffe
	s_nor_b32 s84, s82, s0
	s_delay_alu instid0(SALU_CYCLE_1)
	s_and_saveexec_b32 s0, s84
	s_cbranch_execz .LBB65_14
; %bb.16:                               ;   in Loop: Header=BB65_15 Depth=5
	v_mad_co_u64_u32 v[16:17], null, s36, v15, 0
	s_delay_alu instid0(VALU_DEP_1) | instskip(NEXT) | instid1(VALU_DEP_1)
	v_mad_co_u64_u32 v[17:18], null, s37, v15, v[17:18]
	v_lshlrev_b64_e32 v[16:17], 1, v[16:17]
	s_delay_alu instid0(VALU_DEP_1) | instskip(SKIP_1) | instid1(VALU_DEP_2)
	v_add_co_u32 v16, vcc_lo, v13, v16
	s_wait_alu 0xfffd
	v_add_co_ci_u32_e64 v17, null, v14, v17, vcc_lo
	global_load_u16 v16, v[16:17], off
	global_load_u16 v17, v5, s[58:59]
	s_wait_loadcnt 0x1
	v_cvt_f32_f16_e32 v16, v16
	s_wait_loadcnt 0x0
	v_cvt_f32_f16_e32 v18, v17
	s_delay_alu instid0(VALU_DEP_2) | instskip(NEXT) | instid1(VALU_DEP_2)
	v_cvt_f64_f32_e32 v[16:17], v16
	v_cvt_f64_f32_e32 v[18:19], v18
	s_delay_alu instid0(VALU_DEP_1)
	v_fma_f64 v[1:2], v[16:17], v[18:19], v[1:2]
	s_branch .LBB65_14
.LBB65_17:                              ;   in Loop: Header=BB65_3 Depth=1
	v_mov_b32_e32 v1, 0
	v_mov_b32_e32 v2, 0
.LBB65_18:                              ;   in Loop: Header=BB65_3 Depth=1
	v_ashrrev_i32_e32 v10, 31, v9
	v_mul_lo_u32 v11, s61, v9
	v_mad_co_u64_u32 v[3:4], null, s60, v9, 0
	s_and_b32 vcc_lo, exec_lo, s74
	v_mul_lo_u32 v9, s60, v10
	v_ashrrev_i32_e32 v10, 31, v8
	s_mov_b32 s0, -1
	s_delay_alu instid0(VALU_DEP_1) | instskip(NEXT) | instid1(VALU_DEP_3)
	v_mul_lo_u32 v10, s62, v10
	v_add3_u32 v4, v4, v9, v11
	v_mul_lo_u32 v9, s63, v8
	s_delay_alu instid0(VALU_DEP_2) | instskip(SKIP_1) | instid1(VALU_DEP_2)
	v_mad_co_u64_u32 v[3:4], null, s62, v8, v[3:4]
	v_ashrrev_i32_e32 v8, 31, v7
	v_add3_u32 v4, v9, v4, v10
	v_mul_lo_u32 v9, s65, v7
	s_delay_alu instid0(VALU_DEP_2) | instskip(NEXT) | instid1(VALU_DEP_4)
	v_mad_co_u64_u32 v[3:4], null, s64, v7, v[3:4]
	v_mul_lo_u32 v7, s64, v8
	s_delay_alu instid0(VALU_DEP_1) | instskip(NEXT) | instid1(VALU_DEP_1)
	v_add3_u32 v4, v9, v4, v7
	v_lshlrev_b64_e32 v[3:4], 1, v[3:4]
	s_wait_alu 0xfffe
	s_cbranch_vccz .LBB65_20
; %bb.19:                               ;   in Loop: Header=BB65_3 Depth=1
	s_delay_alu instid0(VALU_DEP_1) | instskip(SKIP_1) | instid1(VALU_DEP_2)
	v_add_co_u32 v7, vcc_lo, s20, v3
	s_wait_alu 0xfffd
	v_add_co_ci_u32_e64 v8, null, s21, v4, vcc_lo
	s_mov_b32 s0, 0
	global_load_u16 v9, v[7:8], off
	s_wait_loadcnt 0x0
	v_cvt_f32_f16_e32 v9, v9
	s_delay_alu instid0(VALU_DEP_1) | instskip(NEXT) | instid1(VALU_DEP_1)
	v_cvt_f64_f32_e32 v[9:10], v9
	v_mul_f64_e32 v[9:10], s[26:27], v[9:10]
	s_delay_alu instid0(VALU_DEP_1) | instskip(NEXT) | instid1(VALU_DEP_1)
	v_fma_f64 v[9:10], s[24:25], v[1:2], v[9:10]
	v_and_or_b32 v9, 0x1ff, v10, v9
	v_lshrrev_b32_e32 v11, 8, v10
	v_bfe_u32 v12, v10, 20, 11
	v_lshrrev_b32_e32 v10, 16, v10
	s_delay_alu instid0(VALU_DEP_4) | instskip(NEXT) | instid1(VALU_DEP_3)
	v_cmp_ne_u32_e32 vcc_lo, 0, v9
	v_sub_nc_u32_e32 v13, 0x3f1, v12
	s_wait_alu 0xfffd
	v_cndmask_b32_e64 v9, 0, 1, vcc_lo
	s_delay_alu instid0(VALU_DEP_1) | instskip(NEXT) | instid1(VALU_DEP_3)
	v_and_or_b32 v9, 0xffe, v11, v9
	v_med3_i32 v11, v13, 0, 13
	s_delay_alu instid0(VALU_DEP_2) | instskip(NEXT) | instid1(VALU_DEP_1)
	v_or_b32_e32 v13, 0x1000, v9
	v_lshrrev_b32_e32 v14, v11, v13
	s_delay_alu instid0(VALU_DEP_1) | instskip(NEXT) | instid1(VALU_DEP_1)
	v_lshlrev_b32_e32 v11, v11, v14
	v_cmp_ne_u32_e32 vcc_lo, v11, v13
	s_wait_alu 0xfffd
	v_cndmask_b32_e64 v11, 0, 1, vcc_lo
	s_delay_alu instid0(VALU_DEP_1) | instskip(SKIP_1) | instid1(VALU_DEP_1)
	v_or_b32_e32 v11, v14, v11
	v_add_nc_u32_e32 v12, 0xfffffc10, v12
	v_lshl_or_b32 v13, v12, 12, v9
	v_cmp_gt_i32_e32 vcc_lo, 1, v12
	s_wait_alu 0xfffd
	s_delay_alu instid0(VALU_DEP_2) | instskip(NEXT) | instid1(VALU_DEP_1)
	v_cndmask_b32_e32 v11, v13, v11, vcc_lo
	v_and_b32_e32 v13, 7, v11
	v_lshrrev_b32_e32 v11, 2, v11
	s_delay_alu instid0(VALU_DEP_2)
	v_cmp_lt_i32_e32 vcc_lo, 5, v13
	s_wait_alu 0xfffd
	v_cndmask_b32_e64 v14, 0, 1, vcc_lo
	v_cmp_eq_u32_e32 vcc_lo, 3, v13
	s_wait_alu 0xfffd
	v_cndmask_b32_e64 v13, 0, 1, vcc_lo
	v_cmp_ne_u32_e32 vcc_lo, 0, v9
	s_delay_alu instid0(VALU_DEP_2) | instskip(SKIP_3) | instid1(VALU_DEP_3)
	v_or_b32_e32 v13, v13, v14
	s_wait_alu 0xfffd
	v_cndmask_b32_e32 v9, 0x7c00, v6, vcc_lo
	v_cmp_gt_i32_e32 vcc_lo, 31, v12
	v_add_nc_u32_e32 v11, v11, v13
	s_wait_alu 0xfffd
	s_delay_alu instid0(VALU_DEP_1) | instskip(SKIP_2) | instid1(VALU_DEP_2)
	v_cndmask_b32_e32 v11, 0x7c00, v11, vcc_lo
	v_cmp_eq_u32_e32 vcc_lo, 0x40f, v12
	s_wait_alu 0xfffd
	v_cndmask_b32_e32 v9, v11, v9, vcc_lo
	s_delay_alu instid0(VALU_DEP_1)
	v_and_or_b32 v9, 0x8000, v10, v9
	global_store_b16 v[7:8], v9, off
.LBB65_20:                              ;   in Loop: Header=BB65_3 Depth=1
	s_wait_alu 0xfffe
	s_and_not1_b32 vcc_lo, exec_lo, s0
	s_wait_alu 0xfffe
	s_cbranch_vccnz .LBB65_2
; %bb.21:                               ;   in Loop: Header=BB65_3 Depth=1
	v_and_or_b32 v1, 0x1ff, v2, v1
	v_lshrrev_b32_e32 v7, 8, v2
	v_bfe_u32 v8, v2, 20, 11
	v_lshrrev_b32_e32 v2, 16, v2
	s_delay_alu instid0(VALU_DEP_4) | instskip(NEXT) | instid1(VALU_DEP_3)
	v_cmp_ne_u32_e32 vcc_lo, 0, v1
	v_sub_nc_u32_e32 v9, 0x3f1, v8
	s_wait_alu 0xfffd
	v_cndmask_b32_e64 v1, 0, 1, vcc_lo
	s_delay_alu instid0(VALU_DEP_1) | instskip(NEXT) | instid1(VALU_DEP_3)
	v_and_or_b32 v1, 0xffe, v7, v1
	v_med3_i32 v7, v9, 0, 13
	s_delay_alu instid0(VALU_DEP_2) | instskip(NEXT) | instid1(VALU_DEP_1)
	v_or_b32_e32 v9, 0x1000, v1
	v_lshrrev_b32_e32 v10, v7, v9
	s_delay_alu instid0(VALU_DEP_1) | instskip(NEXT) | instid1(VALU_DEP_1)
	v_lshlrev_b32_e32 v7, v7, v10
	v_cmp_ne_u32_e32 vcc_lo, v7, v9
	s_wait_alu 0xfffd
	v_cndmask_b32_e64 v7, 0, 1, vcc_lo
	s_delay_alu instid0(VALU_DEP_1) | instskip(SKIP_1) | instid1(VALU_DEP_1)
	v_or_b32_e32 v7, v10, v7
	v_add_nc_u32_e32 v8, 0xfffffc10, v8
	v_lshl_or_b32 v9, v8, 12, v1
	v_cmp_gt_i32_e32 vcc_lo, 1, v8
	s_wait_alu 0xfffd
	s_delay_alu instid0(VALU_DEP_2) | instskip(NEXT) | instid1(VALU_DEP_1)
	v_cndmask_b32_e32 v7, v9, v7, vcc_lo
	v_and_b32_e32 v9, 7, v7
	v_lshrrev_b32_e32 v7, 2, v7
	s_delay_alu instid0(VALU_DEP_2)
	v_cmp_lt_i32_e32 vcc_lo, 5, v9
	s_wait_alu 0xfffd
	v_cndmask_b32_e64 v10, 0, 1, vcc_lo
	v_cmp_eq_u32_e32 vcc_lo, 3, v9
	s_wait_alu 0xfffd
	v_cndmask_b32_e64 v9, 0, 1, vcc_lo
	v_cmp_ne_u32_e32 vcc_lo, 0, v1
	s_delay_alu instid0(VALU_DEP_2) | instskip(SKIP_3) | instid1(VALU_DEP_3)
	v_or_b32_e32 v9, v9, v10
	s_wait_alu 0xfffd
	v_cndmask_b32_e32 v1, 0x7c00, v6, vcc_lo
	v_cmp_gt_i32_e32 vcc_lo, 31, v8
	v_add_nc_u32_e32 v7, v7, v9
	s_wait_alu 0xfffd
	s_delay_alu instid0(VALU_DEP_1) | instskip(SKIP_2) | instid1(VALU_DEP_2)
	v_cndmask_b32_e32 v7, 0x7c00, v7, vcc_lo
	v_cmp_eq_u32_e32 vcc_lo, 0x40f, v8
	s_wait_alu 0xfffd
	v_cndmask_b32_e32 v1, v7, v1, vcc_lo
	s_delay_alu instid0(VALU_DEP_1)
	v_and_or_b32 v7, 0x8000, v2, v1
	v_add_co_u32 v1, vcc_lo, s20, v3
	s_wait_alu 0xfffd
	v_add_co_ci_u32_e64 v2, null, s21, v4, vcc_lo
	global_store_b16 v[1:2], v7, off
	s_branch .LBB65_2
.LBB65_22:
	s_endpgm
	.section	.rodata,"a",@progbits
	.p2align	6, 0x0
	.amdhsa_kernel naive_conv_ab_nonpacked_fwd_ncdhw_half_double_half_0
		.amdhsa_group_segment_fixed_size 0
		.amdhsa_private_segment_fixed_size 0
		.amdhsa_kernarg_size 528
		.amdhsa_user_sgpr_count 2
		.amdhsa_user_sgpr_dispatch_ptr 0
		.amdhsa_user_sgpr_queue_ptr 0
		.amdhsa_user_sgpr_kernarg_segment_ptr 1
		.amdhsa_user_sgpr_dispatch_id 0
		.amdhsa_user_sgpr_private_segment_size 0
		.amdhsa_wavefront_size32 1
		.amdhsa_uses_dynamic_stack 0
		.amdhsa_enable_private_segment 0
		.amdhsa_system_sgpr_workgroup_id_x 1
		.amdhsa_system_sgpr_workgroup_id_y 0
		.amdhsa_system_sgpr_workgroup_id_z 0
		.amdhsa_system_sgpr_workgroup_info 0
		.amdhsa_system_vgpr_workitem_id 0
		.amdhsa_next_free_vgpr 20
		.amdhsa_next_free_sgpr 85
		.amdhsa_reserve_vcc 1
		.amdhsa_float_round_mode_32 0
		.amdhsa_float_round_mode_16_64 0
		.amdhsa_float_denorm_mode_32 3
		.amdhsa_float_denorm_mode_16_64 3
		.amdhsa_fp16_overflow 0
		.amdhsa_workgroup_processor_mode 1
		.amdhsa_memory_ordered 1
		.amdhsa_forward_progress 1
		.amdhsa_inst_pref_size 21
		.amdhsa_round_robin_scheduling 0
		.amdhsa_exception_fp_ieee_invalid_op 0
		.amdhsa_exception_fp_denorm_src 0
		.amdhsa_exception_fp_ieee_div_zero 0
		.amdhsa_exception_fp_ieee_overflow 0
		.amdhsa_exception_fp_ieee_underflow 0
		.amdhsa_exception_fp_ieee_inexact 0
		.amdhsa_exception_int_div_zero 0
	.end_amdhsa_kernel
	.text
.Lfunc_end65:
	.size	naive_conv_ab_nonpacked_fwd_ncdhw_half_double_half_0, .Lfunc_end65-naive_conv_ab_nonpacked_fwd_ncdhw_half_double_half_0
                                        ; -- End function
	.set naive_conv_ab_nonpacked_fwd_ncdhw_half_double_half_0.num_vgpr, 20
	.set naive_conv_ab_nonpacked_fwd_ncdhw_half_double_half_0.num_agpr, 0
	.set naive_conv_ab_nonpacked_fwd_ncdhw_half_double_half_0.numbered_sgpr, 85
	.set naive_conv_ab_nonpacked_fwd_ncdhw_half_double_half_0.num_named_barrier, 0
	.set naive_conv_ab_nonpacked_fwd_ncdhw_half_double_half_0.private_seg_size, 0
	.set naive_conv_ab_nonpacked_fwd_ncdhw_half_double_half_0.uses_vcc, 1
	.set naive_conv_ab_nonpacked_fwd_ncdhw_half_double_half_0.uses_flat_scratch, 0
	.set naive_conv_ab_nonpacked_fwd_ncdhw_half_double_half_0.has_dyn_sized_stack, 0
	.set naive_conv_ab_nonpacked_fwd_ncdhw_half_double_half_0.has_recursion, 0
	.set naive_conv_ab_nonpacked_fwd_ncdhw_half_double_half_0.has_indirect_call, 0
	.section	.AMDGPU.csdata,"",@progbits
; Kernel info:
; codeLenInByte = 2636
; TotalNumSgprs: 87
; NumVgprs: 20
; ScratchSize: 0
; MemoryBound: 0
; FloatMode: 240
; IeeeMode: 1
; LDSByteSize: 0 bytes/workgroup (compile time only)
; SGPRBlocks: 0
; VGPRBlocks: 2
; NumSGPRsForWavesPerEU: 87
; NumVGPRsForWavesPerEU: 20
; Occupancy: 16
; WaveLimiterHint : 1
; COMPUTE_PGM_RSRC2:SCRATCH_EN: 0
; COMPUTE_PGM_RSRC2:USER_SGPR: 2
; COMPUTE_PGM_RSRC2:TRAP_HANDLER: 0
; COMPUTE_PGM_RSRC2:TGID_X_EN: 1
; COMPUTE_PGM_RSRC2:TGID_Y_EN: 0
; COMPUTE_PGM_RSRC2:TGID_Z_EN: 0
; COMPUTE_PGM_RSRC2:TIDIG_COMP_CNT: 0
	.text
	.protected	naive_conv_ab_packed_fwd_ncdhw_ushort_double_ushort_0 ; -- Begin function naive_conv_ab_packed_fwd_ncdhw_ushort_double_ushort_0
	.globl	naive_conv_ab_packed_fwd_ncdhw_ushort_double_ushort_0
	.p2align	8
	.type	naive_conv_ab_packed_fwd_ncdhw_ushort_double_ushort_0,@function
naive_conv_ab_packed_fwd_ncdhw_ushort_double_ushort_0: ; @naive_conv_ab_packed_fwd_ncdhw_ushort_double_ushort_0
; %bb.0:
	s_load_b512 s[4:19], s[0:1], 0xb8
	s_mov_b32 s25, exec_lo
	s_wait_kmcnt 0x0
	s_abs_i32 s3, s8
	s_mul_i32 s48, s12, s11
	s_cvt_f32_u32 s2, s3
	s_mul_i32 s33, s48, s10
	s_delay_alu instid0(SALU_CYCLE_2) | instskip(NEXT) | instid1(TRANS32_DEP_1)
	v_rcp_iflag_f32_e32 v1, s2
	v_readfirstlane_b32 s2, v1
	s_mul_f32 s2, s2, 0x4f7ffffe
	s_wait_alu 0xfffe
	s_delay_alu instid0(SALU_CYCLE_2) | instskip(SKIP_2) | instid1(SALU_CYCLE_1)
	s_cvt_u32_f32 s20, s2
	s_sub_co_i32 s2, 0, s3
	s_wait_alu 0xfffe
	s_mul_i32 s2, s2, s20
	s_wait_alu 0xfffe
	s_mul_hi_u32 s21, s20, s2
	s_abs_i32 s2, ttmp9
	s_add_co_i32 s20, s20, s21
	s_wait_alu 0xfffe
	s_mul_hi_u32 s20, s2, s20
	s_delay_alu instid0(SALU_CYCLE_1) | instskip(SKIP_2) | instid1(SALU_CYCLE_1)
	s_mul_i32 s21, s20, s3
	s_add_co_i32 s22, s20, 1
	s_sub_co_i32 s21, s2, s21
	s_sub_co_i32 s23, s21, s3
	s_cmp_ge_u32 s21, s3
	s_cselect_b32 s20, s22, s20
	s_cselect_b32 s21, s23, s21
	s_add_co_i32 s22, s20, 1
	s_cmp_ge_u32 s21, s3
	s_mul_i32 s21, s8, s7
	s_cselect_b32 s22, s22, s20
	s_abs_i32 s20, s7
	s_abs_i32 s7, s21
	s_cvt_f32_u32 s3, s20
	s_cvt_f32_u32 s23, s7
	s_wait_alu 0xfffe
	s_delay_alu instid0(SALU_CYCLE_1) | instskip(NEXT) | instid1(SALU_CYCLE_1)
	v_rcp_iflag_f32_e32 v1, s3
	v_rcp_iflag_f32_e32 v2, s23
	s_mov_b32 s3, 0
	s_delay_alu instid0(TRANS32_DEP_2) | instskip(NEXT) | instid1(TRANS32_DEP_1)
	v_readfirstlane_b32 s24, v1
	v_readfirstlane_b32 s23, v2
	v_cmpx_gt_i32_e64 s33, v0
	s_cbranch_execz .LBB66_22
; %bb.1:
	s_mul_f32 s24, s24, 0x4f7ffffe
	s_ashr_i32 s26, ttmp9, 31
	s_ashr_i32 s43, s8, 31
	s_mul_f32 s28, s23, 0x4f7ffffe
	s_cvt_u32_f32 s24, s24
	s_sub_co_i32 s25, 0, s20
	s_xor_b32 s27, s26, s43
	s_cvt_u32_f32 s28, s28
	s_xor_b32 s22, s22, s27
	s_mul_i32 s25, s25, s24
	s_wait_alu 0xfffe
	s_sub_co_i32 s27, s22, s27
	s_mul_hi_u32 s23, s24, s25
	s_sub_co_i32 s29, 0, s7
	s_abs_i32 s22, s27
	s_wait_alu 0xfffe
	s_add_co_i32 s24, s24, s23
	s_mov_b32 s23, s3
	s_mov_b32 s25, s3
	s_mul_i32 s29, s29, s28
	s_wait_alu 0xfffe
	s_mul_u64 s[24:25], s[22:23], s[24:25]
	s_mul_hi_u32 s23, s28, s29
	s_ashr_i32 s30, s27, 31
	s_wait_alu 0xfffe
	s_add_co_i32 s24, s28, s23
	s_mul_i32 s23, s25, s20
	s_mul_i32 s27, s27, s8
	s_wait_alu 0xfffe
	s_sub_co_i32 s22, s22, s23
	s_ashr_i32 s21, s21, 31
	s_sub_co_i32 s44, ttmp9, s27
	s_wait_alu 0xfffe
	s_sub_co_i32 s23, s22, s20
	s_cmp_ge_u32 s22, s20
	s_mov_b32 s25, s3
	s_wait_alu 0xfffe
	s_cselect_b32 s27, s23, s22
	s_mul_u64 s[22:23], s[2:3], s[24:25]
	s_clause 0x1
	s_load_b64 s[34:35], s[0:1], 0x108
	s_load_b32 s49, s[0:1], 0x11c
	s_sub_co_i32 s22, s27, s20
	s_cmp_ge_u32 s27, s20
	s_mov_b32 s36, s4
	s_wait_alu 0xfffe
	s_cselect_b32 s20, s22, s27
	s_xor_b32 s22, s26, s21
	s_xor_b32 s20, s20, s30
	s_mov_b32 s40, s9
	s_sub_co_i32 s46, s20, s30
	s_mul_i32 s20, s23, s7
	s_load_b128 s[28:31], s[0:1], 0xf8
	s_sub_co_i32 s2, s2, s20
	s_add_co_i32 s20, s23, 1
	s_wait_alu 0xfffe
	s_sub_co_i32 s21, s2, s7
	s_cmp_ge_u32 s2, s7
	s_mov_b32 s38, s5
	s_cselect_b32 s20, s20, s23
	s_cselect_b32 s2, s21, s2
	s_add_co_i32 s21, s20, 1
	s_wait_alu 0xfffe
	s_cmp_ge_u32 s2, s7
	s_mov_b32 s42, s8
	s_cselect_b32 s2, s21, s20
	s_wait_kmcnt 0x0
	s_mul_i32 s20, s35, s9
	s_wait_alu 0xfffe
	s_xor_b32 s2, s2, s22
	s_ashr_i32 s47, s46, 31
	s_ashr_i32 s21, s20, 31
	s_wait_alu 0xfffe
	s_sub_co_i32 s50, s2, s22
	s_mul_u64 s[52:53], s[46:47], s[20:21]
	s_load_b256 s[20:27], s[0:1], 0x0
	s_ashr_i32 s37, s4, 31
	s_ashr_i32 s39, s5, 31
	;; [unrolled: 1-line block ×4, first 2 shown]
	s_mul_u64 s[54:55], s[38:39], s[36:37]
	s_mul_u64 s[4:5], s[50:51], s[40:41]
	s_ashr_i32 s7, s6, 31
	s_add_nc_u64 s[4:5], s[4:5], s[52:53]
	s_mul_u64 s[52:53], s[54:55], s[6:7]
	s_mul_i32 s54, s35, s8
	s_mul_u64 s[50:51], s[50:51], s[42:43]
	s_ashr_i32 s45, s44, 31
	s_ashr_i32 s55, s54, 31
	;; [unrolled: 1-line block ×3, first 2 shown]
	s_mov_b32 s56, s10
	s_ashr_i32 s43, s11, 31
	s_mov_b32 s42, s11
	s_mul_u64 s[46:47], s[46:47], s[54:55]
	s_mul_u64 s[54:55], s[42:43], s[56:57]
	s_add_nc_u64 s[50:51], s[50:51], s[44:45]
	s_ashr_i32 s45, s12, 31
	s_mov_b32 s44, s12
	s_add_nc_u64 s[56:57], s[50:51], s[46:47]
	s_mul_u64 s[54:55], s[54:55], s[44:45]
	s_wait_kmcnt 0x0
	v_cmp_neq_f64_e64 s2, s[24:25], 1.0
	v_cmp_neq_f64_e64 s58, s[26:27], 0
	s_mul_u64 s[4:5], s[52:53], s[4:5]
	s_mul_u64 s[54:55], s[54:55], s[56:57]
	s_lshl_b64 s[52:53], s[4:5], 1
	s_ashr_i32 s35, s34, 31
	s_lshl_b64 s[54:55], s[54:55], 1
	s_load_b64 s[56:57], s[0:1], 0x20
	s_ashr_i32 s5, s30, 31
	s_ashr_i32 s47, s31, 31
	s_cmp_gt_i32 s9, 0
	s_add_nc_u64 s[8:9], s[20:21], s[52:53]
	s_cselect_b32 s43, -1, 0
	s_cmp_gt_i32 s30, 0
	s_mov_b32 s46, s31
	s_cselect_b32 s60, -1, 0
	s_cmp_gt_i32 s31, 0
	s_cselect_b32 s61, -1, 0
	s_cmp_gt_i32 s34, 0
	s_cselect_b32 s62, -1, 0
	s_abs_i32 s12, s12
	s_abs_i32 s1, s11
	s_cvt_f32_u32 s0, s12
	s_cvt_f32_u32 s4, s1
	s_abs_i32 s63, s48
	s_and_b32 s65, s49, 0xffff
	v_rcp_iflag_f32_e32 v1, s0
	v_rcp_iflag_f32_e32 v2, s4
	s_cvt_f32_u32 s0, s63
	s_mov_b32 s4, s30
	s_ashr_i32 s67, s48, 31
	s_wait_kmcnt 0x0
	s_add_nc_u64 s[10:11], s[56:57], s[54:55]
	s_delay_alu instid0(TRANS32_DEP_2) | instskip(SKIP_2) | instid1(TRANS32_DEP_2)
	v_readfirstlane_b32 s20, v1
	s_wait_alu 0xfffe
	v_rcp_iflag_f32_e32 v1, s0
	v_readfirstlane_b32 s21, v2
	s_or_b32 s64, s2, s58
	v_mov_b32_e32 v2, 0
	s_mul_f32 s0, s20, 0x4f7ffffe
	s_sub_co_i32 s20, 0, s12
	s_mul_f32 s2, s21, 0x4f7ffffe
	s_sub_co_i32 s21, 0, s1
	s_wait_alu 0xfffe
	s_cvt_u32_f32 s0, s0
	v_readfirstlane_b32 s30, v1
	s_cvt_u32_f32 s2, s2
	s_wait_alu 0xfffe
	s_mul_i32 s20, s20, s0
	s_delay_alu instid0(SALU_CYCLE_1)
	s_mul_hi_u32 s20, s0, s20
	s_mul_f32 s49, s30, 0x4f7ffffe
	s_mul_i32 s21, s21, s2
	s_mul_u64 s[30:31], s[34:35], s[46:47]
	s_mul_hi_u32 s21, s2, s21
	s_add_co_i32 s47, s0, s20
	s_cvt_u32_f32 s0, s49
	s_mul_u64 s[48:49], s[30:31], s[4:5]
	s_add_co_i32 s66, s2, s21
	s_sub_co_i32 s2, 0, s63
	s_mul_u64 s[20:21], s[48:49], s[50:51]
	s_wait_alu 0xfffe
	s_mul_i32 s2, s2, s0
	s_mul_u64 s[20:21], s[20:21], s[40:41]
	s_wait_alu 0xfffe
	s_mul_hi_u32 s2, s0, s2
	s_lshl_b64 s[20:21], s[20:21], 1
	s_wait_alu 0xfffe
	s_add_co_i32 s5, s0, s2
	s_add_nc_u64 s[20:21], s[22:23], s[20:21]
	s_lshl_b64 s[22:23], s[48:49], 1
	s_lshl_b64 s[30:31], s[30:31], 1
	s_lshl_b64 s[48:49], s[34:35], 1
	s_mov_b32 s35, 0
	s_branch .LBB66_3
.LBB66_2:                               ;   in Loop: Header=BB66_3 Depth=1
	v_add_nc_u32_e32 v0, s65, v0
	s_delay_alu instid0(VALU_DEP_1) | instskip(SKIP_1) | instid1(SALU_CYCLE_1)
	v_cmp_le_i32_e32 vcc_lo, s33, v0
	s_or_b32 s35, vcc_lo, s35
	s_and_not1_b32 exec_lo, exec_lo, s35
	s_cbranch_execz .LBB66_22
.LBB66_3:                               ; =>This Loop Header: Depth=1
                                        ;     Child Loop BB66_6 Depth 2
                                        ;       Child Loop BB66_9 Depth 3
                                        ;         Child Loop BB66_12 Depth 4
                                        ;           Child Loop BB66_15 Depth 5
	v_sub_nc_u32_e32 v1, 0, v0
	s_delay_alu instid0(VALU_DEP_1) | instskip(NEXT) | instid1(VALU_DEP_1)
	v_max_i32_e32 v1, v0, v1
	v_mul_hi_u32 v3, v1, s47
	s_delay_alu instid0(VALU_DEP_1) | instskip(NEXT) | instid1(VALU_DEP_1)
	v_mul_lo_u32 v4, v3, s12
	v_sub_nc_u32_e32 v4, v1, v4
	s_delay_alu instid0(VALU_DEP_1) | instskip(SKIP_2) | instid1(VALU_DEP_2)
	v_subrev_nc_u32_e32 v6, s12, v4
	v_cmp_le_u32_e32 vcc_lo, s12, v4
	s_wait_alu 0xfffd
	v_dual_cndmask_b32 v4, v4, v6 :: v_dual_add_nc_u32 v5, 1, v3
	s_delay_alu instid0(VALU_DEP_1) | instskip(SKIP_1) | instid1(VALU_DEP_3)
	v_cndmask_b32_e32 v3, v3, v5, vcc_lo
	v_ashrrev_i32_e32 v5, 31, v0
	v_cmp_le_u32_e32 vcc_lo, s12, v4
	s_delay_alu instid0(VALU_DEP_3) | instskip(NEXT) | instid1(VALU_DEP_3)
	v_add_nc_u32_e32 v6, 1, v3
	v_xor_b32_e32 v7, s45, v5
	s_wait_alu 0xfffd
	s_delay_alu instid0(VALU_DEP_2) | instskip(SKIP_2) | instid1(VALU_DEP_2)
	v_cndmask_b32_e32 v3, v3, v6, vcc_lo
	s_wait_alu 0xfffe
	v_mul_hi_u32 v6, v1, s5
	v_xor_b32_e32 v3, v3, v7
	s_delay_alu instid0(VALU_DEP_2) | instskip(NEXT) | instid1(VALU_DEP_2)
	v_mul_lo_u32 v8, v6, s63
	v_sub_nc_u32_e32 v3, v3, v7
	s_delay_alu instid0(VALU_DEP_1) | instskip(NEXT) | instid1(VALU_DEP_3)
	v_sub_nc_u32_e32 v4, 0, v3
	v_sub_nc_u32_e32 v1, v1, v8
	s_delay_alu instid0(VALU_DEP_2) | instskip(NEXT) | instid1(VALU_DEP_2)
	v_max_i32_e32 v4, v3, v4
	v_subrev_nc_u32_e32 v8, s63, v1
	v_cmp_le_u32_e32 vcc_lo, s63, v1
	s_delay_alu instid0(VALU_DEP_3) | instskip(SKIP_1) | instid1(VALU_DEP_3)
	v_mul_hi_u32 v7, v4, s66
	s_wait_alu 0xfffd
	v_cndmask_b32_e32 v1, v1, v8, vcc_lo
	v_xor_b32_e32 v8, s67, v5
	s_delay_alu instid0(VALU_DEP_3) | instskip(NEXT) | instid1(VALU_DEP_1)
	v_mul_lo_u32 v7, v7, s1
	v_sub_nc_u32_e32 v4, v4, v7
	v_add_nc_u32_e32 v7, 1, v6
	s_delay_alu instid0(VALU_DEP_2) | instskip(NEXT) | instid1(VALU_DEP_2)
	v_subrev_nc_u32_e32 v9, s1, v4
	v_cndmask_b32_e32 v6, v6, v7, vcc_lo
	v_cmp_le_u32_e64 s0, s1, v4
	v_cmp_le_u32_e32 vcc_lo, s63, v1
	s_delay_alu instid0(VALU_DEP_3) | instskip(SKIP_1) | instid1(VALU_DEP_3)
	v_add_nc_u32_e32 v7, 1, v6
	s_wait_alu 0xf1ff
	v_cndmask_b32_e64 v4, v4, v9, s0
	s_wait_alu 0xfffd
	s_delay_alu instid0(VALU_DEP_2) | instskip(NEXT) | instid1(VALU_DEP_2)
	v_cndmask_b32_e32 v1, v6, v7, vcc_lo
	v_subrev_nc_u32_e32 v5, s1, v4
	v_cmp_le_u32_e32 vcc_lo, s1, v4
	v_ashrrev_i32_e32 v6, 31, v3
	v_mul_lo_u32 v3, v3, s44
	v_xor_b32_e32 v1, v1, v8
	s_wait_alu 0xfffd
	v_cndmask_b32_e32 v4, v4, v5, vcc_lo
	s_and_not1_b32 vcc_lo, exec_lo, s43
	s_delay_alu instid0(VALU_DEP_2) | instskip(NEXT) | instid1(VALU_DEP_2)
	v_sub_nc_u32_e32 v11, v1, v8
	v_xor_b32_e32 v4, v4, v6
	v_sub_nc_u32_e32 v5, v0, v3
	s_delay_alu instid0(VALU_DEP_2)
	v_sub_nc_u32_e32 v6, v4, v6
	s_wait_alu 0xfffe
	s_cbranch_vccnz .LBB66_17
; %bb.4:                                ;   in Loop: Header=BB66_3 Depth=1
	v_mul_lo_u32 v1, v11, s13
	s_delay_alu instid0(VALU_DEP_2)
	v_mul_lo_u32 v8, v6, s14
	v_mul_lo_u32 v9, v5, s15
	v_mov_b32_e32 v3, 0
	v_mov_b32_e32 v4, 0
	s_mov_b32 s2, 0
	s_mov_b64 s[50:51], s[20:21]
	v_subrev_nc_u32_e32 v7, s19, v1
	v_subrev_nc_u32_e32 v8, s28, v8
	;; [unrolled: 1-line block ×3, first 2 shown]
	s_branch .LBB66_6
.LBB66_5:                               ;   in Loop: Header=BB66_6 Depth=2
	s_add_co_i32 s2, s2, 1
	s_add_nc_u64 s[50:51], s[50:51], s[22:23]
	s_wait_alu 0xfffe
	s_cmp_eq_u32 s2, s40
	s_cbranch_scc1 .LBB66_18
.LBB66_6:                               ;   Parent Loop BB66_3 Depth=1
                                        ; =>  This Loop Header: Depth=2
                                        ;       Child Loop BB66_9 Depth 3
                                        ;         Child Loop BB66_12 Depth 4
                                        ;           Child Loop BB66_15 Depth 5
	s_and_not1_b32 vcc_lo, exec_lo, s60
	s_wait_alu 0xfffe
	s_cbranch_vccnz .LBB66_5
; %bb.7:                                ;   in Loop: Header=BB66_6 Depth=2
	s_mul_u64 s[52:53], s[2:3], s[36:37]
	s_mov_b32 s41, 0
	s_mov_b64 s[54:55], s[50:51]
	s_branch .LBB66_9
.LBB66_8:                               ;   in Loop: Header=BB66_9 Depth=3
	s_add_co_i32 s41, s41, 1
	s_add_nc_u64 s[54:55], s[54:55], s[30:31]
	s_wait_alu 0xfffe
	s_cmp_eq_u32 s41, s4
	s_cbranch_scc1 .LBB66_5
.LBB66_9:                               ;   Parent Loop BB66_3 Depth=1
                                        ;     Parent Loop BB66_6 Depth=2
                                        ; =>    This Loop Header: Depth=3
                                        ;         Child Loop BB66_12 Depth 4
                                        ;           Child Loop BB66_15 Depth 5
	s_and_not1_b32 vcc_lo, exec_lo, s61
	s_wait_alu 0xfffe
	s_cbranch_vccnz .LBB66_8
; %bb.10:                               ;   in Loop: Header=BB66_9 Depth=3
	v_mad_co_u64_u32 v[13:14], null, s41, s16, v[7:8]
	s_mov_b32 s68, 0
	s_mov_b64 s[56:57], s[54:55]
	v_add_co_u32 v1, s0, s52, v13
	s_wait_alu 0xf1ff
	v_add_co_ci_u32_e64 v9, null, s53, 0, s0
	v_cmp_gt_i32_e32 vcc_lo, 0, v13
	s_delay_alu instid0(VALU_DEP_3) | instskip(SKIP_1) | instid1(VALU_DEP_4)
	v_mul_lo_u32 v15, v1, s39
	v_cmp_le_i32_e64 s0, s36, v13
	v_mul_lo_u32 v14, v9, s38
	v_mad_co_u64_u32 v[9:10], null, v1, s38, 0
	s_or_b32 s69, vcc_lo, s0
	v_add3_u32 v10, v10, v15, v14
	s_branch .LBB66_12
.LBB66_11:                              ;   in Loop: Header=BB66_12 Depth=4
	s_add_co_i32 s68, s68, 1
	s_add_nc_u64 s[56:57], s[56:57], s[48:49]
	s_wait_alu 0xfffe
	s_cmp_eq_u32 s68, s46
	s_cbranch_scc1 .LBB66_8
.LBB66_12:                              ;   Parent Loop BB66_3 Depth=1
                                        ;     Parent Loop BB66_6 Depth=2
                                        ;       Parent Loop BB66_9 Depth=3
                                        ; =>      This Loop Header: Depth=4
                                        ;           Child Loop BB66_15 Depth 5
	s_and_not1_b32 vcc_lo, exec_lo, s62
	s_wait_alu 0xfffe
	s_cbranch_vccnz .LBB66_11
; %bb.13:                               ;   in Loop: Header=BB66_12 Depth=4
	v_mad_co_u64_u32 v[13:14], null, s68, s17, v[8:9]
	s_mov_b64 s[58:59], s[56:57]
	s_mov_b32 s71, s34
	v_add_co_u32 v1, vcc_lo, v9, v13
	s_wait_alu 0xfffd
	v_add_co_ci_u32_e64 v14, null, 0, v10, vcc_lo
	v_cmp_gt_i32_e32 vcc_lo, 0, v13
	s_delay_alu instid0(VALU_DEP_3) | instskip(SKIP_1) | instid1(VALU_DEP_4)
	v_mul_lo_u32 v17, v1, s7
	v_cmp_le_i32_e64 s0, s38, v13
	v_mul_lo_u32 v16, v14, s6
	v_mad_co_u64_u32 v[14:15], null, v1, s6, 0
	v_mov_b32_e32 v1, v12
	s_delay_alu instid0(VALU_DEP_4) | instskip(SKIP_2) | instid1(VALU_DEP_2)
	s_or_b32 s0, vcc_lo, s0
	s_wait_alu 0xfffe
	s_or_b32 s70, s69, s0
	v_add3_u32 v15, v15, v17, v16
	s_delay_alu instid0(VALU_DEP_1) | instskip(NEXT) | instid1(VALU_DEP_1)
	v_lshlrev_b64_e32 v[13:14], 1, v[14:15]
	v_add_co_u32 v13, vcc_lo, s8, v13
	s_wait_alu 0xfffd
	s_delay_alu instid0(VALU_DEP_2)
	v_add_co_ci_u32_e64 v14, null, s9, v14, vcc_lo
	s_branch .LBB66_15
.LBB66_14:                              ;   in Loop: Header=BB66_15 Depth=5
	s_wait_alu 0xfffe
	s_or_b32 exec_lo, exec_lo, s0
	v_add_nc_u32_e32 v1, s18, v1
	s_add_co_i32 s71, s71, -1
	s_add_nc_u64 s[58:59], s[58:59], 2
	s_cmp_eq_u32 s71, 0
	s_cbranch_scc1 .LBB66_11
.LBB66_15:                              ;   Parent Loop BB66_3 Depth=1
                                        ;     Parent Loop BB66_6 Depth=2
                                        ;       Parent Loop BB66_9 Depth=3
                                        ;         Parent Loop BB66_12 Depth=4
                                        ; =>        This Inner Loop Header: Depth=5
	v_cmp_gt_i32_e32 vcc_lo, 0, v1
	v_cmp_le_i32_e64 s0, s6, v1
	s_or_b32 s0, vcc_lo, s0
	s_wait_alu 0xfffe
	s_nor_b32 s72, s70, s0
	s_wait_alu 0xfffe
	s_and_saveexec_b32 s0, s72
	s_cbranch_execz .LBB66_14
; %bb.16:                               ;   in Loop: Header=BB66_15 Depth=5
	v_lshlrev_b64_e32 v[15:16], 1, v[1:2]
	s_load_u16 s72, s[58:59], 0x0
	s_delay_alu instid0(VALU_DEP_1) | instskip(SKIP_1) | instid1(VALU_DEP_2)
	v_add_co_u32 v15, vcc_lo, v13, v15
	s_wait_alu 0xfffd
	v_add_co_ci_u32_e64 v16, null, v14, v16, vcc_lo
	global_load_u16 v15, v[15:16], off
	s_wait_kmcnt 0x0
	s_lshl_b32 s72, s72, 16
	s_wait_loadcnt 0x0
	v_lshlrev_b32_e32 v17, 16, v15
	s_wait_alu 0xfffe
	v_cvt_f64_f32_e32 v[15:16], s72
	s_delay_alu instid0(VALU_DEP_2) | instskip(NEXT) | instid1(VALU_DEP_1)
	v_cvt_f64_f32_e32 v[17:18], v17
	v_fma_f64 v[3:4], v[17:18], v[15:16], v[3:4]
	s_branch .LBB66_14
.LBB66_17:                              ;   in Loop: Header=BB66_3 Depth=1
	v_mov_b32_e32 v3, 0
	v_mov_b32_e32 v4, 0
.LBB66_18:                              ;   in Loop: Header=BB66_3 Depth=1
	v_ashrrev_i32_e32 v7, 31, v6
	s_and_b32 vcc_lo, exec_lo, s64
	s_mov_b32 s0, -1
	s_delay_alu instid0(VALU_DEP_1) | instskip(SKIP_1) | instid1(VALU_DEP_1)
	v_mad_co_i64_i32 v[7:8], null, v11, s42, v[6:7]
	v_ashrrev_i32_e32 v6, 31, v5
	v_mad_co_u64_u32 v[5:6], null, v7, s44, v[5:6]
	v_mul_lo_u32 v1, v7, s45
	s_delay_alu instid0(VALU_DEP_4) | instskip(NEXT) | instid1(VALU_DEP_1)
	v_mul_lo_u32 v7, v8, s44
	v_add3_u32 v6, v7, v6, v1
	s_delay_alu instid0(VALU_DEP_1)
	v_lshlrev_b64_e32 v[5:6], 1, v[5:6]
	s_wait_alu 0xfffe
	s_cbranch_vccz .LBB66_20
; %bb.19:                               ;   in Loop: Header=BB66_3 Depth=1
	s_delay_alu instid0(VALU_DEP_1) | instskip(SKIP_1) | instid1(VALU_DEP_2)
	v_add_co_u32 v7, vcc_lo, s10, v5
	s_wait_alu 0xfffd
	v_add_co_ci_u32_e64 v8, null, s11, v6, vcc_lo
	global_load_u16 v1, v[7:8], off
	s_wait_loadcnt 0x0
	v_lshlrev_b32_e32 v1, 16, v1
	s_delay_alu instid0(VALU_DEP_1) | instskip(NEXT) | instid1(VALU_DEP_1)
	v_cvt_f64_f32_e32 v[9:10], v1
	v_mul_f64_e32 v[9:10], s[26:27], v[9:10]
	s_delay_alu instid0(VALU_DEP_1) | instskip(NEXT) | instid1(VALU_DEP_1)
	v_fma_f64 v[9:10], s[24:25], v[3:4], v[9:10]
	v_cvt_f32_f64_e32 v1, v[9:10]
	s_delay_alu instid0(VALU_DEP_1) | instskip(SKIP_2) | instid1(VALU_DEP_3)
	v_and_b32_e32 v9, 0x7f800000, v1
	v_and_b32_e32 v10, 0xffff, v1
	v_lshrrev_b32_e32 v1, 16, v1
	v_cmp_eq_u32_e32 vcc_lo, 0x7f800000, v9
	s_delay_alu instid0(VALU_DEP_3) | instskip(SKIP_4) | instid1(VALU_DEP_1)
	v_cmp_ne_u32_e64 s0, 0, v10
	s_and_b32 s0, vcc_lo, s0
	s_wait_alu 0xfffe
	v_cndmask_b32_e64 v9, 0, 1, s0
	s_mov_b32 s0, 0
	v_or_b32_e32 v1, v1, v9
	global_store_b16 v[7:8], v1, off
.LBB66_20:                              ;   in Loop: Header=BB66_3 Depth=1
	s_wait_alu 0xfffe
	s_and_not1_b32 vcc_lo, exec_lo, s0
	s_wait_alu 0xfffe
	s_cbranch_vccnz .LBB66_2
; %bb.21:                               ;   in Loop: Header=BB66_3 Depth=1
	v_cvt_f32_f64_e32 v1, v[3:4]
	s_delay_alu instid0(VALU_DEP_1) | instskip(SKIP_2) | instid1(VALU_DEP_3)
	v_and_b32_e32 v3, 0x7f800000, v1
	v_and_b32_e32 v4, 0xffff, v1
	v_lshrrev_b32_e32 v1, 16, v1
	v_cmp_eq_u32_e32 vcc_lo, 0x7f800000, v3
	s_delay_alu instid0(VALU_DEP_3) | instskip(SKIP_3) | instid1(VALU_DEP_1)
	v_cmp_ne_u32_e64 s0, 0, v4
	s_and_b32 s0, vcc_lo, s0
	s_wait_alu 0xfffe
	v_cndmask_b32_e64 v3, 0, 1, s0
	v_or_b32_e32 v1, v1, v3
	v_add_co_u32 v3, vcc_lo, s10, v5
	s_wait_alu 0xfffd
	v_add_co_ci_u32_e64 v4, null, s11, v6, vcc_lo
	global_store_b16 v[3:4], v1, off
	s_branch .LBB66_2
.LBB66_22:
	s_endpgm
	.section	.rodata,"a",@progbits
	.p2align	6, 0x0
	.amdhsa_kernel naive_conv_ab_packed_fwd_ncdhw_ushort_double_ushort_0
		.amdhsa_group_segment_fixed_size 0
		.amdhsa_private_segment_fixed_size 0
		.amdhsa_kernarg_size 528
		.amdhsa_user_sgpr_count 2
		.amdhsa_user_sgpr_dispatch_ptr 0
		.amdhsa_user_sgpr_queue_ptr 0
		.amdhsa_user_sgpr_kernarg_segment_ptr 1
		.amdhsa_user_sgpr_dispatch_id 0
		.amdhsa_user_sgpr_private_segment_size 0
		.amdhsa_wavefront_size32 1
		.amdhsa_uses_dynamic_stack 0
		.amdhsa_enable_private_segment 0
		.amdhsa_system_sgpr_workgroup_id_x 1
		.amdhsa_system_sgpr_workgroup_id_y 0
		.amdhsa_system_sgpr_workgroup_id_z 0
		.amdhsa_system_sgpr_workgroup_info 0
		.amdhsa_system_vgpr_workitem_id 0
		.amdhsa_next_free_vgpr 19
		.amdhsa_next_free_sgpr 73
		.amdhsa_reserve_vcc 1
		.amdhsa_float_round_mode_32 0
		.amdhsa_float_round_mode_16_64 0
		.amdhsa_float_denorm_mode_32 3
		.amdhsa_float_denorm_mode_16_64 3
		.amdhsa_fp16_overflow 0
		.amdhsa_workgroup_processor_mode 1
		.amdhsa_memory_ordered 1
		.amdhsa_forward_progress 1
		.amdhsa_inst_pref_size 18
		.amdhsa_round_robin_scheduling 0
		.amdhsa_exception_fp_ieee_invalid_op 0
		.amdhsa_exception_fp_denorm_src 0
		.amdhsa_exception_fp_ieee_div_zero 0
		.amdhsa_exception_fp_ieee_overflow 0
		.amdhsa_exception_fp_ieee_underflow 0
		.amdhsa_exception_fp_ieee_inexact 0
		.amdhsa_exception_int_div_zero 0
	.end_amdhsa_kernel
	.text
.Lfunc_end66:
	.size	naive_conv_ab_packed_fwd_ncdhw_ushort_double_ushort_0, .Lfunc_end66-naive_conv_ab_packed_fwd_ncdhw_ushort_double_ushort_0
                                        ; -- End function
	.set naive_conv_ab_packed_fwd_ncdhw_ushort_double_ushort_0.num_vgpr, 19
	.set naive_conv_ab_packed_fwd_ncdhw_ushort_double_ushort_0.num_agpr, 0
	.set naive_conv_ab_packed_fwd_ncdhw_ushort_double_ushort_0.numbered_sgpr, 73
	.set naive_conv_ab_packed_fwd_ncdhw_ushort_double_ushort_0.num_named_barrier, 0
	.set naive_conv_ab_packed_fwd_ncdhw_ushort_double_ushort_0.private_seg_size, 0
	.set naive_conv_ab_packed_fwd_ncdhw_ushort_double_ushort_0.uses_vcc, 1
	.set naive_conv_ab_packed_fwd_ncdhw_ushort_double_ushort_0.uses_flat_scratch, 0
	.set naive_conv_ab_packed_fwd_ncdhw_ushort_double_ushort_0.has_dyn_sized_stack, 0
	.set naive_conv_ab_packed_fwd_ncdhw_ushort_double_ushort_0.has_recursion, 0
	.set naive_conv_ab_packed_fwd_ncdhw_ushort_double_ushort_0.has_indirect_call, 0
	.section	.AMDGPU.csdata,"",@progbits
; Kernel info:
; codeLenInByte = 2244
; TotalNumSgprs: 75
; NumVgprs: 19
; ScratchSize: 0
; MemoryBound: 0
; FloatMode: 240
; IeeeMode: 1
; LDSByteSize: 0 bytes/workgroup (compile time only)
; SGPRBlocks: 0
; VGPRBlocks: 2
; NumSGPRsForWavesPerEU: 75
; NumVGPRsForWavesPerEU: 19
; Occupancy: 16
; WaveLimiterHint : 1
; COMPUTE_PGM_RSRC2:SCRATCH_EN: 0
; COMPUTE_PGM_RSRC2:USER_SGPR: 2
; COMPUTE_PGM_RSRC2:TRAP_HANDLER: 0
; COMPUTE_PGM_RSRC2:TGID_X_EN: 1
; COMPUTE_PGM_RSRC2:TGID_Y_EN: 0
; COMPUTE_PGM_RSRC2:TGID_Z_EN: 0
; COMPUTE_PGM_RSRC2:TIDIG_COMP_CNT: 0
	.text
	.protected	naive_conv_ab_nonpacked_fwd_ncdhw_ushort_double_ushort_0 ; -- Begin function naive_conv_ab_nonpacked_fwd_ncdhw_ushort_double_ushort_0
	.globl	naive_conv_ab_nonpacked_fwd_ncdhw_ushort_double_ushort_0
	.p2align	8
	.type	naive_conv_ab_nonpacked_fwd_ncdhw_ushort_double_ushort_0,@function
naive_conv_ab_nonpacked_fwd_ncdhw_ushort_double_ushort_0: ; @naive_conv_ab_nonpacked_fwd_ncdhw_ushort_double_ushort_0
; %bb.0:
	s_load_b512 s[4:19], s[0:1], 0xb8
	s_wait_kmcnt 0x0
	s_abs_i32 s3, s8
	s_mul_i32 s79, s12, s11
	s_cvt_f32_u32 s2, s3
	s_delay_alu instid0(SALU_CYCLE_3) | instskip(NEXT) | instid1(TRANS32_DEP_1)
	v_rcp_iflag_f32_e32 v1, s2
	v_readfirstlane_b32 s2, v1
	s_mul_f32 s2, s2, 0x4f7ffffe
	s_wait_alu 0xfffe
	s_delay_alu instid0(SALU_CYCLE_2) | instskip(SKIP_2) | instid1(SALU_CYCLE_1)
	s_cvt_u32_f32 s20, s2
	s_sub_co_i32 s2, 0, s3
	s_wait_alu 0xfffe
	s_mul_i32 s2, s2, s20
	s_wait_alu 0xfffe
	s_mul_hi_u32 s21, s20, s2
	s_abs_i32 s2, ttmp9
	s_add_co_i32 s20, s20, s21
	s_wait_alu 0xfffe
	s_mul_hi_u32 s20, s2, s20
	s_delay_alu instid0(SALU_CYCLE_1) | instskip(SKIP_2) | instid1(SALU_CYCLE_1)
	s_mul_i32 s21, s20, s3
	s_add_co_i32 s22, s20, 1
	s_sub_co_i32 s21, s2, s21
	s_sub_co_i32 s23, s21, s3
	s_cmp_ge_u32 s21, s3
	s_cselect_b32 s22, s22, s20
	s_cselect_b32 s20, s23, s21
	s_add_co_i32 s21, s22, 1
	s_cmp_ge_u32 s20, s3
	s_mul_i32 s20, s8, s7
	s_cselect_b32 s21, s21, s22
	s_abs_i32 s29, s7
	s_abs_i32 s28, s20
	s_cvt_f32_u32 s3, s29
	s_cvt_f32_u32 s7, s28
	s_mov_b32 s23, exec_lo
	s_wait_alu 0xfffe
	v_rcp_iflag_f32_e32 v1, s3
	v_rcp_iflag_f32_e32 v2, s7
	s_mul_i32 s7, s79, s10
	s_mov_b32 s3, 0
	s_delay_alu instid0(TRANS32_DEP_2) | instskip(NEXT) | instid1(TRANS32_DEP_1)
	v_readfirstlane_b32 s22, v1
	v_readfirstlane_b32 s10, v2
	s_wait_alu 0xfffe
	v_cmpx_gt_i32_e64 s7, v0
	s_cbranch_execz .LBB67_22
; %bb.1:
	s_mul_f32 s22, s22, 0x4f7ffffe
	s_ashr_i32 s33, ttmp9, 31
	s_ashr_i32 s23, s8, 31
	s_mul_f32 s10, s10, 0x4f7ffffe
	s_cvt_u32_f32 s25, s22
	s_sub_co_i32 s24, 0, s29
	s_xor_b32 s22, s33, s23
	s_cvt_u32_f32 s10, s10
	s_xor_b32 s21, s21, s22
	s_mul_i32 s24, s24, s25
	s_sub_co_i32 s21, s21, s22
	s_mul_hi_u32 s23, s25, s24
	s_sub_co_i32 s26, 0, s28
	s_abs_i32 s22, s21
	s_add_co_i32 s24, s25, s23
	s_mov_b32 s23, s3
	s_mov_b32 s25, s3
	s_mul_i32 s26, s26, s10
	s_mul_u64 s[24:25], s[22:23], s[24:25]
	s_mul_hi_u32 s23, s10, s26
	s_ashr_i32 s35, s21, 31
	s_add_co_i32 s30, s10, s23
	s_mul_i32 s10, s25, s29
	s_mul_i32 s21, s21, s8
	s_sub_co_i32 s8, s22, s10
	s_ashr_i32 s52, s20, 31
	s_sub_co_i32 s34, ttmp9, s21
	s_sub_co_i32 s10, s8, s29
	s_cmp_ge_u32 s8, s29
	s_mov_b32 s31, s3
	s_cselect_b32 s8, s10, s8
	s_mul_u64 s[30:31], s[2:3], s[30:31]
	s_sub_co_i32 s10, s8, s29
	s_cmp_ge_u32 s8, s29
	s_load_b512 s[36:51], s[0:1], 0x28
	s_cselect_b32 s8, s10, s8
	s_xor_b32 s10, s33, s52
	s_xor_b32 s8, s8, s35
	s_load_b128 s[72:75], s[0:1], 0xa8
	s_sub_co_i32 s70, s8, s35
	s_mul_i32 s8, s31, s28
	s_load_b512 s[52:67], s[0:1], 0x68
	s_sub_co_i32 s2, s2, s8
	s_add_co_i32 s8, s31, 1
	s_wait_alu 0xfffe
	s_sub_co_i32 s29, s2, s28
	s_cmp_ge_u32 s2, s28
	s_load_b256 s[20:27], s[0:1], 0x0
	s_cselect_b32 s8, s8, s31
	s_cselect_b32 s2, s29, s2
	s_add_co_i32 s29, s8, 1
	s_wait_alu 0xfffe
	s_cmp_ge_u32 s2, s28
	s_load_b64 s[82:83], s[0:1], 0x20
	s_cselect_b32 s2, s29, s8
	s_clause 0x2
	s_load_b128 s[28:31], s[0:1], 0xf8
	s_load_b32 s8, s[0:1], 0x108
	s_load_b32 s84, s[0:1], 0x11c
	s_xor_b32 s2, s2, s10
	s_ashr_i32 s71, s70, 31
	s_wait_alu 0xfffe
	s_sub_co_i32 s68, s2, s10
	s_ashr_i32 s35, s34, 31
	s_ashr_i32 s69, s68, 31
	s_wait_kmcnt 0x0
	s_mul_u64 s[46:47], s[46:47], s[70:71]
	s_mul_u64 s[44:45], s[44:45], s[68:69]
	;; [unrolled: 1-line block ×5, first 2 shown]
	s_lshl_b64 s[46:47], s[46:47], 1
	s_lshl_b64 s[44:45], s[44:45], 1
	;; [unrolled: 1-line block ×5, first 2 shown]
	v_cmp_neq_f64_e64 s2, s[24:25], 1.0
	v_cmp_neq_f64_e64 s78, s[26:27], 0
	s_cmp_gt_i32 s9, 0
	s_cselect_b32 s33, -1, 0
	s_cmp_gt_i32 s30, 0
	s_cselect_b32 s66, -1, 0
	;; [unrolled: 2-line block ×4, first 2 shown]
	s_abs_i32 s71, s12
	s_abs_i32 s72, s11
	s_cvt_f32_u32 s0, s71
	s_cvt_f32_u32 s10, s72
	s_abs_i32 s73, s79
	s_ashr_i32 s79, s79, 31
	v_rcp_iflag_f32_e32 v1, s0
	v_rcp_iflag_f32_e32 v2, s10
	s_add_nc_u64 s[0:1], s[20:21], s[46:47]
	s_cvt_f32_u32 s46, s73
	s_add_nc_u64 s[20:21], s[82:83], s[74:75]
	s_wait_alu 0xfffe
	s_add_nc_u64 s[10:11], s[0:1], s[44:45]
	s_add_nc_u64 s[0:1], s[20:21], s[76:77]
	s_sub_co_i32 s45, 0, s72
	s_wait_alu 0xfffe
	s_add_nc_u64 s[20:21], s[0:1], s[80:81]
	s_and_b32 s75, s84, 0xffff
	v_readfirstlane_b32 s47, v1
	v_rcp_iflag_f32_e32 v1, s46
	v_readfirstlane_b32 s1, v2
	s_ashr_i32 s76, s12, 31
	s_lshl_b64 s[48:49], s[48:49], 1
	s_mul_f32 s0, s47, 0x4f7ffffe
	s_lshl_b64 s[46:47], s[50:51], 1
	s_mul_f32 s1, s1, 0x4f7ffffe
	s_wait_alu 0xfffe
	s_cvt_u32_f32 s0, s0
	s_or_b32 s74, s2, s78
	v_readfirstlane_b32 s44, v1
	s_sub_co_i32 s2, 0, s71
	s_cvt_u32_f32 s1, s1
	s_wait_alu 0xfffe
	s_mul_i32 s2, s2, s0
	s_mul_f32 s44, s44, 0x4f7ffffe
	s_wait_alu 0xfffe
	s_mul_hi_u32 s2, s0, s2
	s_mul_i32 s45, s45, s1
	s_wait_alu 0xfffe
	s_add_co_i32 s77, s0, s2
	s_mul_hi_u32 s0, s1, s45
	s_cvt_u32_f32 s2, s44
	s_wait_alu 0xfffe
	s_add_co_i32 s78, s1, s0
	s_sub_co_i32 s0, 0, s73
	s_wait_alu 0xfffe
	s_mul_i32 s44, s0, s2
	s_mul_u64 s[0:1], s[56:57], s[34:35]
	s_mul_u64 s[34:35], s[58:59], s[68:69]
	s_wait_alu 0xfffe
	s_lshl_b64 s[0:1], s[0:1], 1
	s_lshl_b64 s[34:35], s[34:35], 1
	s_mul_hi_u32 s44, s2, s44
	s_wait_alu 0xfffe
	s_add_nc_u64 s[0:1], s[0:1], s[34:35]
	s_add_co_i32 s68, s2, s44
	s_wait_alu 0xfffe
	s_add_nc_u64 s[22:23], s[22:23], s[0:1]
	s_lshl_b64 s[34:35], s[54:55], 1
	s_lshl_b64 s[44:45], s[52:53], 1
	s_mov_b32 s69, 0
	s_branch .LBB67_3
.LBB67_2:                               ;   in Loop: Header=BB67_3 Depth=1
	v_add_nc_u32_e32 v0, s75, v0
	s_delay_alu instid0(VALU_DEP_1)
	v_cmp_le_i32_e32 vcc_lo, s7, v0
	s_or_b32 s69, vcc_lo, s69
	s_wait_alu 0xfffe
	s_and_not1_b32 exec_lo, exec_lo, s69
	s_cbranch_execz .LBB67_22
.LBB67_3:                               ; =>This Loop Header: Depth=1
                                        ;     Child Loop BB67_6 Depth 2
                                        ;       Child Loop BB67_9 Depth 3
                                        ;         Child Loop BB67_12 Depth 4
                                        ;           Child Loop BB67_15 Depth 5
	v_sub_nc_u32_e32 v1, 0, v0
	s_delay_alu instid0(VALU_DEP_1) | instskip(NEXT) | instid1(VALU_DEP_1)
	v_max_i32_e32 v1, v0, v1
	v_mul_hi_u32 v2, v1, s77
	s_delay_alu instid0(VALU_DEP_1) | instskip(NEXT) | instid1(VALU_DEP_1)
	v_mul_lo_u32 v3, v2, s71
	v_sub_nc_u32_e32 v3, v1, v3
	s_delay_alu instid0(VALU_DEP_1) | instskip(SKIP_2) | instid1(VALU_DEP_2)
	v_subrev_nc_u32_e32 v5, s71, v3
	v_cmp_le_u32_e32 vcc_lo, s71, v3
	s_wait_alu 0xfffd
	v_dual_cndmask_b32 v3, v3, v5 :: v_dual_add_nc_u32 v4, 1, v2
	s_delay_alu instid0(VALU_DEP_1) | instskip(SKIP_1) | instid1(VALU_DEP_3)
	v_cndmask_b32_e32 v2, v2, v4, vcc_lo
	v_ashrrev_i32_e32 v4, 31, v0
	v_cmp_le_u32_e32 vcc_lo, s71, v3
	s_delay_alu instid0(VALU_DEP_3) | instskip(NEXT) | instid1(VALU_DEP_3)
	v_add_nc_u32_e32 v5, 1, v2
	v_xor_b32_e32 v6, s76, v4
	v_xor_b32_e32 v4, s79, v4
	s_wait_alu 0xfffd
	s_delay_alu instid0(VALU_DEP_3) | instskip(SKIP_1) | instid1(VALU_DEP_1)
	v_cndmask_b32_e32 v2, v2, v5, vcc_lo
	v_mul_hi_u32 v5, v1, s68
	v_mul_lo_u32 v7, v5, s73
	s_delay_alu instid0(VALU_DEP_1) | instskip(NEXT) | instid1(VALU_DEP_1)
	v_sub_nc_u32_e32 v1, v1, v7
	v_subrev_nc_u32_e32 v7, s73, v1
	v_cmp_le_u32_e32 vcc_lo, s73, v1
	s_wait_alu 0xfffd
	s_delay_alu instid0(VALU_DEP_2) | instskip(SKIP_1) | instid1(VALU_DEP_1)
	v_cndmask_b32_e32 v1, v1, v7, vcc_lo
	v_xor_b32_e32 v2, v2, v6
	v_sub_nc_u32_e32 v2, v2, v6
	s_delay_alu instid0(VALU_DEP_1) | instskip(NEXT) | instid1(VALU_DEP_1)
	v_sub_nc_u32_e32 v3, 0, v2
	v_max_i32_e32 v3, v2, v3
	s_delay_alu instid0(VALU_DEP_1) | instskip(NEXT) | instid1(VALU_DEP_1)
	v_mul_hi_u32 v6, v3, s78
	v_mul_lo_u32 v6, v6, s72
	s_delay_alu instid0(VALU_DEP_1) | instskip(NEXT) | instid1(VALU_DEP_1)
	v_sub_nc_u32_e32 v3, v3, v6
	v_subrev_nc_u32_e32 v8, s72, v3
	v_cmp_le_u32_e64 s0, s72, v3
	s_wait_alu 0xf1ff
	s_delay_alu instid0(VALU_DEP_1) | instskip(NEXT) | instid1(VALU_DEP_1)
	v_cndmask_b32_e64 v3, v3, v8, s0
	v_subrev_nc_u32_e32 v7, s72, v3
	v_add_nc_u32_e32 v6, 1, v5
	s_delay_alu instid0(VALU_DEP_1) | instskip(SKIP_1) | instid1(VALU_DEP_2)
	v_cndmask_b32_e32 v5, v5, v6, vcc_lo
	v_cmp_le_u32_e32 vcc_lo, s73, v1
	v_add_nc_u32_e32 v6, 1, v5
	s_wait_alu 0xfffd
	s_delay_alu instid0(VALU_DEP_1) | instskip(SKIP_3) | instid1(VALU_DEP_4)
	v_cndmask_b32_e32 v1, v5, v6, vcc_lo
	v_cmp_le_u32_e32 vcc_lo, s72, v3
	v_ashrrev_i32_e32 v5, 31, v2
	v_mul_lo_u32 v2, v2, s12
	v_xor_b32_e32 v1, v1, v4
	s_wait_alu 0xfffd
	v_cndmask_b32_e32 v3, v3, v7, vcc_lo
	s_and_not1_b32 vcc_lo, exec_lo, s33
	s_delay_alu instid0(VALU_DEP_1) | instskip(NEXT) | instid1(VALU_DEP_4)
	v_xor_b32_e32 v3, v3, v5
	v_sub_nc_u32_e32 v7, v0, v2
	s_delay_alu instid0(VALU_DEP_2)
	v_sub_nc_u32_e32 v6, v3, v5
	v_sub_nc_u32_e32 v5, v1, v4
	s_wait_alu 0xfffe
	s_cbranch_vccnz .LBB67_17
; %bb.4:                                ;   in Loop: Header=BB67_3 Depth=1
	s_delay_alu instid0(VALU_DEP_1)
	v_mul_lo_u32 v3, v5, s13
	v_mul_lo_u32 v4, v6, s14
	;; [unrolled: 1-line block ×3, first 2 shown]
	v_mov_b32_e32 v1, 0
	v_mov_b32_e32 v2, 0
	s_mov_b32 s2, 0
	s_mov_b64 s[50:51], s[22:23]
	v_subrev_nc_u32_e32 v3, s19, v3
	v_subrev_nc_u32_e32 v4, s28, v4
	;; [unrolled: 1-line block ×3, first 2 shown]
	s_branch .LBB67_6
.LBB67_5:                               ;   in Loop: Header=BB67_6 Depth=2
	s_add_co_i32 s2, s2, 1
	s_add_nc_u64 s[50:51], s[50:51], s[34:35]
	s_wait_alu 0xfffe
	s_cmp_eq_u32 s2, s9
	s_cbranch_scc1 .LBB67_18
.LBB67_6:                               ;   Parent Loop BB67_3 Depth=1
                                        ; =>  This Loop Header: Depth=2
                                        ;       Child Loop BB67_9 Depth 3
                                        ;         Child Loop BB67_12 Depth 4
                                        ;           Child Loop BB67_15 Depth 5
	s_and_not1_b32 vcc_lo, exec_lo, s66
	s_wait_alu 0xfffe
	s_cbranch_vccnz .LBB67_5
; %bb.7:                                ;   in Loop: Header=BB67_6 Depth=2
	s_mul_u64 s[0:1], s[42:43], s[2:3]
	s_mov_b32 s80, 0
	s_wait_alu 0xfffe
	s_lshl_b64 s[0:1], s[0:1], 1
	s_mov_b64 s[54:55], s[50:51]
	s_wait_alu 0xfffe
	s_add_nc_u64 s[52:53], s[10:11], s[0:1]
	s_branch .LBB67_9
.LBB67_8:                               ;   in Loop: Header=BB67_9 Depth=3
	s_add_co_i32 s80, s80, 1
	s_add_nc_u64 s[54:55], s[54:55], s[44:45]
	s_wait_alu 0xfffe
	s_cmp_eq_u32 s80, s30
	s_cbranch_scc1 .LBB67_5
.LBB67_9:                               ;   Parent Loop BB67_3 Depth=1
                                        ;     Parent Loop BB67_6 Depth=2
                                        ; =>    This Loop Header: Depth=3
                                        ;         Child Loop BB67_12 Depth 4
                                        ;           Child Loop BB67_15 Depth 5
	s_and_not1_b32 vcc_lo, exec_lo, s67
	s_wait_alu 0xfffe
	s_cbranch_vccnz .LBB67_8
; %bb.10:                               ;   in Loop: Header=BB67_9 Depth=3
	v_mad_co_u64_u32 v[9:10], null, s80, s16, v[3:4]
	s_mov_b64 s[56:57], s[54:55]
	v_mad_co_u64_u32 v[10:11], null, s40, v9, 0
	v_cmp_gt_i32_e32 vcc_lo, 0, v9
	v_cmp_le_i32_e64 s0, s4, v9
	s_or_b32 s81, vcc_lo, s0
	v_mad_co_u64_u32 v[11:12], null, s41, v9, v[11:12]
	s_delay_alu instid0(VALU_DEP_1) | instskip(NEXT) | instid1(VALU_DEP_1)
	v_lshlrev_b64_e32 v[10:11], 1, v[10:11]
	v_add_co_u32 v9, s1, s52, v10
	s_wait_alu 0xf1ff
	s_delay_alu instid0(VALU_DEP_2)
	v_add_co_ci_u32_e64 v10, null, s53, v11, s1
	s_mov_b32 s1, 0
	s_branch .LBB67_12
.LBB67_11:                              ;   in Loop: Header=BB67_12 Depth=4
	s_add_co_i32 s1, s1, 1
	s_add_nc_u64 s[56:57], s[56:57], s[46:47]
	s_wait_alu 0xfffe
	s_cmp_eq_u32 s1, s31
	s_cbranch_scc1 .LBB67_8
.LBB67_12:                              ;   Parent Loop BB67_3 Depth=1
                                        ;     Parent Loop BB67_6 Depth=2
                                        ;       Parent Loop BB67_9 Depth=3
                                        ; =>      This Loop Header: Depth=4
                                        ;           Child Loop BB67_15 Depth 5
	s_and_not1_b32 vcc_lo, exec_lo, s70
	s_wait_alu 0xfffe
	s_cbranch_vccnz .LBB67_11
; %bb.13:                               ;   in Loop: Header=BB67_12 Depth=4
	v_mad_co_u64_u32 v[11:12], null, s1, s17, v[4:5]
	s_mov_b64 s[58:59], s[56:57]
	s_mov_b32 s83, s8
	v_mad_co_u64_u32 v[12:13], null, s38, v11, 0
	v_cmp_gt_i32_e32 vcc_lo, 0, v11
	v_cmp_le_i32_e64 s0, s5, v11
	s_or_b32 s0, vcc_lo, s0
	v_mad_co_u64_u32 v[13:14], null, s39, v11, v[13:14]
	s_wait_alu 0xfffe
	s_or_b32 s82, s81, s0
	s_delay_alu instid0(VALU_DEP_1) | instskip(SKIP_1) | instid1(VALU_DEP_2)
	v_lshlrev_b64_e32 v[11:12], 1, v[12:13]
	v_mov_b32_e32 v13, v8
	v_add_co_u32 v11, vcc_lo, v9, v11
	s_wait_alu 0xfffd
	s_delay_alu instid0(VALU_DEP_3)
	v_add_co_ci_u32_e64 v12, null, v10, v12, vcc_lo
	s_branch .LBB67_15
.LBB67_14:                              ;   in Loop: Header=BB67_15 Depth=5
	s_wait_alu 0xfffe
	s_or_b32 exec_lo, exec_lo, s0
	v_add_nc_u32_e32 v13, s18, v13
	s_add_co_i32 s83, s83, -1
	s_add_nc_u64 s[58:59], s[58:59], s[48:49]
	s_cmp_eq_u32 s83, 0
	s_cbranch_scc1 .LBB67_11
.LBB67_15:                              ;   Parent Loop BB67_3 Depth=1
                                        ;     Parent Loop BB67_6 Depth=2
                                        ;       Parent Loop BB67_9 Depth=3
                                        ;         Parent Loop BB67_12 Depth=4
                                        ; =>        This Inner Loop Header: Depth=5
	v_cmp_gt_i32_e32 vcc_lo, 0, v13
	v_cmp_le_i32_e64 s0, s6, v13
	s_or_b32 s0, vcc_lo, s0
	s_wait_alu 0xfffe
	s_nor_b32 s84, s82, s0
	s_wait_alu 0xfffe
	s_and_saveexec_b32 s0, s84
	s_cbranch_execz .LBB67_14
; %bb.16:                               ;   in Loop: Header=BB67_15 Depth=5
	v_mad_co_u64_u32 v[14:15], null, s36, v13, 0
	s_load_u16 s84, s[58:59], 0x0
	v_mad_co_u64_u32 v[15:16], null, s37, v13, v[15:16]
	s_delay_alu instid0(VALU_DEP_1) | instskip(SKIP_2) | instid1(VALU_DEP_1)
	v_lshlrev_b64_e32 v[14:15], 1, v[14:15]
	s_wait_kmcnt 0x0
	s_lshl_b32 s84, s84, 16
	v_add_co_u32 v14, vcc_lo, v11, v14
	s_wait_alu 0xfffd
	s_delay_alu instid0(VALU_DEP_2)
	v_add_co_ci_u32_e64 v15, null, v12, v15, vcc_lo
	s_wait_alu 0xfffe
	v_cvt_f64_f32_e32 v[16:17], s84
	global_load_u16 v14, v[14:15], off
	s_wait_loadcnt 0x0
	v_lshlrev_b32_e32 v14, 16, v14
	s_delay_alu instid0(VALU_DEP_1) | instskip(NEXT) | instid1(VALU_DEP_1)
	v_cvt_f64_f32_e32 v[14:15], v14
	v_fma_f64 v[1:2], v[14:15], v[16:17], v[1:2]
	s_branch .LBB67_14
.LBB67_17:                              ;   in Loop: Header=BB67_3 Depth=1
	v_mov_b32_e32 v1, 0
	v_mov_b32_e32 v2, 0
.LBB67_18:                              ;   in Loop: Header=BB67_3 Depth=1
	v_ashrrev_i32_e32 v8, 31, v7
	v_mul_lo_u32 v9, s61, v7
	v_mad_co_u64_u32 v[3:4], null, s60, v7, 0
	s_and_b32 vcc_lo, exec_lo, s74
	v_mul_lo_u32 v7, s60, v8
	v_ashrrev_i32_e32 v8, 31, v6
	s_mov_b32 s0, -1
	s_delay_alu instid0(VALU_DEP_1) | instskip(NEXT) | instid1(VALU_DEP_3)
	v_mul_lo_u32 v8, s62, v8
	v_add3_u32 v4, v4, v7, v9
	v_mul_lo_u32 v7, s63, v6
	s_delay_alu instid0(VALU_DEP_2) | instskip(SKIP_1) | instid1(VALU_DEP_2)
	v_mad_co_u64_u32 v[3:4], null, s62, v6, v[3:4]
	v_ashrrev_i32_e32 v6, 31, v5
	v_add3_u32 v4, v7, v4, v8
	v_mul_lo_u32 v7, s65, v5
	s_delay_alu instid0(VALU_DEP_2) | instskip(NEXT) | instid1(VALU_DEP_4)
	v_mad_co_u64_u32 v[3:4], null, s64, v5, v[3:4]
	v_mul_lo_u32 v5, s64, v6
	s_delay_alu instid0(VALU_DEP_1) | instskip(NEXT) | instid1(VALU_DEP_1)
	v_add3_u32 v4, v7, v4, v5
	v_lshlrev_b64_e32 v[3:4], 1, v[3:4]
	s_wait_alu 0xfffe
	s_cbranch_vccz .LBB67_20
; %bb.19:                               ;   in Loop: Header=BB67_3 Depth=1
	s_delay_alu instid0(VALU_DEP_1) | instskip(SKIP_1) | instid1(VALU_DEP_2)
	v_add_co_u32 v5, vcc_lo, s20, v3
	s_wait_alu 0xfffd
	v_add_co_ci_u32_e64 v6, null, s21, v4, vcc_lo
	global_load_u16 v7, v[5:6], off
	s_wait_loadcnt 0x0
	v_lshlrev_b32_e32 v7, 16, v7
	s_delay_alu instid0(VALU_DEP_1) | instskip(NEXT) | instid1(VALU_DEP_1)
	v_cvt_f64_f32_e32 v[7:8], v7
	v_mul_f64_e32 v[7:8], s[26:27], v[7:8]
	s_delay_alu instid0(VALU_DEP_1) | instskip(NEXT) | instid1(VALU_DEP_1)
	v_fma_f64 v[7:8], s[24:25], v[1:2], v[7:8]
	v_cvt_f32_f64_e32 v7, v[7:8]
	s_delay_alu instid0(VALU_DEP_1) | instskip(SKIP_2) | instid1(VALU_DEP_3)
	v_and_b32_e32 v8, 0x7f800000, v7
	v_and_b32_e32 v9, 0xffff, v7
	v_lshrrev_b32_e32 v7, 16, v7
	v_cmp_eq_u32_e32 vcc_lo, 0x7f800000, v8
	s_delay_alu instid0(VALU_DEP_3) | instskip(SKIP_4) | instid1(VALU_DEP_1)
	v_cmp_ne_u32_e64 s0, 0, v9
	s_and_b32 s0, vcc_lo, s0
	s_wait_alu 0xfffe
	v_cndmask_b32_e64 v8, 0, 1, s0
	s_mov_b32 s0, 0
	v_or_b32_e32 v7, v7, v8
	global_store_b16 v[5:6], v7, off
.LBB67_20:                              ;   in Loop: Header=BB67_3 Depth=1
	s_wait_alu 0xfffe
	s_and_not1_b32 vcc_lo, exec_lo, s0
	s_wait_alu 0xfffe
	s_cbranch_vccnz .LBB67_2
; %bb.21:                               ;   in Loop: Header=BB67_3 Depth=1
	v_cvt_f32_f64_e32 v1, v[1:2]
	s_delay_alu instid0(VALU_DEP_1) | instskip(SKIP_2) | instid1(VALU_DEP_3)
	v_and_b32_e32 v2, 0x7f800000, v1
	v_and_b32_e32 v5, 0xffff, v1
	v_lshrrev_b32_e32 v1, 16, v1
	v_cmp_eq_u32_e32 vcc_lo, 0x7f800000, v2
	s_delay_alu instid0(VALU_DEP_3) | instskip(SKIP_3) | instid1(VALU_DEP_1)
	v_cmp_ne_u32_e64 s0, 0, v5
	s_and_b32 s0, vcc_lo, s0
	s_wait_alu 0xfffe
	v_cndmask_b32_e64 v2, 0, 1, s0
	v_or_b32_e32 v5, v1, v2
	v_add_co_u32 v1, vcc_lo, s20, v3
	s_wait_alu 0xfffd
	v_add_co_ci_u32_e64 v2, null, s21, v4, vcc_lo
	global_store_b16 v[1:2], v5, off
	s_branch .LBB67_2
.LBB67_22:
	s_endpgm
	.section	.rodata,"a",@progbits
	.p2align	6, 0x0
	.amdhsa_kernel naive_conv_ab_nonpacked_fwd_ncdhw_ushort_double_ushort_0
		.amdhsa_group_segment_fixed_size 0
		.amdhsa_private_segment_fixed_size 0
		.amdhsa_kernarg_size 528
		.amdhsa_user_sgpr_count 2
		.amdhsa_user_sgpr_dispatch_ptr 0
		.amdhsa_user_sgpr_queue_ptr 0
		.amdhsa_user_sgpr_kernarg_segment_ptr 1
		.amdhsa_user_sgpr_dispatch_id 0
		.amdhsa_user_sgpr_private_segment_size 0
		.amdhsa_wavefront_size32 1
		.amdhsa_uses_dynamic_stack 0
		.amdhsa_enable_private_segment 0
		.amdhsa_system_sgpr_workgroup_id_x 1
		.amdhsa_system_sgpr_workgroup_id_y 0
		.amdhsa_system_sgpr_workgroup_id_z 0
		.amdhsa_system_sgpr_workgroup_info 0
		.amdhsa_system_vgpr_workitem_id 0
		.amdhsa_next_free_vgpr 18
		.amdhsa_next_free_sgpr 85
		.amdhsa_reserve_vcc 1
		.amdhsa_float_round_mode_32 0
		.amdhsa_float_round_mode_16_64 0
		.amdhsa_float_denorm_mode_32 3
		.amdhsa_float_denorm_mode_16_64 3
		.amdhsa_fp16_overflow 0
		.amdhsa_workgroup_processor_mode 1
		.amdhsa_memory_ordered 1
		.amdhsa_forward_progress 1
		.amdhsa_inst_pref_size 18
		.amdhsa_round_robin_scheduling 0
		.amdhsa_exception_fp_ieee_invalid_op 0
		.amdhsa_exception_fp_denorm_src 0
		.amdhsa_exception_fp_ieee_div_zero 0
		.amdhsa_exception_fp_ieee_overflow 0
		.amdhsa_exception_fp_ieee_underflow 0
		.amdhsa_exception_fp_ieee_inexact 0
		.amdhsa_exception_int_div_zero 0
	.end_amdhsa_kernel
	.text
.Lfunc_end67:
	.size	naive_conv_ab_nonpacked_fwd_ncdhw_ushort_double_ushort_0, .Lfunc_end67-naive_conv_ab_nonpacked_fwd_ncdhw_ushort_double_ushort_0
                                        ; -- End function
	.set naive_conv_ab_nonpacked_fwd_ncdhw_ushort_double_ushort_0.num_vgpr, 18
	.set naive_conv_ab_nonpacked_fwd_ncdhw_ushort_double_ushort_0.num_agpr, 0
	.set naive_conv_ab_nonpacked_fwd_ncdhw_ushort_double_ushort_0.numbered_sgpr, 85
	.set naive_conv_ab_nonpacked_fwd_ncdhw_ushort_double_ushort_0.num_named_barrier, 0
	.set naive_conv_ab_nonpacked_fwd_ncdhw_ushort_double_ushort_0.private_seg_size, 0
	.set naive_conv_ab_nonpacked_fwd_ncdhw_ushort_double_ushort_0.uses_vcc, 1
	.set naive_conv_ab_nonpacked_fwd_ncdhw_ushort_double_ushort_0.uses_flat_scratch, 0
	.set naive_conv_ab_nonpacked_fwd_ncdhw_ushort_double_ushort_0.has_dyn_sized_stack, 0
	.set naive_conv_ab_nonpacked_fwd_ncdhw_ushort_double_ushort_0.has_recursion, 0
	.set naive_conv_ab_nonpacked_fwd_ncdhw_ushort_double_ushort_0.has_indirect_call, 0
	.section	.AMDGPU.csdata,"",@progbits
; Kernel info:
; codeLenInByte = 2188
; TotalNumSgprs: 87
; NumVgprs: 18
; ScratchSize: 0
; MemoryBound: 0
; FloatMode: 240
; IeeeMode: 1
; LDSByteSize: 0 bytes/workgroup (compile time only)
; SGPRBlocks: 0
; VGPRBlocks: 2
; NumSGPRsForWavesPerEU: 87
; NumVGPRsForWavesPerEU: 18
; Occupancy: 16
; WaveLimiterHint : 1
; COMPUTE_PGM_RSRC2:SCRATCH_EN: 0
; COMPUTE_PGM_RSRC2:USER_SGPR: 2
; COMPUTE_PGM_RSRC2:TRAP_HANDLER: 0
; COMPUTE_PGM_RSRC2:TGID_X_EN: 1
; COMPUTE_PGM_RSRC2:TGID_Y_EN: 0
; COMPUTE_PGM_RSRC2:TGID_Z_EN: 0
; COMPUTE_PGM_RSRC2:TIDIG_COMP_CNT: 0
	.text
	.protected	naive_conv_ab_packed_fwd_ncdhw_int8_t_int32_t_int32_t_0 ; -- Begin function naive_conv_ab_packed_fwd_ncdhw_int8_t_int32_t_int32_t_0
	.globl	naive_conv_ab_packed_fwd_ncdhw_int8_t_int32_t_int32_t_0
	.p2align	8
	.type	naive_conv_ab_packed_fwd_ncdhw_int8_t_int32_t_int32_t_0,@function
naive_conv_ab_packed_fwd_ncdhw_int8_t_int32_t_int32_t_0: ; @naive_conv_ab_packed_fwd_ncdhw_int8_t_int32_t_int32_t_0
; %bb.0:
	s_load_b512 s[4:19], s[0:1], 0xb8
	s_mov_b32 s25, exec_lo
	s_wait_kmcnt 0x0
	s_abs_i32 s3, s8
	s_mul_i32 s52, s12, s11
	s_cvt_f32_u32 s2, s3
	s_mul_i32 s33, s52, s10
	s_delay_alu instid0(SALU_CYCLE_2) | instskip(NEXT) | instid1(TRANS32_DEP_1)
	v_rcp_iflag_f32_e32 v1, s2
	v_readfirstlane_b32 s2, v1
	s_mul_f32 s2, s2, 0x4f7ffffe
	s_wait_alu 0xfffe
	s_delay_alu instid0(SALU_CYCLE_2) | instskip(SKIP_2) | instid1(SALU_CYCLE_1)
	s_cvt_u32_f32 s20, s2
	s_sub_co_i32 s2, 0, s3
	s_wait_alu 0xfffe
	s_mul_i32 s2, s2, s20
	s_wait_alu 0xfffe
	s_mul_hi_u32 s21, s20, s2
	s_abs_i32 s2, ttmp9
	s_add_co_i32 s20, s20, s21
	s_wait_alu 0xfffe
	s_mul_hi_u32 s20, s2, s20
	s_delay_alu instid0(SALU_CYCLE_1) | instskip(SKIP_2) | instid1(SALU_CYCLE_1)
	s_mul_i32 s21, s20, s3
	s_add_co_i32 s22, s20, 1
	s_sub_co_i32 s21, s2, s21
	s_sub_co_i32 s23, s21, s3
	s_cmp_ge_u32 s21, s3
	s_cselect_b32 s20, s22, s20
	s_cselect_b32 s21, s23, s21
	s_add_co_i32 s22, s20, 1
	s_cmp_ge_u32 s21, s3
	s_mul_i32 s21, s8, s7
	s_cselect_b32 s22, s22, s20
	s_abs_i32 s20, s7
	s_abs_i32 s7, s21
	s_cvt_f32_u32 s3, s20
	s_cvt_f32_u32 s23, s7
	s_wait_alu 0xfffe
	s_delay_alu instid0(SALU_CYCLE_1) | instskip(NEXT) | instid1(SALU_CYCLE_1)
	v_rcp_iflag_f32_e32 v1, s3
	v_rcp_iflag_f32_e32 v2, s23
	s_mov_b32 s3, 0
	s_delay_alu instid0(TRANS32_DEP_2) | instskip(NEXT) | instid1(TRANS32_DEP_1)
	v_readfirstlane_b32 s24, v1
	v_readfirstlane_b32 s23, v2
	v_cmpx_gt_i32_e64 s33, v0
	s_cbranch_execz .LBB68_21
; %bb.1:
	s_mul_f32 s24, s24, 0x4f7ffffe
	s_ashr_i32 s26, ttmp9, 31
	s_ashr_i32 s43, s8, 31
	s_mul_f32 s28, s23, 0x4f7ffffe
	s_cvt_u32_f32 s24, s24
	s_sub_co_i32 s25, 0, s20
	s_xor_b32 s27, s26, s43
	s_cvt_u32_f32 s28, s28
	s_xor_b32 s22, s22, s27
	s_mul_i32 s25, s25, s24
	s_wait_alu 0xfffe
	s_sub_co_i32 s27, s22, s27
	s_mul_hi_u32 s23, s24, s25
	s_sub_co_i32 s29, 0, s7
	s_abs_i32 s22, s27
	s_wait_alu 0xfffe
	s_add_co_i32 s24, s24, s23
	s_mov_b32 s23, s3
	s_mov_b32 s25, s3
	s_mul_i32 s29, s29, s28
	s_wait_alu 0xfffe
	s_mul_u64 s[24:25], s[22:23], s[24:25]
	s_mul_hi_u32 s23, s28, s29
	s_ashr_i32 s30, s27, 31
	s_wait_alu 0xfffe
	s_add_co_i32 s24, s28, s23
	s_mul_i32 s23, s25, s20
	s_mul_i32 s27, s27, s8
	s_wait_alu 0xfffe
	s_sub_co_i32 s22, s22, s23
	s_ashr_i32 s21, s21, 31
	s_sub_co_i32 s46, ttmp9, s27
	s_wait_alu 0xfffe
	s_sub_co_i32 s23, s22, s20
	s_cmp_ge_u32 s22, s20
	s_mov_b32 s25, s3
	s_wait_alu 0xfffe
	s_cselect_b32 s27, s23, s22
	s_mul_u64 s[22:23], s[2:3], s[24:25]
	s_sub_co_i32 s22, s27, s20
	s_cmp_ge_u32 s27, s20
	s_load_b64 s[34:35], s[0:1], 0x108
	s_cselect_b32 s20, s22, s27
	s_xor_b32 s36, s26, s21
	s_xor_b32 s20, s20, s30
	s_mov_b32 s42, s8
	s_sub_co_i32 s50, s20, s30
	s_mul_i32 s20, s23, s7
	s_load_b128 s[28:31], s[0:1], 0xf8
	s_sub_co_i32 s2, s2, s20
	s_add_co_i32 s20, s23, 1
	s_wait_alu 0xfffe
	s_sub_co_i32 s21, s2, s7
	s_cmp_ge_u32 s2, s7
	s_mov_b32 s60, s10
	s_cselect_b32 s37, s20, s23
	s_cselect_b32 s2, s21, s2
	s_load_b256 s[20:27], s[0:1], 0x0
	s_add_co_i32 s38, s37, 1
	s_cmp_ge_u32 s2, s7
	s_mov_b32 s44, s11
	s_cselect_b32 s2, s38, s37
	s_wait_kmcnt 0x0
	s_mul_i32 s48, s35, s8
	s_wait_alu 0xfffe
	s_xor_b32 s2, s2, s36
	s_ashr_i32 s51, s50, 31
	s_wait_alu 0xfffe
	s_sub_co_i32 s58, s2, s36
	s_ashr_i32 s47, s46, 31
	s_ashr_i32 s59, s58, 31
	s_ashr_i32 s49, s48, 31
	s_mul_u64 s[56:57], s[58:59], s[42:43]
	s_ashr_i32 s61, s10, 31
	s_ashr_i32 s45, s11, 31
	s_mul_u64 s[48:49], s[50:51], s[48:49]
	s_mul_u64 s[60:61], s[44:45], s[60:61]
	s_add_nc_u64 s[62:63], s[56:57], s[46:47]
	s_ashr_i32 s47, s12, 31
	s_mov_b32 s46, s12
	s_add_nc_u64 s[56:57], s[62:63], s[48:49]
	s_mul_u64 s[60:61], s[60:61], s[46:47]
	s_mul_i32 s54, s35, s9
	s_mul_u64 s[56:57], s[60:61], s[56:57]
	v_cmp_neq_f64_e64 s2, s[24:25], 1.0
	v_cmp_neq_f64_e64 s64, s[26:27], 0
	s_ashr_i32 s55, s54, 31
	s_ashr_i32 s37, s4, 31
	;; [unrolled: 1-line block ×8, first 2 shown]
	s_lshl_b64 s[60:61], s[56:57], 2
	s_cmp_gt_i32 s9, 0
	s_mul_u64 s[50:51], s[50:51], s[54:55]
	s_cselect_b32 s45, -1, 0
	s_cmp_gt_i32 s30, 0
	s_load_b32 s53, s[0:1], 0x11c
	s_cselect_b32 s54, -1, 0
	s_cmp_gt_i32 s31, 0
	s_mov_b32 s40, s9
	s_cselect_b32 s55, -1, 0
	s_cmp_gt_i32 s34, 0
	s_load_b64 s[8:9], s[0:1], 0x20
	s_cselect_b32 s56, -1, 0
	s_abs_i32 s12, s12
	s_abs_i32 s1, s11
	s_cvt_f32_u32 s10, s12
	s_mov_b32 s36, s4
	s_mov_b32 s38, s5
	s_cvt_f32_u32 s0, s1
	v_rcp_iflag_f32_e32 v1, s10
	v_cvt_i32_f64_e32 v9, s[24:25]
	v_cvt_i32_f64_e32 v10, s[26:27]
	s_mul_u64 s[4:5], s[58:59], s[40:41]
	s_mul_u64 s[58:59], s[38:39], s[36:37]
	s_add_nc_u64 s[4:5], s[4:5], s[50:51]
	s_mul_u64 s[10:11], s[58:59], s[6:7]
	v_rcp_iflag_f32_e32 v2, s0
	s_abs_i32 s57, s52
	s_wait_alu 0xfffe
	s_mul_u64 s[4:5], s[10:11], s[4:5]
	s_cvt_f32_u32 s10, s57
	v_readfirstlane_b32 s0, v1
	s_or_b32 s58, s2, s64
	s_add_nc_u64 s[4:5], s[20:21], s[4:5]
	s_wait_alu 0xfffe
	v_rcp_iflag_f32_e32 v1, s10
	s_sub_co_i32 s10, 0, s12
	s_mul_f32 s0, s0, 0x4f7ffffe
	v_readfirstlane_b32 s11, v2
	s_wait_kmcnt 0x0
	s_add_nc_u64 s[8:9], s[8:9], s[60:61]
	s_sub_co_i32 s20, 0, s1
	s_wait_alu 0xfffe
	s_cvt_u32_f32 s0, s0
	s_mov_b32 s48, s31
	s_mul_f32 s2, s11, 0x4f7ffffe
	s_mov_b32 s42, s30
	v_readfirstlane_b32 s11, v1
	s_wait_alu 0xfffe
	s_mul_i32 s10, s10, s0
	s_cvt_u32_f32 s2, s2
	s_wait_alu 0xfffe
	s_mul_hi_u32 s10, s0, s10
	s_and_b32 s59, s53, 0xffff
	s_wait_alu 0xfffe
	s_add_co_i32 s60, s0, s10
	s_mul_f32 s0, s11, 0x4f7ffffe
	s_mul_i32 s20, s20, s2
	s_mul_u64 s[10:11], s[34:35], s[48:49]
	s_mul_hi_u32 s20, s2, s20
	s_wait_alu 0xfffe
	s_cvt_u32_f32 s0, s0
	s_add_co_i32 s49, s2, s20
	s_sub_co_i32 s2, 0, s57
	s_mul_u64 s[20:21], s[10:11], s[42:43]
	s_wait_alu 0xfffe
	s_mul_i32 s2, s2, s0
	s_mul_u64 s[24:25], s[20:21], s[62:63]
	s_wait_alu 0xfffe
	s_mul_hi_u32 s2, s0, s2
	s_mul_u64 s[24:25], s[24:25], s[40:41]
	s_ashr_i32 s61, s52, 31
	s_wait_alu 0xfffe
	s_add_co_i32 s41, s0, s2
	s_add_nc_u64 s[22:23], s[22:23], s[24:25]
	s_mov_b32 s43, 0
	s_branch .LBB68_3
.LBB68_2:                               ;   in Loop: Header=BB68_3 Depth=1
	v_add_nc_u32_e32 v0, s59, v0
	s_delay_alu instid0(VALU_DEP_1) | instskip(SKIP_1) | instid1(SALU_CYCLE_1)
	v_cmp_le_i32_e32 vcc_lo, s33, v0
	s_or_b32 s43, vcc_lo, s43
	s_and_not1_b32 exec_lo, exec_lo, s43
	s_cbranch_execz .LBB68_21
.LBB68_3:                               ; =>This Loop Header: Depth=1
                                        ;     Child Loop BB68_6 Depth 2
                                        ;       Child Loop BB68_9 Depth 3
                                        ;         Child Loop BB68_12 Depth 4
                                        ;           Child Loop BB68_15 Depth 5
	v_sub_nc_u32_e32 v1, 0, v0
	v_mov_b32_e32 v11, 0
	s_delay_alu instid0(VALU_DEP_2) | instskip(NEXT) | instid1(VALU_DEP_1)
	v_max_i32_e32 v1, v0, v1
	v_mul_hi_u32 v2, v1, s60
	s_delay_alu instid0(VALU_DEP_1) | instskip(NEXT) | instid1(VALU_DEP_1)
	v_mul_lo_u32 v3, v2, s12
	v_sub_nc_u32_e32 v3, v1, v3
	s_delay_alu instid0(VALU_DEP_1) | instskip(SKIP_2) | instid1(VALU_DEP_2)
	v_subrev_nc_u32_e32 v5, s12, v3
	v_cmp_le_u32_e32 vcc_lo, s12, v3
	s_wait_alu 0xfffd
	v_dual_cndmask_b32 v3, v3, v5 :: v_dual_add_nc_u32 v4, 1, v2
	s_delay_alu instid0(VALU_DEP_1) | instskip(SKIP_1) | instid1(VALU_DEP_3)
	v_cndmask_b32_e32 v2, v2, v4, vcc_lo
	v_ashrrev_i32_e32 v4, 31, v0
	v_cmp_le_u32_e32 vcc_lo, s12, v3
	s_delay_alu instid0(VALU_DEP_3) | instskip(NEXT) | instid1(VALU_DEP_3)
	v_add_nc_u32_e32 v5, 1, v2
	v_xor_b32_e32 v6, s47, v4
	v_xor_b32_e32 v4, s61, v4
	s_wait_alu 0xfffd
	s_delay_alu instid0(VALU_DEP_3) | instskip(SKIP_1) | instid1(VALU_DEP_1)
	v_cndmask_b32_e32 v2, v2, v5, vcc_lo
	v_mul_hi_u32 v5, v1, s41
	v_mul_lo_u32 v7, v5, s57
	s_delay_alu instid0(VALU_DEP_1) | instskip(NEXT) | instid1(VALU_DEP_1)
	v_sub_nc_u32_e32 v1, v1, v7
	v_subrev_nc_u32_e32 v7, s57, v1
	v_cmp_le_u32_e32 vcc_lo, s57, v1
	s_wait_alu 0xfffd
	s_delay_alu instid0(VALU_DEP_2) | instskip(SKIP_1) | instid1(VALU_DEP_1)
	v_cndmask_b32_e32 v1, v1, v7, vcc_lo
	v_xor_b32_e32 v2, v2, v6
	v_sub_nc_u32_e32 v2, v2, v6
	s_delay_alu instid0(VALU_DEP_1) | instskip(NEXT) | instid1(VALU_DEP_1)
	v_sub_nc_u32_e32 v3, 0, v2
	v_max_i32_e32 v3, v2, v3
	s_delay_alu instid0(VALU_DEP_1) | instskip(NEXT) | instid1(VALU_DEP_1)
	v_mul_hi_u32 v6, v3, s49
	v_mul_lo_u32 v6, v6, s1
	s_delay_alu instid0(VALU_DEP_1) | instskip(NEXT) | instid1(VALU_DEP_1)
	v_sub_nc_u32_e32 v3, v3, v6
	v_subrev_nc_u32_e32 v8, s1, v3
	v_cmp_le_u32_e64 s0, s1, v3
	s_wait_alu 0xf1ff
	s_delay_alu instid0(VALU_DEP_1) | instskip(NEXT) | instid1(VALU_DEP_1)
	v_cndmask_b32_e64 v3, v3, v8, s0
	v_subrev_nc_u32_e32 v7, s1, v3
	v_add_nc_u32_e32 v6, 1, v5
	s_delay_alu instid0(VALU_DEP_1) | instskip(SKIP_1) | instid1(VALU_DEP_2)
	v_cndmask_b32_e32 v5, v5, v6, vcc_lo
	v_cmp_le_u32_e32 vcc_lo, s57, v1
	v_add_nc_u32_e32 v6, 1, v5
	s_wait_alu 0xfffd
	s_delay_alu instid0(VALU_DEP_1) | instskip(SKIP_3) | instid1(VALU_DEP_4)
	v_cndmask_b32_e32 v1, v5, v6, vcc_lo
	v_cmp_le_u32_e32 vcc_lo, s1, v3
	v_ashrrev_i32_e32 v5, 31, v2
	v_mul_lo_u32 v2, v2, s46
	v_xor_b32_e32 v1, v1, v4
	s_wait_alu 0xfffd
	v_cndmask_b32_e32 v3, v3, v7, vcc_lo
	s_and_not1_b32 vcc_lo, exec_lo, s45
	s_delay_alu instid0(VALU_DEP_2) | instskip(NEXT) | instid1(VALU_DEP_2)
	v_sub_nc_u32_e32 v12, v1, v4
	v_xor_b32_e32 v3, v3, v5
	v_sub_nc_u32_e32 v1, v0, v2
	s_delay_alu instid0(VALU_DEP_2)
	v_sub_nc_u32_e32 v2, v3, v5
	s_wait_alu 0xfffe
	s_cbranch_vccnz .LBB68_17
; %bb.4:                                ;   in Loop: Header=BB68_3 Depth=1
	v_mul_lo_u32 v3, v12, s13
	s_delay_alu instid0(VALU_DEP_2) | instskip(SKIP_4) | instid1(VALU_DEP_4)
	v_mul_lo_u32 v4, v2, s14
	v_mul_lo_u32 v5, v1, s15
	v_mov_b32_e32 v11, 0
	s_mov_b32 s2, 0
	s_mov_b64 s[24:25], s[22:23]
	v_subrev_nc_u32_e32 v3, s19, v3
	s_delay_alu instid0(VALU_DEP_4) | instskip(NEXT) | instid1(VALU_DEP_4)
	v_subrev_nc_u32_e32 v4, s28, v4
	v_subrev_nc_u32_e32 v13, s29, v5
	s_branch .LBB68_6
.LBB68_5:                               ;   in Loop: Header=BB68_6 Depth=2
	s_add_co_i32 s2, s2, 1
	s_add_nc_u64 s[24:25], s[24:25], s[20:21]
	s_wait_alu 0xfffe
	s_cmp_eq_u32 s2, s40
	s_cbranch_scc1 .LBB68_17
.LBB68_6:                               ;   Parent Loop BB68_3 Depth=1
                                        ; =>  This Loop Header: Depth=2
                                        ;       Child Loop BB68_9 Depth 3
                                        ;         Child Loop BB68_12 Depth 4
                                        ;           Child Loop BB68_15 Depth 5
	s_and_not1_b32 vcc_lo, exec_lo, s54
	s_wait_alu 0xfffe
	s_cbranch_vccnz .LBB68_5
; %bb.7:                                ;   in Loop: Header=BB68_6 Depth=2
	s_mul_u64 s[26:27], s[2:3], s[36:37]
	s_mov_b32 s62, 0
	s_mov_b64 s[30:31], s[24:25]
	s_branch .LBB68_9
.LBB68_8:                               ;   in Loop: Header=BB68_9 Depth=3
	s_add_co_i32 s62, s62, 1
	s_add_nc_u64 s[30:31], s[30:31], s[10:11]
	s_wait_alu 0xfffe
	s_cmp_eq_u32 s62, s42
	s_cbranch_scc1 .LBB68_5
.LBB68_9:                               ;   Parent Loop BB68_3 Depth=1
                                        ;     Parent Loop BB68_6 Depth=2
                                        ; =>    This Loop Header: Depth=3
                                        ;         Child Loop BB68_12 Depth 4
                                        ;           Child Loop BB68_15 Depth 5
	s_and_not1_b32 vcc_lo, exec_lo, s55
	s_wait_alu 0xfffe
	s_cbranch_vccnz .LBB68_8
; %bb.10:                               ;   in Loop: Header=BB68_9 Depth=3
	v_mad_co_u64_u32 v[7:8], null, s62, s16, v[3:4]
	s_mov_b32 s63, 0
	s_mov_b64 s[50:51], s[30:31]
	v_add_co_u32 v5, s0, s26, v7
	s_wait_alu 0xf1ff
	v_add_co_ci_u32_e64 v6, null, s27, 0, s0
	v_cmp_gt_i32_e32 vcc_lo, 0, v7
	s_delay_alu instid0(VALU_DEP_3) | instskip(SKIP_1) | instid1(VALU_DEP_4)
	v_mul_lo_u32 v14, v5, s39
	v_cmp_le_i32_e64 s0, s36, v7
	v_mul_lo_u32 v8, v6, s38
	v_mad_co_u64_u32 v[5:6], null, v5, s38, 0
	s_or_b32 s64, vcc_lo, s0
	v_add3_u32 v6, v6, v14, v8
	s_branch .LBB68_12
.LBB68_11:                              ;   in Loop: Header=BB68_12 Depth=4
	s_add_co_i32 s63, s63, 1
	s_add_nc_u64 s[50:51], s[50:51], s[34:35]
	s_wait_alu 0xfffe
	s_cmp_eq_u32 s63, s48
	s_cbranch_scc1 .LBB68_8
.LBB68_12:                              ;   Parent Loop BB68_3 Depth=1
                                        ;     Parent Loop BB68_6 Depth=2
                                        ;       Parent Loop BB68_9 Depth=3
                                        ; =>      This Loop Header: Depth=4
                                        ;           Child Loop BB68_15 Depth 5
	s_and_not1_b32 vcc_lo, exec_lo, s56
	s_wait_alu 0xfffe
	s_cbranch_vccnz .LBB68_11
; %bb.13:                               ;   in Loop: Header=BB68_12 Depth=4
	v_mad_co_u64_u32 v[14:15], null, s63, s17, v[4:5]
	s_mov_b64 s[52:53], s[50:51]
	s_mov_b32 s66, s34
	v_add_co_u32 v7, vcc_lo, v5, v14
	s_wait_alu 0xfffd
	v_add_co_ci_u32_e64 v8, null, 0, v6, vcc_lo
	v_cmp_gt_i32_e32 vcc_lo, 0, v14
	s_delay_alu instid0(VALU_DEP_3) | instskip(SKIP_1) | instid1(VALU_DEP_4)
	v_mul_lo_u32 v15, v7, s7
	v_cmp_le_i32_e64 s0, s38, v14
	v_mul_lo_u32 v16, v8, s6
	v_mad_co_u64_u32 v[7:8], null, v7, s6, s[4:5]
	v_mov_b32_e32 v14, v13
	s_delay_alu instid0(VALU_DEP_4) | instskip(SKIP_2) | instid1(VALU_DEP_2)
	s_or_b32 s0, vcc_lo, s0
	s_wait_alu 0xfffe
	s_or_b32 s65, s64, s0
	v_add3_u32 v8, v16, v8, v15
	s_branch .LBB68_15
.LBB68_14:                              ;   in Loop: Header=BB68_15 Depth=5
	s_wait_alu 0xfffe
	s_or_b32 exec_lo, exec_lo, s0
	v_add_nc_u32_e32 v14, s18, v14
	s_add_co_i32 s66, s66, -1
	s_add_nc_u64 s[52:53], s[52:53], 1
	s_wait_alu 0xfffe
	s_cmp_eq_u32 s66, 0
	s_cbranch_scc1 .LBB68_11
.LBB68_15:                              ;   Parent Loop BB68_3 Depth=1
                                        ;     Parent Loop BB68_6 Depth=2
                                        ;       Parent Loop BB68_9 Depth=3
                                        ;         Parent Loop BB68_12 Depth=4
                                        ; =>        This Inner Loop Header: Depth=5
	v_cmp_gt_i32_e32 vcc_lo, 0, v14
	v_cmp_le_i32_e64 s0, s6, v14
	s_or_b32 s0, vcc_lo, s0
	s_wait_alu 0xfffe
	s_nor_b32 s67, s65, s0
	s_wait_alu 0xfffe
	s_and_saveexec_b32 s0, s67
	s_cbranch_execz .LBB68_14
; %bb.16:                               ;   in Loop: Header=BB68_15 Depth=5
	v_add_co_u32 v15, vcc_lo, v7, v14
	s_wait_alu 0xfffd
	v_add_co_ci_u32_e64 v16, null, 0, v8, vcc_lo
	s_load_i8 s67, s[52:53], 0x0
	global_load_i8 v15, v[15:16], off
	s_wait_loadcnt 0x0
	s_wait_kmcnt 0x0
	v_mad_i32_i24 v11, s67, v15, v11
	s_branch .LBB68_14
.LBB68_17:                              ;   in Loop: Header=BB68_3 Depth=1
	s_delay_alu instid0(VALU_DEP_1) | instskip(SKIP_2) | instid1(VALU_DEP_1)
	v_ashrrev_i32_e32 v3, 31, v2
	s_and_b32 vcc_lo, exec_lo, s58
	s_mov_b32 s0, -1
	v_mad_co_i64_i32 v[3:4], null, v12, s44, v[2:3]
	v_ashrrev_i32_e32 v2, 31, v1
	s_delay_alu instid0(VALU_DEP_1) | instskip(SKIP_1) | instid1(VALU_DEP_4)
	v_mad_co_u64_u32 v[1:2], null, v3, s46, v[1:2]
	v_mul_lo_u32 v3, v3, s47
	v_mul_lo_u32 v4, v4, s46
	s_delay_alu instid0(VALU_DEP_1) | instskip(NEXT) | instid1(VALU_DEP_1)
	v_add3_u32 v2, v4, v2, v3
	v_lshlrev_b64_e32 v[1:2], 2, v[1:2]
	s_wait_alu 0xfffe
	s_cbranch_vccz .LBB68_19
; %bb.18:                               ;   in Loop: Header=BB68_3 Depth=1
	s_delay_alu instid0(VALU_DEP_1) | instskip(SKIP_1) | instid1(VALU_DEP_2)
	v_add_co_u32 v3, vcc_lo, s8, v1
	s_wait_alu 0xfffd
	v_add_co_ci_u32_e64 v4, null, s9, v2, vcc_lo
	v_mul_lo_u32 v5, v11, v9
	s_mov_b32 s0, 0
	global_load_b32 v6, v[3:4], off
	s_wait_loadcnt 0x0
	v_mad_co_u64_u32 v[5:6], null, v6, v10, v[5:6]
	global_store_b32 v[3:4], v5, off
.LBB68_19:                              ;   in Loop: Header=BB68_3 Depth=1
	s_wait_alu 0xfffe
	s_and_not1_b32 vcc_lo, exec_lo, s0
	s_wait_alu 0xfffe
	s_cbranch_vccnz .LBB68_2
; %bb.20:                               ;   in Loop: Header=BB68_3 Depth=1
	v_add_co_u32 v1, vcc_lo, s8, v1
	s_wait_alu 0xfffd
	v_add_co_ci_u32_e64 v2, null, s9, v2, vcc_lo
	global_store_b32 v[1:2], v11, off
	s_branch .LBB68_2
.LBB68_21:
	s_endpgm
	.section	.rodata,"a",@progbits
	.p2align	6, 0x0
	.amdhsa_kernel naive_conv_ab_packed_fwd_ncdhw_int8_t_int32_t_int32_t_0
		.amdhsa_group_segment_fixed_size 0
		.amdhsa_private_segment_fixed_size 0
		.amdhsa_kernarg_size 528
		.amdhsa_user_sgpr_count 2
		.amdhsa_user_sgpr_dispatch_ptr 0
		.amdhsa_user_sgpr_queue_ptr 0
		.amdhsa_user_sgpr_kernarg_segment_ptr 1
		.amdhsa_user_sgpr_dispatch_id 0
		.amdhsa_user_sgpr_private_segment_size 0
		.amdhsa_wavefront_size32 1
		.amdhsa_uses_dynamic_stack 0
		.amdhsa_enable_private_segment 0
		.amdhsa_system_sgpr_workgroup_id_x 1
		.amdhsa_system_sgpr_workgroup_id_y 0
		.amdhsa_system_sgpr_workgroup_id_z 0
		.amdhsa_system_sgpr_workgroup_info 0
		.amdhsa_system_vgpr_workitem_id 0
		.amdhsa_next_free_vgpr 17
		.amdhsa_next_free_sgpr 68
		.amdhsa_reserve_vcc 1
		.amdhsa_float_round_mode_32 0
		.amdhsa_float_round_mode_16_64 0
		.amdhsa_float_denorm_mode_32 3
		.amdhsa_float_denorm_mode_16_64 3
		.amdhsa_fp16_overflow 0
		.amdhsa_workgroup_processor_mode 1
		.amdhsa_memory_ordered 1
		.amdhsa_forward_progress 1
		.amdhsa_inst_pref_size 16
		.amdhsa_round_robin_scheduling 0
		.amdhsa_exception_fp_ieee_invalid_op 0
		.amdhsa_exception_fp_denorm_src 0
		.amdhsa_exception_fp_ieee_div_zero 0
		.amdhsa_exception_fp_ieee_overflow 0
		.amdhsa_exception_fp_ieee_underflow 0
		.amdhsa_exception_fp_ieee_inexact 0
		.amdhsa_exception_int_div_zero 0
	.end_amdhsa_kernel
	.text
.Lfunc_end68:
	.size	naive_conv_ab_packed_fwd_ncdhw_int8_t_int32_t_int32_t_0, .Lfunc_end68-naive_conv_ab_packed_fwd_ncdhw_int8_t_int32_t_int32_t_0
                                        ; -- End function
	.set naive_conv_ab_packed_fwd_ncdhw_int8_t_int32_t_int32_t_0.num_vgpr, 17
	.set naive_conv_ab_packed_fwd_ncdhw_int8_t_int32_t_int32_t_0.num_agpr, 0
	.set naive_conv_ab_packed_fwd_ncdhw_int8_t_int32_t_int32_t_0.numbered_sgpr, 68
	.set naive_conv_ab_packed_fwd_ncdhw_int8_t_int32_t_int32_t_0.num_named_barrier, 0
	.set naive_conv_ab_packed_fwd_ncdhw_int8_t_int32_t_int32_t_0.private_seg_size, 0
	.set naive_conv_ab_packed_fwd_ncdhw_int8_t_int32_t_int32_t_0.uses_vcc, 1
	.set naive_conv_ab_packed_fwd_ncdhw_int8_t_int32_t_int32_t_0.uses_flat_scratch, 0
	.set naive_conv_ab_packed_fwd_ncdhw_int8_t_int32_t_int32_t_0.has_dyn_sized_stack, 0
	.set naive_conv_ab_packed_fwd_ncdhw_int8_t_int32_t_int32_t_0.has_recursion, 0
	.set naive_conv_ab_packed_fwd_ncdhw_int8_t_int32_t_int32_t_0.has_indirect_call, 0
	.section	.AMDGPU.csdata,"",@progbits
; Kernel info:
; codeLenInByte = 2004
; TotalNumSgprs: 70
; NumVgprs: 17
; ScratchSize: 0
; MemoryBound: 0
; FloatMode: 240
; IeeeMode: 1
; LDSByteSize: 0 bytes/workgroup (compile time only)
; SGPRBlocks: 0
; VGPRBlocks: 2
; NumSGPRsForWavesPerEU: 70
; NumVGPRsForWavesPerEU: 17
; Occupancy: 16
; WaveLimiterHint : 1
; COMPUTE_PGM_RSRC2:SCRATCH_EN: 0
; COMPUTE_PGM_RSRC2:USER_SGPR: 2
; COMPUTE_PGM_RSRC2:TRAP_HANDLER: 0
; COMPUTE_PGM_RSRC2:TGID_X_EN: 1
; COMPUTE_PGM_RSRC2:TGID_Y_EN: 0
; COMPUTE_PGM_RSRC2:TGID_Z_EN: 0
; COMPUTE_PGM_RSRC2:TIDIG_COMP_CNT: 0
	.text
	.protected	naive_conv_ab_nonpacked_fwd_ncdhw_int8_t_int32_t_int32_t_0 ; -- Begin function naive_conv_ab_nonpacked_fwd_ncdhw_int8_t_int32_t_int32_t_0
	.globl	naive_conv_ab_nonpacked_fwd_ncdhw_int8_t_int32_t_int32_t_0
	.p2align	8
	.type	naive_conv_ab_nonpacked_fwd_ncdhw_int8_t_int32_t_int32_t_0,@function
naive_conv_ab_nonpacked_fwd_ncdhw_int8_t_int32_t_int32_t_0: ; @naive_conv_ab_nonpacked_fwd_ncdhw_int8_t_int32_t_int32_t_0
; %bb.0:
	s_load_b512 s[4:19], s[0:1], 0xb8
	s_wait_kmcnt 0x0
	s_abs_i32 s3, s8
	s_mul_i32 s72, s12, s11
	s_cvt_f32_u32 s2, s3
	s_delay_alu instid0(SALU_CYCLE_3) | instskip(NEXT) | instid1(TRANS32_DEP_1)
	v_rcp_iflag_f32_e32 v1, s2
	v_readfirstlane_b32 s2, v1
	s_mul_f32 s2, s2, 0x4f7ffffe
	s_wait_alu 0xfffe
	s_delay_alu instid0(SALU_CYCLE_2) | instskip(SKIP_2) | instid1(SALU_CYCLE_1)
	s_cvt_u32_f32 s20, s2
	s_sub_co_i32 s2, 0, s3
	s_wait_alu 0xfffe
	s_mul_i32 s2, s2, s20
	s_wait_alu 0xfffe
	s_mul_hi_u32 s21, s20, s2
	s_abs_i32 s2, ttmp9
	s_add_co_i32 s20, s20, s21
	s_wait_alu 0xfffe
	s_mul_hi_u32 s20, s2, s20
	s_delay_alu instid0(SALU_CYCLE_1) | instskip(SKIP_2) | instid1(SALU_CYCLE_1)
	s_mul_i32 s21, s20, s3
	s_add_co_i32 s22, s20, 1
	s_sub_co_i32 s21, s2, s21
	s_sub_co_i32 s23, s21, s3
	s_cmp_ge_u32 s21, s3
	s_cselect_b32 s22, s22, s20
	s_cselect_b32 s20, s23, s21
	s_add_co_i32 s21, s22, 1
	s_cmp_ge_u32 s20, s3
	s_mul_i32 s20, s8, s7
	s_cselect_b32 s21, s21, s22
	s_abs_i32 s29, s7
	s_abs_i32 s28, s20
	s_cvt_f32_u32 s3, s29
	s_cvt_f32_u32 s7, s28
	s_mov_b32 s23, exec_lo
	s_wait_alu 0xfffe
	v_rcp_iflag_f32_e32 v1, s3
	v_rcp_iflag_f32_e32 v2, s7
	s_mul_i32 s7, s72, s10
	s_mov_b32 s3, 0
	s_delay_alu instid0(TRANS32_DEP_2) | instskip(NEXT) | instid1(TRANS32_DEP_1)
	v_readfirstlane_b32 s22, v1
	v_readfirstlane_b32 s10, v2
	s_wait_alu 0xfffe
	v_cmpx_gt_i32_e64 s7, v0
	s_cbranch_execz .LBB69_21
; %bb.1:
	s_mul_f32 s22, s22, 0x4f7ffffe
	s_ashr_i32 s33, ttmp9, 31
	s_ashr_i32 s23, s8, 31
	s_mul_f32 s10, s10, 0x4f7ffffe
	s_cvt_u32_f32 s25, s22
	s_sub_co_i32 s24, 0, s29
	s_xor_b32 s22, s33, s23
	s_cvt_u32_f32 s10, s10
	s_xor_b32 s21, s21, s22
	s_mul_i32 s24, s24, s25
	s_sub_co_i32 s21, s21, s22
	s_mul_hi_u32 s23, s25, s24
	s_sub_co_i32 s26, 0, s28
	s_abs_i32 s22, s21
	s_add_co_i32 s24, s25, s23
	s_mov_b32 s23, s3
	s_mov_b32 s25, s3
	s_mul_i32 s26, s26, s10
	s_mul_u64 s[24:25], s[22:23], s[24:25]
	s_mul_hi_u32 s23, s10, s26
	s_ashr_i32 s35, s21, 31
	s_add_co_i32 s30, s10, s23
	s_mul_i32 s10, s25, s29
	s_mul_i32 s21, s21, s8
	s_sub_co_i32 s8, s22, s10
	s_ashr_i32 s52, s20, 31
	s_sub_co_i32 s34, ttmp9, s21
	s_sub_co_i32 s10, s8, s29
	s_cmp_ge_u32 s8, s29
	s_mov_b32 s31, s3
	s_cselect_b32 s8, s10, s8
	s_mul_u64 s[30:31], s[2:3], s[30:31]
	s_sub_co_i32 s10, s8, s29
	s_cmp_ge_u32 s8, s29
	s_load_b512 s[36:51], s[0:1], 0x68
	s_cselect_b32 s8, s10, s8
	s_xor_b32 s10, s33, s52
	s_xor_b32 s8, s8, s35
	s_load_b128 s[68:71], s[0:1], 0xa8
	s_sub_co_i32 s74, s8, s35
	s_mul_i32 s8, s31, s28
	s_load_b256 s[20:27], s[0:1], 0x0
	s_sub_co_i32 s2, s2, s8
	s_add_co_i32 s8, s31, 1
	s_wait_alu 0xfffe
	s_sub_co_i32 s29, s2, s28
	s_cmp_ge_u32 s2, s28
	s_load_b512 s[52:67], s[0:1], 0x28
	s_cselect_b32 s8, s8, s31
	s_cselect_b32 s2, s29, s2
	s_add_co_i32 s33, s8, 1
	s_wait_alu 0xfffe
	s_cmp_ge_u32 s2, s28
	s_load_b128 s[28:31], s[0:1], 0xf8
	s_cselect_b32 s2, s33, s8
	s_load_b32 s8, s[0:1], 0x108
	s_xor_b32 s2, s2, s10
	s_ashr_i32 s75, s74, 31
	s_wait_alu 0xfffe
	s_sub_co_i32 s76, s2, s10
	s_ashr_i32 s35, s34, 31
	s_ashr_i32 s77, s76, 31
	s_wait_kmcnt 0x0
	s_mul_u64 s[70:71], s[70:71], s[74:75]
	s_mul_u64 s[68:69], s[68:69], s[76:77]
	s_mul_u64 s[50:51], s[50:51], s[34:35]
	s_lshl_b64 s[70:71], s[70:71], 2
	s_lshl_b64 s[78:79], s[68:69], 2
	v_cmp_neq_f64_e64 s2, s[24:25], 1.0
	v_cmp_neq_f64_e64 s69, s[26:27], 0
	s_lshl_b64 s[80:81], s[50:51], 2
	s_cmp_gt_i32 s9, 0
	s_load_b64 s[82:83], s[0:1], 0x20
	s_cselect_b32 s33, -1, 0
	s_load_b32 s0, s[0:1], 0x11c
	s_cmp_gt_i32 s30, 0
	s_mul_u64 s[62:63], s[62:63], s[74:75]
	s_cselect_b32 s50, -1, 0
	s_cmp_gt_i32 s31, 0
	s_mul_u64 s[74:75], s[60:61], s[76:77]
	s_cselect_b32 s51, -1, 0
	s_cmp_gt_i32 s8, 0
	v_cvt_i32_f64_e32 v7, s[24:25]
	s_cselect_b32 s1, -1, 0
	s_abs_i32 s68, s12
	s_abs_i32 s60, s11
	s_cvt_f32_u32 s10, s68
	s_cvt_f32_u32 s61, s60
	v_cvt_i32_f64_e32 v8, s[26:27]
	s_add_nc_u64 s[20:21], s[20:21], s[62:63]
	v_rcp_iflag_f32_e32 v1, s10
	v_rcp_iflag_f32_e32 v2, s61
	s_abs_i32 s61, s72
	s_add_nc_u64 s[10:11], s[20:21], s[74:75]
	s_wait_alu 0xfffe
	s_cvt_f32_u32 s24, s61
	s_wait_kmcnt 0x0
	s_and_b32 s63, s0, 0xffff
	s_add_nc_u64 s[20:21], s[82:83], s[70:71]
	s_mul_u64 s[42:43], s[42:43], s[76:77]
	s_add_nc_u64 s[20:21], s[20:21], s[78:79]
	s_ashr_i32 s72, s72, 31
	v_readfirstlane_b32 s26, v1
	s_wait_alu 0xfffe
	v_rcp_iflag_f32_e32 v1, s24
	v_readfirstlane_b32 s27, v2
	s_mul_u64 s[24:25], s[40:41], s[34:35]
	s_sub_co_i32 s34, 0, s60
	s_mul_f32 s26, s26, 0x4f7ffffe
	s_wait_alu 0xfffe
	s_add_nc_u64 s[24:25], s[24:25], s[42:43]
	s_or_b32 s62, s2, s69
	s_sub_co_i32 s2, 0, s68
	s_cvt_u32_f32 s0, s26
	s_mul_f32 s26, s27, 0x4f7ffffe
	v_readfirstlane_b32 s27, v1
	s_add_nc_u64 s[20:21], s[20:21], s[80:81]
	s_wait_alu 0xfffe
	s_mul_i32 s2, s2, s0
	s_cvt_u32_f32 s26, s26
	s_wait_alu 0xfffe
	s_mul_hi_u32 s2, s0, s2
	s_mul_f32 s27, s27, 0x4f7ffffe
	s_wait_alu 0xfffe
	s_add_co_i32 s70, s0, s2
	s_mul_i32 s34, s34, s26
	s_ashr_i32 s69, s12, 31
	s_cvt_u32_f32 s0, s27
	s_sub_co_i32 s27, 0, s61
	s_mul_hi_u32 s2, s26, s34
	s_add_nc_u64 s[22:23], s[22:23], s[24:25]
	s_wait_alu 0xfffe
	s_mul_i32 s27, s27, s0
	s_add_co_i32 s71, s26, s2
	s_wait_alu 0xfffe
	s_mul_hi_u32 s2, s0, s27
	s_mov_b32 s74, 0
	s_wait_alu 0xfffe
	s_add_co_i32 s73, s0, s2
	s_branch .LBB69_3
.LBB69_2:                               ;   in Loop: Header=BB69_3 Depth=1
	v_add_nc_u32_e32 v0, s63, v0
	s_delay_alu instid0(VALU_DEP_1)
	v_cmp_le_i32_e32 vcc_lo, s7, v0
	s_or_b32 s74, vcc_lo, s74
	s_wait_alu 0xfffe
	s_and_not1_b32 exec_lo, exec_lo, s74
	s_cbranch_execz .LBB69_21
.LBB69_3:                               ; =>This Loop Header: Depth=1
                                        ;     Child Loop BB69_6 Depth 2
                                        ;       Child Loop BB69_9 Depth 3
                                        ;         Child Loop BB69_12 Depth 4
                                        ;           Child Loop BB69_15 Depth 5
	v_sub_nc_u32_e32 v1, 0, v0
	s_delay_alu instid0(VALU_DEP_1) | instskip(NEXT) | instid1(VALU_DEP_1)
	v_max_i32_e32 v1, v0, v1
	v_mul_hi_u32 v2, v1, s70
	s_delay_alu instid0(VALU_DEP_1) | instskip(NEXT) | instid1(VALU_DEP_1)
	v_mul_lo_u32 v3, v2, s68
	v_sub_nc_u32_e32 v3, v1, v3
	s_delay_alu instid0(VALU_DEP_1) | instskip(SKIP_2) | instid1(VALU_DEP_2)
	v_subrev_nc_u32_e32 v5, s68, v3
	v_cmp_le_u32_e32 vcc_lo, s68, v3
	s_wait_alu 0xfffd
	v_dual_cndmask_b32 v3, v3, v5 :: v_dual_add_nc_u32 v4, 1, v2
	s_delay_alu instid0(VALU_DEP_1) | instskip(SKIP_1) | instid1(VALU_DEP_3)
	v_cndmask_b32_e32 v2, v2, v4, vcc_lo
	v_ashrrev_i32_e32 v4, 31, v0
	v_cmp_le_u32_e32 vcc_lo, s68, v3
	s_delay_alu instid0(VALU_DEP_3) | instskip(NEXT) | instid1(VALU_DEP_3)
	v_add_nc_u32_e32 v5, 1, v2
	v_xor_b32_e32 v6, s69, v4
	v_xor_b32_e32 v4, s72, v4
	s_wait_alu 0xfffd
	s_delay_alu instid0(VALU_DEP_3) | instskip(SKIP_1) | instid1(VALU_DEP_2)
	v_cndmask_b32_e32 v2, v2, v5, vcc_lo
	v_mul_hi_u32 v5, v1, s73
	v_xor_b32_e32 v2, v2, v6
	s_delay_alu instid0(VALU_DEP_2) | instskip(NEXT) | instid1(VALU_DEP_2)
	v_mul_lo_u32 v9, v5, s61
	v_sub_nc_u32_e32 v2, v2, v6
	s_delay_alu instid0(VALU_DEP_1) | instskip(NEXT) | instid1(VALU_DEP_3)
	v_sub_nc_u32_e32 v3, 0, v2
	v_sub_nc_u32_e32 v1, v1, v9
	s_delay_alu instid0(VALU_DEP_2) | instskip(NEXT) | instid1(VALU_DEP_2)
	v_max_i32_e32 v3, v2, v3
	v_subrev_nc_u32_e32 v9, s61, v1
	v_cmp_le_u32_e32 vcc_lo, s61, v1
	s_delay_alu instid0(VALU_DEP_3) | instskip(SKIP_1) | instid1(VALU_DEP_3)
	v_mul_hi_u32 v6, v3, s71
	s_wait_alu 0xfffd
	v_cndmask_b32_e32 v1, v1, v9, vcc_lo
	s_delay_alu instid0(VALU_DEP_2) | instskip(NEXT) | instid1(VALU_DEP_1)
	v_mul_lo_u32 v6, v6, s60
	v_sub_nc_u32_e32 v3, v3, v6
	v_add_nc_u32_e32 v6, 1, v5
	s_delay_alu instid0(VALU_DEP_2) | instskip(NEXT) | instid1(VALU_DEP_2)
	v_subrev_nc_u32_e32 v10, s60, v3
	v_cndmask_b32_e32 v5, v5, v6, vcc_lo
	v_cmp_le_u32_e64 s0, s60, v3
	v_cmp_le_u32_e32 vcc_lo, s61, v1
	s_delay_alu instid0(VALU_DEP_3) | instskip(SKIP_1) | instid1(VALU_DEP_3)
	v_add_nc_u32_e32 v6, 1, v5
	s_wait_alu 0xf1ff
	v_cndmask_b32_e64 v3, v3, v10, s0
	s_wait_alu 0xfffd
	s_delay_alu instid0(VALU_DEP_2) | instskip(NEXT) | instid1(VALU_DEP_2)
	v_cndmask_b32_e32 v1, v5, v6, vcc_lo
	v_subrev_nc_u32_e32 v9, s60, v3
	v_cmp_le_u32_e32 vcc_lo, s60, v3
	v_ashrrev_i32_e32 v5, 31, v2
	v_mul_lo_u32 v2, v2, s12
	v_xor_b32_e32 v1, v1, v4
	s_wait_alu 0xfffd
	v_cndmask_b32_e32 v3, v3, v9, vcc_lo
	v_mov_b32_e32 v9, 0
	s_and_not1_b32 vcc_lo, exec_lo, s33
	v_sub_nc_u32_e32 v10, v1, v4
	s_delay_alu instid0(VALU_DEP_3) | instskip(SKIP_1) | instid1(VALU_DEP_2)
	v_xor_b32_e32 v3, v3, v5
	v_sub_nc_u32_e32 v12, v0, v2
	v_sub_nc_u32_e32 v11, v3, v5
	s_wait_alu 0xfffe
	s_cbranch_vccnz .LBB69_17
; %bb.4:                                ;   in Loop: Header=BB69_3 Depth=1
	v_mul_lo_u32 v1, v10, s13
	s_delay_alu instid0(VALU_DEP_2) | instskip(SKIP_4) | instid1(VALU_DEP_4)
	v_mul_lo_u32 v2, v11, s14
	v_mul_lo_u32 v3, v12, s15
	v_mov_b32_e32 v9, 0
	s_mov_b32 s2, 0
	s_mov_b64 s[24:25], s[22:23]
	v_subrev_nc_u32_e32 v1, s19, v1
	s_delay_alu instid0(VALU_DEP_4) | instskip(NEXT) | instid1(VALU_DEP_4)
	v_subrev_nc_u32_e32 v2, s28, v2
	v_subrev_nc_u32_e32 v13, s29, v3
	s_branch .LBB69_6
.LBB69_5:                               ;   in Loop: Header=BB69_6 Depth=2
	s_add_co_i32 s2, s2, 1
	s_add_nc_u64 s[24:25], s[24:25], s[38:39]
	s_wait_alu 0xfffe
	s_cmp_eq_u32 s2, s9
	s_cbranch_scc1 .LBB69_17
.LBB69_6:                               ;   Parent Loop BB69_3 Depth=1
                                        ; =>  This Loop Header: Depth=2
                                        ;       Child Loop BB69_9 Depth 3
                                        ;         Child Loop BB69_12 Depth 4
                                        ;           Child Loop BB69_15 Depth 5
	s_and_not1_b32 vcc_lo, exec_lo, s50
	s_wait_alu 0xfffe
	s_cbranch_vccnz .LBB69_5
; %bb.7:                                ;   in Loop: Header=BB69_6 Depth=2
	s_mul_u64 s[26:27], s[58:59], s[2:3]
	s_mov_b32 s75, 0
	s_wait_alu 0xfffe
	s_add_nc_u64 s[26:27], s[10:11], s[26:27]
	s_mov_b64 s[34:35], s[24:25]
	s_branch .LBB69_9
.LBB69_8:                               ;   in Loop: Header=BB69_9 Depth=3
	s_add_co_i32 s75, s75, 1
	s_add_nc_u64 s[34:35], s[34:35], s[36:37]
	s_wait_alu 0xfffe
	s_cmp_eq_u32 s75, s30
	s_cbranch_scc1 .LBB69_5
.LBB69_9:                               ;   Parent Loop BB69_3 Depth=1
                                        ;     Parent Loop BB69_6 Depth=2
                                        ; =>    This Loop Header: Depth=3
                                        ;         Child Loop BB69_12 Depth 4
                                        ;           Child Loop BB69_15 Depth 5
	s_and_not1_b32 vcc_lo, exec_lo, s51
	s_wait_alu 0xfffe
	s_cbranch_vccnz .LBB69_8
; %bb.10:                               ;   in Loop: Header=BB69_9 Depth=3
	v_mad_co_u64_u32 v[5:6], null, s75, s16, v[1:2]
	s_mov_b32 s76, 0
	s_mov_b64 s[40:41], s[34:35]
	v_mad_co_u64_u32 v[3:4], null, s56, v5, s[26:27]
	v_cmp_gt_i32_e32 vcc_lo, 0, v5
	v_cmp_le_i32_e64 s0, s4, v5
	s_or_b32 s77, vcc_lo, s0
	v_mad_co_u64_u32 v[14:15], null, s57, v5, v[4:5]
	s_delay_alu instid0(VALU_DEP_1)
	v_mov_b32_e32 v4, v14
	s_branch .LBB69_12
.LBB69_11:                              ;   in Loop: Header=BB69_12 Depth=4
	s_add_co_i32 s76, s76, 1
	s_add_nc_u64 s[40:41], s[40:41], s[66:67]
	s_wait_alu 0xfffe
	s_cmp_eq_u32 s76, s31
	s_cbranch_scc1 .LBB69_8
.LBB69_12:                              ;   Parent Loop BB69_3 Depth=1
                                        ;     Parent Loop BB69_6 Depth=2
                                        ;       Parent Loop BB69_9 Depth=3
                                        ; =>      This Loop Header: Depth=4
                                        ;           Child Loop BB69_15 Depth 5
	s_and_not1_b32 vcc_lo, exec_lo, s1
	s_wait_alu 0xfffe
	s_cbranch_vccnz .LBB69_11
; %bb.13:                               ;   in Loop: Header=BB69_12 Depth=4
	v_mad_co_u64_u32 v[14:15], null, s76, s17, v[2:3]
	s_mov_b64 s[42:43], s[40:41]
	s_mov_b32 s79, s8
	v_mad_co_u64_u32 v[5:6], null, s54, v14, v[3:4]
	v_cmp_gt_i32_e32 vcc_lo, 0, v14
	v_cmp_le_i32_e64 s0, s5, v14
	s_or_b32 s0, vcc_lo, s0
	v_mad_co_u64_u32 v[15:16], null, s55, v14, v[6:7]
	v_mov_b32_e32 v14, v13
	s_wait_alu 0xfffe
	s_or_b32 s78, s77, s0
	s_delay_alu instid0(VALU_DEP_2)
	v_mov_b32_e32 v6, v15
	s_branch .LBB69_15
.LBB69_14:                              ;   in Loop: Header=BB69_15 Depth=5
	s_wait_alu 0xfffe
	s_or_b32 exec_lo, exec_lo, s0
	v_add_nc_u32_e32 v14, s18, v14
	s_add_co_i32 s79, s79, -1
	s_add_nc_u64 s[42:43], s[42:43], s[64:65]
	s_cmp_eq_u32 s79, 0
	s_cbranch_scc1 .LBB69_11
.LBB69_15:                              ;   Parent Loop BB69_3 Depth=1
                                        ;     Parent Loop BB69_6 Depth=2
                                        ;       Parent Loop BB69_9 Depth=3
                                        ;         Parent Loop BB69_12 Depth=4
                                        ; =>        This Inner Loop Header: Depth=5
	v_cmp_gt_i32_e32 vcc_lo, 0, v14
	v_cmp_le_i32_e64 s0, s6, v14
	s_or_b32 s0, vcc_lo, s0
	s_wait_alu 0xfffe
	s_nor_b32 s80, s78, s0
	s_wait_alu 0xfffe
	s_and_saveexec_b32 s0, s80
	s_cbranch_execz .LBB69_14
; %bb.16:                               ;   in Loop: Header=BB69_15 Depth=5
	v_mad_co_u64_u32 v[15:16], null, s52, v14, v[5:6]
	s_load_i8 s80, s[42:43], 0x0
	v_mad_co_u64_u32 v[16:17], null, s53, v14, v[16:17]
	global_load_i8 v15, v[15:16], off
	s_wait_loadcnt 0x0
	s_wait_kmcnt 0x0
	v_mad_i32_i24 v9, s80, v15, v9
	s_branch .LBB69_14
.LBB69_17:                              ;   in Loop: Header=BB69_3 Depth=1
	s_delay_alu instid0(VALU_DEP_2) | instskip(SKIP_3) | instid1(VALU_DEP_4)
	v_ashrrev_i32_e32 v3, 31, v12
	v_mul_lo_u32 v4, s45, v12
	v_mad_co_u64_u32 v[1:2], null, s44, v12, 0
	v_ashrrev_i32_e32 v5, 31, v11
	v_mul_lo_u32 v3, s44, v3
	s_and_b32 vcc_lo, exec_lo, s62
	s_mov_b32 s0, -1
	s_delay_alu instid0(VALU_DEP_1) | instskip(SKIP_2) | instid1(VALU_DEP_3)
	v_add3_u32 v2, v2, v3, v4
	v_mul_lo_u32 v3, s47, v11
	v_mul_lo_u32 v4, s46, v5
	v_mad_co_u64_u32 v[1:2], null, s46, v11, v[1:2]
	s_delay_alu instid0(VALU_DEP_1) | instskip(SKIP_2) | instid1(VALU_DEP_3)
	v_add3_u32 v2, v3, v2, v4
	v_ashrrev_i32_e32 v3, 31, v10
	v_mul_lo_u32 v4, s49, v10
	v_mad_co_u64_u32 v[1:2], null, s48, v10, v[1:2]
	s_delay_alu instid0(VALU_DEP_3) | instskip(NEXT) | instid1(VALU_DEP_1)
	v_mul_lo_u32 v3, s48, v3
	v_add3_u32 v2, v4, v2, v3
	s_delay_alu instid0(VALU_DEP_1)
	v_lshlrev_b64_e32 v[1:2], 2, v[1:2]
	s_wait_alu 0xfffe
	s_cbranch_vccz .LBB69_19
; %bb.18:                               ;   in Loop: Header=BB69_3 Depth=1
	s_delay_alu instid0(VALU_DEP_1) | instskip(SKIP_1) | instid1(VALU_DEP_2)
	v_add_co_u32 v3, vcc_lo, s20, v1
	s_wait_alu 0xfffd
	v_add_co_ci_u32_e64 v4, null, s21, v2, vcc_lo
	v_mul_lo_u32 v5, v9, v7
	s_mov_b32 s0, 0
	global_load_b32 v6, v[3:4], off
	s_wait_loadcnt 0x0
	v_mad_co_u64_u32 v[5:6], null, v6, v8, v[5:6]
	global_store_b32 v[3:4], v5, off
.LBB69_19:                              ;   in Loop: Header=BB69_3 Depth=1
	s_wait_alu 0xfffe
	s_and_not1_b32 vcc_lo, exec_lo, s0
	s_wait_alu 0xfffe
	s_cbranch_vccnz .LBB69_2
; %bb.20:                               ;   in Loop: Header=BB69_3 Depth=1
	v_add_co_u32 v1, vcc_lo, s20, v1
	s_wait_alu 0xfffd
	v_add_co_ci_u32_e64 v2, null, s21, v2, vcc_lo
	global_store_b32 v[1:2], v9, off
	s_branch .LBB69_2
.LBB69_21:
	s_endpgm
	.section	.rodata,"a",@progbits
	.p2align	6, 0x0
	.amdhsa_kernel naive_conv_ab_nonpacked_fwd_ncdhw_int8_t_int32_t_int32_t_0
		.amdhsa_group_segment_fixed_size 0
		.amdhsa_private_segment_fixed_size 0
		.amdhsa_kernarg_size 528
		.amdhsa_user_sgpr_count 2
		.amdhsa_user_sgpr_dispatch_ptr 0
		.amdhsa_user_sgpr_queue_ptr 0
		.amdhsa_user_sgpr_kernarg_segment_ptr 1
		.amdhsa_user_sgpr_dispatch_id 0
		.amdhsa_user_sgpr_private_segment_size 0
		.amdhsa_wavefront_size32 1
		.amdhsa_uses_dynamic_stack 0
		.amdhsa_enable_private_segment 0
		.amdhsa_system_sgpr_workgroup_id_x 1
		.amdhsa_system_sgpr_workgroup_id_y 0
		.amdhsa_system_sgpr_workgroup_id_z 0
		.amdhsa_system_sgpr_workgroup_info 0
		.amdhsa_system_vgpr_workitem_id 0
		.amdhsa_next_free_vgpr 18
		.amdhsa_next_free_sgpr 84
		.amdhsa_reserve_vcc 1
		.amdhsa_float_round_mode_32 0
		.amdhsa_float_round_mode_16_64 0
		.amdhsa_float_denorm_mode_32 3
		.amdhsa_float_denorm_mode_16_64 3
		.amdhsa_fp16_overflow 0
		.amdhsa_workgroup_processor_mode 1
		.amdhsa_memory_ordered 1
		.amdhsa_forward_progress 1
		.amdhsa_inst_pref_size 15
		.amdhsa_round_robin_scheduling 0
		.amdhsa_exception_fp_ieee_invalid_op 0
		.amdhsa_exception_fp_denorm_src 0
		.amdhsa_exception_fp_ieee_div_zero 0
		.amdhsa_exception_fp_ieee_overflow 0
		.amdhsa_exception_fp_ieee_underflow 0
		.amdhsa_exception_fp_ieee_inexact 0
		.amdhsa_exception_int_div_zero 0
	.end_amdhsa_kernel
	.text
.Lfunc_end69:
	.size	naive_conv_ab_nonpacked_fwd_ncdhw_int8_t_int32_t_int32_t_0, .Lfunc_end69-naive_conv_ab_nonpacked_fwd_ncdhw_int8_t_int32_t_int32_t_0
                                        ; -- End function
	.set naive_conv_ab_nonpacked_fwd_ncdhw_int8_t_int32_t_int32_t_0.num_vgpr, 18
	.set naive_conv_ab_nonpacked_fwd_ncdhw_int8_t_int32_t_int32_t_0.num_agpr, 0
	.set naive_conv_ab_nonpacked_fwd_ncdhw_int8_t_int32_t_int32_t_0.numbered_sgpr, 84
	.set naive_conv_ab_nonpacked_fwd_ncdhw_int8_t_int32_t_int32_t_0.num_named_barrier, 0
	.set naive_conv_ab_nonpacked_fwd_ncdhw_int8_t_int32_t_int32_t_0.private_seg_size, 0
	.set naive_conv_ab_nonpacked_fwd_ncdhw_int8_t_int32_t_int32_t_0.uses_vcc, 1
	.set naive_conv_ab_nonpacked_fwd_ncdhw_int8_t_int32_t_int32_t_0.uses_flat_scratch, 0
	.set naive_conv_ab_nonpacked_fwd_ncdhw_int8_t_int32_t_int32_t_0.has_dyn_sized_stack, 0
	.set naive_conv_ab_nonpacked_fwd_ncdhw_int8_t_int32_t_int32_t_0.has_recursion, 0
	.set naive_conv_ab_nonpacked_fwd_ncdhw_int8_t_int32_t_int32_t_0.has_indirect_call, 0
	.section	.AMDGPU.csdata,"",@progbits
; Kernel info:
; codeLenInByte = 1892
; TotalNumSgprs: 86
; NumVgprs: 18
; ScratchSize: 0
; MemoryBound: 0
; FloatMode: 240
; IeeeMode: 1
; LDSByteSize: 0 bytes/workgroup (compile time only)
; SGPRBlocks: 0
; VGPRBlocks: 2
; NumSGPRsForWavesPerEU: 86
; NumVGPRsForWavesPerEU: 18
; Occupancy: 16
; WaveLimiterHint : 1
; COMPUTE_PGM_RSRC2:SCRATCH_EN: 0
; COMPUTE_PGM_RSRC2:USER_SGPR: 2
; COMPUTE_PGM_RSRC2:TRAP_HANDLER: 0
; COMPUTE_PGM_RSRC2:TGID_X_EN: 1
; COMPUTE_PGM_RSRC2:TGID_Y_EN: 0
; COMPUTE_PGM_RSRC2:TGID_Z_EN: 0
; COMPUTE_PGM_RSRC2:TIDIG_COMP_CNT: 0
	.text
	.protected	naive_conv_ab_packed_fwd_ncdhw_int8_t_int32_t_float_0 ; -- Begin function naive_conv_ab_packed_fwd_ncdhw_int8_t_int32_t_float_0
	.globl	naive_conv_ab_packed_fwd_ncdhw_int8_t_int32_t_float_0
	.p2align	8
	.type	naive_conv_ab_packed_fwd_ncdhw_int8_t_int32_t_float_0,@function
naive_conv_ab_packed_fwd_ncdhw_int8_t_int32_t_float_0: ; @naive_conv_ab_packed_fwd_ncdhw_int8_t_int32_t_float_0
; %bb.0:
	s_load_b512 s[4:19], s[0:1], 0xb8
	s_mov_b32 s25, exec_lo
	s_wait_kmcnt 0x0
	s_abs_i32 s3, s8
	s_mul_i32 s52, s12, s11
	s_cvt_f32_u32 s2, s3
	s_mul_i32 s33, s52, s10
	s_delay_alu instid0(SALU_CYCLE_2) | instskip(NEXT) | instid1(TRANS32_DEP_1)
	v_rcp_iflag_f32_e32 v1, s2
	v_readfirstlane_b32 s2, v1
	s_mul_f32 s2, s2, 0x4f7ffffe
	s_wait_alu 0xfffe
	s_delay_alu instid0(SALU_CYCLE_2) | instskip(SKIP_2) | instid1(SALU_CYCLE_1)
	s_cvt_u32_f32 s20, s2
	s_sub_co_i32 s2, 0, s3
	s_wait_alu 0xfffe
	s_mul_i32 s2, s2, s20
	s_wait_alu 0xfffe
	s_mul_hi_u32 s21, s20, s2
	s_abs_i32 s2, ttmp9
	s_add_co_i32 s20, s20, s21
	s_wait_alu 0xfffe
	s_mul_hi_u32 s20, s2, s20
	s_delay_alu instid0(SALU_CYCLE_1) | instskip(SKIP_2) | instid1(SALU_CYCLE_1)
	s_mul_i32 s21, s20, s3
	s_add_co_i32 s22, s20, 1
	s_sub_co_i32 s21, s2, s21
	s_sub_co_i32 s23, s21, s3
	s_cmp_ge_u32 s21, s3
	s_cselect_b32 s20, s22, s20
	s_cselect_b32 s21, s23, s21
	s_add_co_i32 s23, s20, 1
	s_cmp_ge_u32 s21, s3
	s_mul_i32 s22, s8, s7
	s_cselect_b32 s23, s23, s20
	s_abs_i32 s20, s7
	s_abs_i32 s7, s22
	s_cvt_f32_u32 s3, s20
	s_cvt_f32_u32 s21, s7
	s_wait_alu 0xfffe
	s_delay_alu instid0(SALU_CYCLE_1) | instskip(NEXT) | instid1(SALU_CYCLE_1)
	v_rcp_iflag_f32_e32 v1, s3
	v_rcp_iflag_f32_e32 v2, s21
	s_mov_b32 s3, 0
	s_delay_alu instid0(TRANS32_DEP_2) | instskip(NEXT) | instid1(TRANS32_DEP_1)
	v_readfirstlane_b32 s21, v1
	v_readfirstlane_b32 s24, v2
	v_cmpx_gt_i32_e64 s33, v0
	s_cbranch_execz .LBB70_19
; %bb.1:
	s_mul_f32 s25, s21, 0x4f7ffffe
	s_ashr_i32 s28, ttmp9, 31
	s_ashr_i32 s21, s8, 31
	s_sub_co_i32 s26, 0, s20
	s_cvt_u32_f32 s25, s25
	s_wait_alu 0xfffe
	s_xor_b32 s27, s28, s21
	s_mul_f32 s29, s24, 0x4f7ffffe
	s_xor_b32 s23, s23, s27
	s_mul_i32 s26, s26, s25
	s_sub_co_i32 s23, s23, s27
	s_mul_hi_u32 s26, s25, s26
	s_cvt_u32_f32 s29, s29
	s_abs_i32 s24, s23
	s_add_co_i32 s26, s25, s26
	s_mov_b32 s25, s3
	s_mov_b32 s27, s3
	s_sub_co_i32 s30, 0, s7
	s_mul_u64 s[26:27], s[24:25], s[26:27]
	s_mul_i32 s30, s30, s29
	s_ashr_i32 s31, s23, 31
	s_mul_hi_u32 s25, s29, s30
	s_ashr_i32 s30, s22, 31
	s_mul_i32 s22, s27, s20
	s_mul_i32 s23, s23, s8
	s_sub_co_i32 s24, s24, s22
	s_add_co_i32 s26, s29, s25
	s_sub_co_i32 s22, ttmp9, s23
	s_sub_co_i32 s23, s24, s20
	s_cmp_ge_u32 s24, s20
	s_mov_b32 s27, s3
	s_cselect_b32 s23, s23, s24
	s_mul_u64 s[24:25], s[2:3], s[26:27]
	s_sub_co_i32 s24, s23, s20
	s_cmp_ge_u32 s23, s20
	s_load_b64 s[34:35], s[0:1], 0x108
	s_cselect_b32 s20, s24, s23
	s_xor_b32 s23, s28, s30
	s_wait_alu 0xfffe
	s_xor_b32 s20, s20, s31
	s_mov_b32 s26, s10
	s_wait_alu 0xfffe
	s_sub_co_i32 s50, s20, s31
	s_mul_i32 s20, s25, s7
	s_load_b128 s[28:31], s[0:1], 0xf8
	s_sub_co_i32 s2, s2, s20
	s_add_co_i32 s20, s25, 1
	s_wait_alu 0xfffe
	s_sub_co_i32 s24, s2, s7
	s_cmp_ge_u32 s2, s7
	s_mov_b32 s44, s11
	s_cselect_b32 s20, s20, s25
	s_cselect_b32 s2, s24, s2
	s_wait_alu 0xfffe
	s_add_co_i32 s24, s20, 1
	s_cmp_ge_u32 s2, s7
	s_mov_b32 s46, s12
	s_cselect_b32 s2, s24, s20
	s_mov_b32 s20, s8
	s_wait_alu 0xfffe
	s_xor_b32 s2, s2, s23
	s_wait_kmcnt 0x0
	s_mul_i32 s24, s35, s8
	s_wait_alu 0xfffe
	s_sub_co_i32 s58, s2, s23
	s_ashr_i32 s51, s50, 31
	s_ashr_i32 s59, s58, 31
	;; [unrolled: 1-line block ×3, first 2 shown]
	s_mul_u64 s[20:21], s[58:59], s[20:21]
	s_ashr_i32 s25, s24, 31
	s_ashr_i32 s27, s10, 31
	;; [unrolled: 1-line block ×3, first 2 shown]
	s_mul_u64 s[24:25], s[50:51], s[24:25]
	s_mul_u64 s[26:27], s[44:45], s[26:27]
	s_wait_alu 0xfffe
	s_add_nc_u64 s[62:63], s[20:21], s[22:23]
	s_ashr_i32 s47, s12, 31
	s_add_nc_u64 s[20:21], s[62:63], s[24:25]
	s_mul_u64 s[22:23], s[26:27], s[46:47]
	s_mul_i32 s54, s35, s9
	s_wait_alu 0xfffe
	s_mul_u64 s[20:21], s[22:23], s[20:21]
	s_ashr_i32 s55, s54, 31
	s_wait_alu 0xfffe
	s_lshl_b64 s[60:61], s[20:21], 2
	s_load_b256 s[20:27], s[0:1], 0x0
	s_ashr_i32 s37, s4, 31
	s_ashr_i32 s39, s5, 31
	;; [unrolled: 1-line block ×7, first 2 shown]
	s_cmp_gt_i32 s9, 0
	s_mul_u64 s[50:51], s[50:51], s[54:55]
	s_cselect_b32 s45, -1, 0
	s_cmp_gt_i32 s30, 0
	s_load_b32 s53, s[0:1], 0x11c
	s_cselect_b32 s54, -1, 0
	s_cmp_gt_i32 s31, 0
	s_mov_b32 s40, s9
	s_cselect_b32 s55, -1, 0
	s_cmp_gt_i32 s34, 0
	s_load_b64 s[8:9], s[0:1], 0x20
	s_cselect_b32 s56, -1, 0
	s_abs_i32 s12, s12
	s_abs_i32 s1, s11
	s_cvt_f32_u32 s2, s12
	s_cvt_f32_u32 s0, s1
	s_mov_b32 s36, s4
	s_mov_b32 s38, s5
	s_wait_alu 0xfffe
	v_rcp_iflag_f32_e32 v1, s2
	v_rcp_iflag_f32_e32 v2, s0
	s_wait_kmcnt 0x0
	v_cmp_neq_f64_e64 s0, s[24:25], 1.0
	v_cmp_neq_f64_e64 s2, s[26:27], 0
	v_cvt_i32_f64_e32 v10, s[24:25]
	v_cvt_i32_f64_e32 v11, s[26:27]
	s_mul_u64 s[4:5], s[58:59], s[40:41]
	s_mul_u64 s[58:59], s[38:39], s[36:37]
	s_add_nc_u64 s[4:5], s[4:5], s[50:51]
	s_mul_u64 s[10:11], s[58:59], s[6:7]
	s_abs_i32 s57, s52
	s_mul_u64 s[4:5], s[10:11], s[4:5]
	s_cvt_f32_u32 s11, s57
	v_readfirstlane_b32 s10, v1
	s_add_nc_u64 s[4:5], s[20:21], s[4:5]
	v_readfirstlane_b32 s20, v2
	v_rcp_iflag_f32_e32 v1, s11
	s_sub_co_i32 s24, 0, s1
	s_mul_f32 s10, s10, 0x4f7ffffe
	s_mov_b32 s48, s31
	s_mul_f32 s11, s20, 0x4f7ffffe
	s_sub_co_i32 s20, 0, s12
	s_wait_alu 0xfffe
	s_cvt_u32_f32 s10, s10
	s_mov_b32 s42, s30
	s_cvt_u32_f32 s21, s11
	s_add_nc_u64 s[8:9], s[8:9], s[60:61]
	v_readfirstlane_b32 s11, v1
	s_wait_alu 0xfffe
	s_mul_i32 s20, s20, s10
	s_mul_i32 s24, s24, s21
	s_wait_alu 0xfffe
	s_mul_hi_u32 s20, s10, s20
	s_mul_hi_u32 s24, s21, s24
	s_wait_alu 0xfffe
	s_add_co_i32 s59, s10, s20
	s_mul_f32 s20, s11, 0x4f7ffffe
	s_mul_u64 s[10:11], s[34:35], s[48:49]
	s_add_co_i32 s49, s21, s24
	s_sub_co_i32 s24, 0, s57
	s_wait_alu 0xfffe
	s_cvt_u32_f32 s26, s20
	s_mul_u64 s[20:21], s[10:11], s[42:43]
	s_and_b32 s58, s53, 0xffff
	s_ashr_i32 s60, s52, 31
	s_wait_alu 0xfffe
	s_mul_i32 s27, s24, s26
	s_mul_u64 s[24:25], s[20:21], s[62:63]
	s_wait_alu 0xfffe
	s_mul_hi_u32 s27, s26, s27
	s_mul_u64 s[24:25], s[24:25], s[40:41]
	s_or_b32 s41, s0, s2
	s_wait_alu 0xfffe
	s_add_co_i32 s43, s26, s27
	s_add_nc_u64 s[22:23], s[22:23], s[24:25]
	s_mov_b32 s61, 0
	s_branch .LBB70_3
.LBB70_2:                               ;   in Loop: Header=BB70_3 Depth=1
	v_add_nc_u32_e32 v0, s58, v0
	s_delay_alu instid0(VALU_DEP_2) | instskip(NEXT) | instid1(VALU_DEP_2)
	v_cvt_f32_i32_e32 v1, v1
	v_cmp_le_i32_e32 vcc_lo, s33, v0
	global_store_b32 v[3:4], v1, off
	s_or_b32 s61, vcc_lo, s61
	s_wait_alu 0xfffe
	s_and_not1_b32 exec_lo, exec_lo, s61
	s_cbranch_execz .LBB70_19
.LBB70_3:                               ; =>This Loop Header: Depth=1
                                        ;     Child Loop BB70_6 Depth 2
                                        ;       Child Loop BB70_9 Depth 3
                                        ;         Child Loop BB70_12 Depth 4
                                        ;           Child Loop BB70_15 Depth 5
	v_sub_nc_u32_e32 v1, 0, v0
	s_delay_alu instid0(VALU_DEP_1) | instskip(NEXT) | instid1(VALU_DEP_1)
	v_max_i32_e32 v1, v0, v1
	v_mul_hi_u32 v2, v1, s59
	s_delay_alu instid0(VALU_DEP_1) | instskip(NEXT) | instid1(VALU_DEP_1)
	v_mul_lo_u32 v3, v2, s12
	v_sub_nc_u32_e32 v3, v1, v3
	s_delay_alu instid0(VALU_DEP_1) | instskip(SKIP_2) | instid1(VALU_DEP_2)
	v_subrev_nc_u32_e32 v5, s12, v3
	v_cmp_le_u32_e32 vcc_lo, s12, v3
	s_wait_alu 0xfffd
	v_dual_cndmask_b32 v3, v3, v5 :: v_dual_add_nc_u32 v4, 1, v2
	s_delay_alu instid0(VALU_DEP_1) | instskip(SKIP_1) | instid1(VALU_DEP_3)
	v_cndmask_b32_e32 v2, v2, v4, vcc_lo
	v_ashrrev_i32_e32 v4, 31, v0
	v_cmp_le_u32_e32 vcc_lo, s12, v3
	s_delay_alu instid0(VALU_DEP_3) | instskip(NEXT) | instid1(VALU_DEP_3)
	v_add_nc_u32_e32 v5, 1, v2
	v_xor_b32_e32 v6, s47, v4
	v_xor_b32_e32 v4, s60, v4
	s_wait_alu 0xfffd
	s_delay_alu instid0(VALU_DEP_3) | instskip(SKIP_1) | instid1(VALU_DEP_1)
	v_cndmask_b32_e32 v2, v2, v5, vcc_lo
	v_mul_hi_u32 v5, v1, s43
	v_mul_lo_u32 v7, v5, s57
	s_delay_alu instid0(VALU_DEP_1) | instskip(NEXT) | instid1(VALU_DEP_1)
	v_sub_nc_u32_e32 v1, v1, v7
	v_subrev_nc_u32_e32 v7, s57, v1
	v_cmp_le_u32_e32 vcc_lo, s57, v1
	s_wait_alu 0xfffd
	s_delay_alu instid0(VALU_DEP_2) | instskip(SKIP_1) | instid1(VALU_DEP_1)
	v_cndmask_b32_e32 v1, v1, v7, vcc_lo
	v_xor_b32_e32 v2, v2, v6
	v_sub_nc_u32_e32 v2, v2, v6
	s_delay_alu instid0(VALU_DEP_1) | instskip(NEXT) | instid1(VALU_DEP_1)
	v_sub_nc_u32_e32 v3, 0, v2
	v_max_i32_e32 v3, v2, v3
	s_delay_alu instid0(VALU_DEP_1) | instskip(NEXT) | instid1(VALU_DEP_1)
	v_mul_hi_u32 v6, v3, s49
	v_mul_lo_u32 v6, v6, s1
	s_delay_alu instid0(VALU_DEP_1) | instskip(NEXT) | instid1(VALU_DEP_1)
	v_sub_nc_u32_e32 v3, v3, v6
	v_subrev_nc_u32_e32 v8, s1, v3
	v_cmp_le_u32_e64 s0, s1, v3
	s_wait_alu 0xf1ff
	s_delay_alu instid0(VALU_DEP_1) | instskip(NEXT) | instid1(VALU_DEP_1)
	v_cndmask_b32_e64 v3, v3, v8, s0
	v_subrev_nc_u32_e32 v7, s1, v3
	v_add_nc_u32_e32 v6, 1, v5
	s_delay_alu instid0(VALU_DEP_1) | instskip(SKIP_1) | instid1(VALU_DEP_2)
	v_cndmask_b32_e32 v5, v5, v6, vcc_lo
	v_cmp_le_u32_e32 vcc_lo, s57, v1
	v_add_nc_u32_e32 v6, 1, v5
	s_wait_alu 0xfffd
	s_delay_alu instid0(VALU_DEP_1) | instskip(SKIP_3) | instid1(VALU_DEP_4)
	v_cndmask_b32_e32 v1, v5, v6, vcc_lo
	v_cmp_le_u32_e32 vcc_lo, s1, v3
	v_ashrrev_i32_e32 v5, 31, v2
	v_mul_lo_u32 v2, v2, s46
	v_xor_b32_e32 v1, v1, v4
	s_wait_alu 0xfffd
	v_cndmask_b32_e32 v3, v3, v7, vcc_lo
	s_and_not1_b32 vcc_lo, exec_lo, s45
	s_delay_alu instid0(VALU_DEP_2) | instskip(NEXT) | instid1(VALU_DEP_2)
	v_sub_nc_u32_e32 v12, v1, v4
	v_xor_b32_e32 v3, v3, v5
	v_sub_nc_u32_e32 v2, v0, v2
	v_mov_b32_e32 v1, 0
	s_delay_alu instid0(VALU_DEP_3)
	v_sub_nc_u32_e32 v3, v3, v5
	s_wait_alu 0xfffe
	s_cbranch_vccnz .LBB70_17
; %bb.4:                                ;   in Loop: Header=BB70_3 Depth=1
	v_mul_lo_u32 v1, v12, s13
	s_delay_alu instid0(VALU_DEP_2) | instskip(SKIP_3) | instid1(VALU_DEP_3)
	v_mul_lo_u32 v5, v3, s14
	v_mul_lo_u32 v6, v2, s15
	s_mov_b32 s2, 0
	s_mov_b64 s[24:25], s[22:23]
	v_subrev_nc_u32_e32 v4, s19, v1
	s_delay_alu instid0(VALU_DEP_3) | instskip(NEXT) | instid1(VALU_DEP_3)
	v_subrev_nc_u32_e32 v5, s28, v5
	v_subrev_nc_u32_e32 v13, s29, v6
	v_mov_b32_e32 v1, 0
	s_branch .LBB70_6
.LBB70_5:                               ;   in Loop: Header=BB70_6 Depth=2
	s_add_co_i32 s2, s2, 1
	s_add_nc_u64 s[24:25], s[24:25], s[20:21]
	s_wait_alu 0xfffe
	s_cmp_eq_u32 s2, s40
	s_cbranch_scc1 .LBB70_17
.LBB70_6:                               ;   Parent Loop BB70_3 Depth=1
                                        ; =>  This Loop Header: Depth=2
                                        ;       Child Loop BB70_9 Depth 3
                                        ;         Child Loop BB70_12 Depth 4
                                        ;           Child Loop BB70_15 Depth 5
	s_and_not1_b32 vcc_lo, exec_lo, s54
	s_wait_alu 0xfffe
	s_cbranch_vccnz .LBB70_5
; %bb.7:                                ;   in Loop: Header=BB70_6 Depth=2
	s_mul_u64 s[26:27], s[2:3], s[36:37]
	s_mov_b32 s62, 0
	s_mov_b64 s[30:31], s[24:25]
	s_branch .LBB70_9
.LBB70_8:                               ;   in Loop: Header=BB70_9 Depth=3
	s_add_co_i32 s62, s62, 1
	s_add_nc_u64 s[30:31], s[30:31], s[10:11]
	s_wait_alu 0xfffe
	s_cmp_eq_u32 s62, s42
	s_cbranch_scc1 .LBB70_5
.LBB70_9:                               ;   Parent Loop BB70_3 Depth=1
                                        ;     Parent Loop BB70_6 Depth=2
                                        ; =>    This Loop Header: Depth=3
                                        ;         Child Loop BB70_12 Depth 4
                                        ;           Child Loop BB70_15 Depth 5
	s_and_not1_b32 vcc_lo, exec_lo, s55
	s_wait_alu 0xfffe
	s_cbranch_vccnz .LBB70_8
; %bb.10:                               ;   in Loop: Header=BB70_9 Depth=3
	v_mad_co_u64_u32 v[8:9], null, s62, s16, v[4:5]
	s_mov_b32 s63, 0
	s_mov_b64 s[50:51], s[30:31]
	v_add_co_u32 v6, s0, s26, v8
	s_wait_alu 0xf1ff
	v_add_co_ci_u32_e64 v7, null, s27, 0, s0
	v_cmp_gt_i32_e32 vcc_lo, 0, v8
	s_delay_alu instid0(VALU_DEP_3) | instskip(SKIP_1) | instid1(VALU_DEP_4)
	v_mul_lo_u32 v14, v6, s39
	v_cmp_le_i32_e64 s0, s36, v8
	v_mul_lo_u32 v9, v7, s38
	v_mad_co_u64_u32 v[6:7], null, v6, s38, 0
	s_or_b32 s64, vcc_lo, s0
	v_add3_u32 v7, v7, v14, v9
	s_branch .LBB70_12
.LBB70_11:                              ;   in Loop: Header=BB70_12 Depth=4
	s_add_co_i32 s63, s63, 1
	s_add_nc_u64 s[50:51], s[50:51], s[34:35]
	s_wait_alu 0xfffe
	s_cmp_eq_u32 s63, s48
	s_cbranch_scc1 .LBB70_8
.LBB70_12:                              ;   Parent Loop BB70_3 Depth=1
                                        ;     Parent Loop BB70_6 Depth=2
                                        ;       Parent Loop BB70_9 Depth=3
                                        ; =>      This Loop Header: Depth=4
                                        ;           Child Loop BB70_15 Depth 5
	s_and_not1_b32 vcc_lo, exec_lo, s56
	s_wait_alu 0xfffe
	s_cbranch_vccnz .LBB70_11
; %bb.13:                               ;   in Loop: Header=BB70_12 Depth=4
	v_mad_co_u64_u32 v[14:15], null, s63, s17, v[5:6]
	s_mov_b64 s[52:53], s[50:51]
	s_mov_b32 s66, s34
	v_add_co_u32 v8, vcc_lo, v6, v14
	s_wait_alu 0xfffd
	v_add_co_ci_u32_e64 v9, null, 0, v7, vcc_lo
	v_cmp_gt_i32_e32 vcc_lo, 0, v14
	s_delay_alu instid0(VALU_DEP_3) | instskip(SKIP_1) | instid1(VALU_DEP_4)
	v_mul_lo_u32 v15, v8, s7
	v_cmp_le_i32_e64 s0, s38, v14
	v_mul_lo_u32 v16, v9, s6
	v_mad_co_u64_u32 v[8:9], null, v8, s6, s[4:5]
	v_mov_b32_e32 v14, v13
	s_delay_alu instid0(VALU_DEP_4) | instskip(SKIP_2) | instid1(VALU_DEP_2)
	s_or_b32 s0, vcc_lo, s0
	s_wait_alu 0xfffe
	s_or_b32 s65, s64, s0
	v_add3_u32 v9, v16, v9, v15
	s_branch .LBB70_15
.LBB70_14:                              ;   in Loop: Header=BB70_15 Depth=5
	s_wait_alu 0xfffe
	s_or_b32 exec_lo, exec_lo, s0
	v_add_nc_u32_e32 v14, s18, v14
	s_add_co_i32 s66, s66, -1
	s_add_nc_u64 s[52:53], s[52:53], 1
	s_wait_alu 0xfffe
	s_cmp_eq_u32 s66, 0
	s_cbranch_scc1 .LBB70_11
.LBB70_15:                              ;   Parent Loop BB70_3 Depth=1
                                        ;     Parent Loop BB70_6 Depth=2
                                        ;       Parent Loop BB70_9 Depth=3
                                        ;         Parent Loop BB70_12 Depth=4
                                        ; =>        This Inner Loop Header: Depth=5
	v_cmp_gt_i32_e32 vcc_lo, 0, v14
	v_cmp_le_i32_e64 s0, s6, v14
	s_or_b32 s0, vcc_lo, s0
	s_wait_alu 0xfffe
	s_nor_b32 s67, s65, s0
	s_wait_alu 0xfffe
	s_and_saveexec_b32 s0, s67
	s_cbranch_execz .LBB70_14
; %bb.16:                               ;   in Loop: Header=BB70_15 Depth=5
	v_add_co_u32 v15, vcc_lo, v8, v14
	s_wait_alu 0xfffd
	v_add_co_ci_u32_e64 v16, null, 0, v9, vcc_lo
	s_load_i8 s67, s[52:53], 0x0
	global_load_i8 v15, v[15:16], off
	s_wait_loadcnt 0x0
	s_wait_kmcnt 0x0
	v_mad_i32_i24 v1, s67, v15, v1
	s_branch .LBB70_14
.LBB70_17:                              ;   in Loop: Header=BB70_3 Depth=1
	s_delay_alu instid0(VALU_DEP_1) | instskip(NEXT) | instid1(VALU_DEP_1)
	v_ashrrev_i32_e32 v4, 31, v3
	v_mad_co_i64_i32 v[3:4], null, v12, s44, v[3:4]
	s_delay_alu instid0(VALU_DEP_1) | instskip(NEXT) | instid1(VALU_DEP_2)
	v_mul_lo_u32 v6, v4, s46
	v_mul_lo_u32 v7, v3, s47
	v_mad_co_u64_u32 v[4:5], null, v3, s46, 0
	v_ashrrev_i32_e32 v3, 31, v2
	s_delay_alu instid0(VALU_DEP_2) | instskip(NEXT) | instid1(VALU_DEP_2)
	v_add3_u32 v5, v5, v7, v6
	v_lshlrev_b64_e32 v[6:7], 2, v[2:3]
	s_delay_alu instid0(VALU_DEP_2) | instskip(NEXT) | instid1(VALU_DEP_1)
	v_lshlrev_b64_e32 v[4:5], 2, v[4:5]
	v_add_co_u32 v2, vcc_lo, s8, v4
	s_wait_alu 0xfffd
	s_delay_alu instid0(VALU_DEP_2) | instskip(NEXT) | instid1(VALU_DEP_2)
	v_add_co_ci_u32_e64 v4, null, s9, v5, vcc_lo
	v_add_co_u32 v3, vcc_lo, v2, v6
	s_wait_alu 0xfffd
	s_delay_alu instid0(VALU_DEP_2)
	v_add_co_ci_u32_e64 v4, null, v4, v7, vcc_lo
	s_and_not1_b32 vcc_lo, exec_lo, s41
	s_wait_alu 0xfffe
	s_cbranch_vccnz .LBB70_2
; %bb.18:                               ;   in Loop: Header=BB70_3 Depth=1
	global_load_b32 v2, v[3:4], off
	v_mul_lo_u32 v1, v1, v10
	s_wait_loadcnt 0x0
	v_cvt_i32_f32_e32 v2, v2
	s_delay_alu instid0(VALU_DEP_1)
	v_mad_co_u64_u32 v[1:2], null, v2, v11, v[1:2]
	s_branch .LBB70_2
.LBB70_19:
	s_endpgm
	.section	.rodata,"a",@progbits
	.p2align	6, 0x0
	.amdhsa_kernel naive_conv_ab_packed_fwd_ncdhw_int8_t_int32_t_float_0
		.amdhsa_group_segment_fixed_size 0
		.amdhsa_private_segment_fixed_size 0
		.amdhsa_kernarg_size 528
		.amdhsa_user_sgpr_count 2
		.amdhsa_user_sgpr_dispatch_ptr 0
		.amdhsa_user_sgpr_queue_ptr 0
		.amdhsa_user_sgpr_kernarg_segment_ptr 1
		.amdhsa_user_sgpr_dispatch_id 0
		.amdhsa_user_sgpr_private_segment_size 0
		.amdhsa_wavefront_size32 1
		.amdhsa_uses_dynamic_stack 0
		.amdhsa_enable_private_segment 0
		.amdhsa_system_sgpr_workgroup_id_x 1
		.amdhsa_system_sgpr_workgroup_id_y 0
		.amdhsa_system_sgpr_workgroup_id_z 0
		.amdhsa_system_sgpr_workgroup_info 0
		.amdhsa_system_vgpr_workitem_id 0
		.amdhsa_next_free_vgpr 17
		.amdhsa_next_free_sgpr 68
		.amdhsa_reserve_vcc 1
		.amdhsa_float_round_mode_32 0
		.amdhsa_float_round_mode_16_64 0
		.amdhsa_float_denorm_mode_32 3
		.amdhsa_float_denorm_mode_16_64 3
		.amdhsa_fp16_overflow 0
		.amdhsa_workgroup_processor_mode 1
		.amdhsa_memory_ordered 1
		.amdhsa_forward_progress 1
		.amdhsa_inst_pref_size 16
		.amdhsa_round_robin_scheduling 0
		.amdhsa_exception_fp_ieee_invalid_op 0
		.amdhsa_exception_fp_denorm_src 0
		.amdhsa_exception_fp_ieee_div_zero 0
		.amdhsa_exception_fp_ieee_overflow 0
		.amdhsa_exception_fp_ieee_underflow 0
		.amdhsa_exception_fp_ieee_inexact 0
		.amdhsa_exception_int_div_zero 0
	.end_amdhsa_kernel
	.text
.Lfunc_end70:
	.size	naive_conv_ab_packed_fwd_ncdhw_int8_t_int32_t_float_0, .Lfunc_end70-naive_conv_ab_packed_fwd_ncdhw_int8_t_int32_t_float_0
                                        ; -- End function
	.set naive_conv_ab_packed_fwd_ncdhw_int8_t_int32_t_float_0.num_vgpr, 17
	.set naive_conv_ab_packed_fwd_ncdhw_int8_t_int32_t_float_0.num_agpr, 0
	.set naive_conv_ab_packed_fwd_ncdhw_int8_t_int32_t_float_0.numbered_sgpr, 68
	.set naive_conv_ab_packed_fwd_ncdhw_int8_t_int32_t_float_0.num_named_barrier, 0
	.set naive_conv_ab_packed_fwd_ncdhw_int8_t_int32_t_float_0.private_seg_size, 0
	.set naive_conv_ab_packed_fwd_ncdhw_int8_t_int32_t_float_0.uses_vcc, 1
	.set naive_conv_ab_packed_fwd_ncdhw_int8_t_int32_t_float_0.uses_flat_scratch, 0
	.set naive_conv_ab_packed_fwd_ncdhw_int8_t_int32_t_float_0.has_dyn_sized_stack, 0
	.set naive_conv_ab_packed_fwd_ncdhw_int8_t_int32_t_float_0.has_recursion, 0
	.set naive_conv_ab_packed_fwd_ncdhw_int8_t_int32_t_float_0.has_indirect_call, 0
	.section	.AMDGPU.csdata,"",@progbits
; Kernel info:
; codeLenInByte = 1992
; TotalNumSgprs: 70
; NumVgprs: 17
; ScratchSize: 0
; MemoryBound: 0
; FloatMode: 240
; IeeeMode: 1
; LDSByteSize: 0 bytes/workgroup (compile time only)
; SGPRBlocks: 0
; VGPRBlocks: 2
; NumSGPRsForWavesPerEU: 70
; NumVGPRsForWavesPerEU: 17
; Occupancy: 16
; WaveLimiterHint : 1
; COMPUTE_PGM_RSRC2:SCRATCH_EN: 0
; COMPUTE_PGM_RSRC2:USER_SGPR: 2
; COMPUTE_PGM_RSRC2:TRAP_HANDLER: 0
; COMPUTE_PGM_RSRC2:TGID_X_EN: 1
; COMPUTE_PGM_RSRC2:TGID_Y_EN: 0
; COMPUTE_PGM_RSRC2:TGID_Z_EN: 0
; COMPUTE_PGM_RSRC2:TIDIG_COMP_CNT: 0
	.text
	.protected	naive_conv_ab_nonpacked_fwd_ncdhw_int8_t_int32_t_float_0 ; -- Begin function naive_conv_ab_nonpacked_fwd_ncdhw_int8_t_int32_t_float_0
	.globl	naive_conv_ab_nonpacked_fwd_ncdhw_int8_t_int32_t_float_0
	.p2align	8
	.type	naive_conv_ab_nonpacked_fwd_ncdhw_int8_t_int32_t_float_0,@function
naive_conv_ab_nonpacked_fwd_ncdhw_int8_t_int32_t_float_0: ; @naive_conv_ab_nonpacked_fwd_ncdhw_int8_t_int32_t_float_0
; %bb.0:
	s_load_b512 s[4:19], s[0:1], 0xb8
	s_mov_b32 s25, exec_lo
	s_wait_kmcnt 0x0
	s_abs_i32 s3, s8
	s_mul_i32 s71, s12, s11
	s_cvt_f32_u32 s2, s3
	s_delay_alu instid0(SALU_CYCLE_3) | instskip(NEXT) | instid1(TRANS32_DEP_1)
	v_rcp_iflag_f32_e32 v1, s2
	v_readfirstlane_b32 s2, v1
	s_mul_f32 s2, s2, 0x4f7ffffe
	s_wait_alu 0xfffe
	s_delay_alu instid0(SALU_CYCLE_2) | instskip(SKIP_2) | instid1(SALU_CYCLE_1)
	s_cvt_u32_f32 s20, s2
	s_sub_co_i32 s2, 0, s3
	s_wait_alu 0xfffe
	s_mul_i32 s2, s2, s20
	s_wait_alu 0xfffe
	s_mul_hi_u32 s21, s20, s2
	s_abs_i32 s2, ttmp9
	s_add_co_i32 s20, s20, s21
	s_wait_alu 0xfffe
	s_mul_hi_u32 s20, s2, s20
	s_delay_alu instid0(SALU_CYCLE_1) | instskip(SKIP_2) | instid1(SALU_CYCLE_1)
	s_mul_i32 s21, s20, s3
	s_add_co_i32 s22, s20, 1
	s_sub_co_i32 s21, s2, s21
	s_sub_co_i32 s23, s21, s3
	s_cmp_ge_u32 s21, s3
	s_cselect_b32 s20, s22, s20
	s_cselect_b32 s21, s23, s21
	s_add_co_i32 s23, s20, 1
	s_cmp_ge_u32 s21, s3
	s_mul_i32 s22, s8, s7
	s_cselect_b32 s23, s23, s20
	s_abs_i32 s21, s7
	s_abs_i32 s20, s22
	s_cvt_f32_u32 s3, s21
	s_cvt_f32_u32 s7, s20
	s_wait_alu 0xfffe
	s_delay_alu instid0(SALU_CYCLE_1) | instskip(NEXT) | instid1(SALU_CYCLE_1)
	v_rcp_iflag_f32_e32 v1, s3
	v_rcp_iflag_f32_e32 v2, s7
	s_mul_i32 s7, s71, s10
	s_mov_b32 s3, 0
	s_delay_alu instid0(TRANS32_DEP_2) | instskip(NEXT) | instid1(TRANS32_DEP_1)
	v_readfirstlane_b32 s24, v1
	v_readfirstlane_b32 s10, v2
	s_wait_alu 0xfffe
	v_cmpx_gt_i32_e64 s7, v0
	s_cbranch_execz .LBB71_19
; %bb.1:
	s_mul_f32 s24, s24, 0x4f7ffffe
	s_ashr_i32 s28, ttmp9, 31
	s_ashr_i32 s25, s8, 31
	s_mul_f32 s10, s10, 0x4f7ffffe
	s_cvt_u32_f32 s27, s24
	s_sub_co_i32 s26, 0, s21
	s_xor_b32 s24, s28, s25
	s_cvt_u32_f32 s10, s10
	s_xor_b32 s23, s23, s24
	s_mul_i32 s26, s26, s27
	s_sub_co_i32 s23, s23, s24
	s_mul_hi_u32 s25, s27, s26
	s_sub_co_i32 s29, 0, s20
	s_abs_i32 s24, s23
	s_add_co_i32 s26, s27, s25
	s_mov_b32 s25, s3
	s_mov_b32 s27, s3
	s_mul_i32 s29, s29, s10
	s_mul_u64 s[26:27], s[24:25], s[26:27]
	s_mul_hi_u32 s26, s10, s29
	s_ashr_i32 s29, s22, 31
	s_add_co_i32 s22, s10, s26
	s_mul_i32 s10, s27, s21
	s_ashr_i32 s25, s23, 31
	s_mul_i32 s23, s23, s8
	s_sub_co_i32 s8, s24, s10
	s_sub_co_i32 s34, ttmp9, s23
	s_sub_co_i32 s10, s8, s21
	s_cmp_ge_u32 s8, s21
	s_mov_b32 s23, s3
	s_cselect_b32 s8, s10, s8
	s_mul_u64 s[22:23], s[2:3], s[22:23]
	s_sub_co_i32 s10, s8, s21
	s_cmp_ge_u32 s8, s21
	s_load_b512 s[36:51], s[0:1], 0x68
	s_cselect_b32 s8, s10, s8
	s_load_b128 s[72:75], s[0:1], 0xa8
	s_xor_b32 s8, s8, s25
	s_xor_b32 s10, s28, s29
	s_sub_co_i32 s68, s8, s25
	s_mul_i32 s8, s23, s20
	s_load_b128 s[28:31], s[0:1], 0xf8
	s_sub_co_i32 s2, s2, s8
	s_add_co_i32 s8, s23, 1
	s_wait_alu 0xfffe
	s_sub_co_i32 s21, s2, s20
	s_cmp_ge_u32 s2, s20
	s_load_b512 s[52:67], s[0:1], 0x28
	s_cselect_b32 s8, s8, s23
	s_cselect_b32 s2, s21, s2
	s_add_co_i32 s33, s8, 1
	s_wait_alu 0xfffe
	s_cmp_ge_u32 s2, s20
	s_load_b256 s[20:27], s[0:1], 0x0
	s_cselect_b32 s2, s33, s8
	s_load_b32 s8, s[0:1], 0x108
	s_xor_b32 s2, s2, s10
	s_ashr_i32 s69, s68, 31
	s_wait_alu 0xfffe
	s_sub_co_i32 s76, s2, s10
	s_ashr_i32 s35, s34, 31
	s_ashr_i32 s77, s76, 31
	s_wait_kmcnt 0x0
	s_mul_u64 s[74:75], s[74:75], s[68:69]
	s_mul_u64 s[72:73], s[72:73], s[76:77]
	;; [unrolled: 1-line block ×3, first 2 shown]
	s_lshl_b64 s[74:75], s[74:75], 2
	s_lshl_b64 s[72:73], s[72:73], 2
	s_lshl_b64 s[78:79], s[50:51], 2
	s_cmp_gt_i32 s9, 0
	s_load_b64 s[80:81], s[0:1], 0x20
	s_cselect_b32 s33, -1, 0
	s_cmp_gt_i32 s30, 0
	s_mul_u64 s[62:63], s[62:63], s[68:69]
	s_cselect_b32 s50, -1, 0
	s_cmp_gt_i32 s31, 0
	s_load_b32 s0, s[0:1], 0x11c
	s_cselect_b32 s51, -1, 0
	s_cmp_gt_i32 s8, 0
	s_mul_u64 s[68:69], s[60:61], s[76:77]
	s_cselect_b32 s1, -1, 0
	s_abs_i32 s60, s12
	s_mul_u64 s[42:43], s[42:43], s[76:77]
	s_cvt_f32_u32 s2, s60
	v_cmp_neq_f64_e64 s76, s[24:25], 1.0
	v_cmp_neq_f64_e64 s77, s[26:27], 0
	s_abs_i32 s61, s11
	s_wait_alu 0xfffe
	v_rcp_iflag_f32_e32 v1, s2
	v_cvt_i32_f64_e32 v8, s[24:25]
	v_cvt_i32_f64_e32 v9, s[26:27]
	s_cvt_f32_u32 s2, s61
	s_add_nc_u64 s[20:21], s[20:21], s[62:63]
	s_abs_i32 s62, s71
	s_add_nc_u64 s[20:21], s[20:21], s[68:69]
	s_wait_alu 0xfffe
	v_rcp_iflag_f32_e32 v2, s2
	s_cvt_f32_u32 s2, s62
	s_mul_u64 s[24:25], s[40:41], s[34:35]
	v_readfirstlane_b32 s63, v1
	s_sub_co_i32 s34, 0, s61
	s_wait_alu 0xfffe
	v_rcp_iflag_f32_e32 v1, s2
	s_wait_kmcnt 0x0
	s_add_nc_u64 s[10:11], s[80:81], s[74:75]
	s_add_nc_u64 s[24:25], s[24:25], s[42:43]
	s_mul_f32 s2, s63, 0x4f7ffffe
	s_and_b32 s63, s0, 0xffff
	v_readfirstlane_b32 s26, v2
	s_add_nc_u64 s[10:11], s[10:11], s[72:73]
	s_wait_alu 0xfffe
	s_cvt_u32_f32 s0, s2
	s_sub_co_i32 s2, 0, s60
	s_add_nc_u64 s[10:11], s[10:11], s[78:79]
	v_readfirstlane_b32 s27, v1
	s_mul_f32 s26, s26, 0x4f7ffffe
	s_wait_alu 0xfffe
	s_mul_i32 s2, s2, s0
	s_ashr_i32 s68, s12, 31
	s_wait_alu 0xfffe
	s_mul_hi_u32 s2, s0, s2
	s_mul_f32 s27, s27, 0x4f7ffffe
	s_cvt_u32_f32 s26, s26
	s_wait_alu 0xfffe
	s_add_co_i32 s69, s0, s2
	s_ashr_i32 s71, s71, 31
	s_cvt_u32_f32 s0, s27
	s_mul_i32 s34, s34, s26
	s_sub_co_i32 s27, 0, s62
	s_mul_hi_u32 s2, s26, s34
	s_wait_alu 0xfffe
	s_mul_i32 s27, s27, s0
	s_add_co_i32 s70, s26, s2
	s_wait_alu 0xfffe
	s_mul_hi_u32 s2, s0, s27
	s_or_b32 s72, s76, s77
	s_wait_alu 0xfffe
	s_add_co_i32 s73, s0, s2
	s_add_nc_u64 s[22:23], s[22:23], s[24:25]
	s_mov_b32 s74, 0
	s_branch .LBB71_3
.LBB71_2:                               ;   in Loop: Header=BB71_3 Depth=1
	v_add_nc_u32_e32 v0, s63, v0
	s_delay_alu instid0(VALU_DEP_2) | instskip(NEXT) | instid1(VALU_DEP_2)
	v_cvt_f32_i32_e32 v1, v1
	v_cmp_le_i32_e32 vcc_lo, s7, v0
	global_store_b32 v[3:4], v1, off
	s_or_b32 s74, vcc_lo, s74
	s_wait_alu 0xfffe
	s_and_not1_b32 exec_lo, exec_lo, s74
	s_cbranch_execz .LBB71_19
.LBB71_3:                               ; =>This Loop Header: Depth=1
                                        ;     Child Loop BB71_6 Depth 2
                                        ;       Child Loop BB71_9 Depth 3
                                        ;         Child Loop BB71_12 Depth 4
                                        ;           Child Loop BB71_15 Depth 5
	v_sub_nc_u32_e32 v1, 0, v0
	s_delay_alu instid0(VALU_DEP_1) | instskip(NEXT) | instid1(VALU_DEP_1)
	v_max_i32_e32 v1, v0, v1
	v_mul_hi_u32 v2, v1, s69
	s_delay_alu instid0(VALU_DEP_1) | instskip(NEXT) | instid1(VALU_DEP_1)
	v_mul_lo_u32 v3, v2, s60
	v_sub_nc_u32_e32 v3, v1, v3
	s_delay_alu instid0(VALU_DEP_1) | instskip(SKIP_2) | instid1(VALU_DEP_2)
	v_subrev_nc_u32_e32 v5, s60, v3
	v_cmp_le_u32_e32 vcc_lo, s60, v3
	s_wait_alu 0xfffd
	v_dual_cndmask_b32 v3, v3, v5 :: v_dual_add_nc_u32 v4, 1, v2
	s_delay_alu instid0(VALU_DEP_1) | instskip(SKIP_1) | instid1(VALU_DEP_3)
	v_cndmask_b32_e32 v2, v2, v4, vcc_lo
	v_ashrrev_i32_e32 v4, 31, v0
	v_cmp_le_u32_e32 vcc_lo, s60, v3
	s_delay_alu instid0(VALU_DEP_3) | instskip(NEXT) | instid1(VALU_DEP_3)
	v_add_nc_u32_e32 v5, 1, v2
	v_xor_b32_e32 v6, s68, v4
	v_xor_b32_e32 v4, s71, v4
	s_wait_alu 0xfffd
	s_delay_alu instid0(VALU_DEP_3) | instskip(SKIP_1) | instid1(VALU_DEP_1)
	v_cndmask_b32_e32 v2, v2, v5, vcc_lo
	v_mul_hi_u32 v5, v1, s73
	v_mul_lo_u32 v7, v5, s62
	s_delay_alu instid0(VALU_DEP_1) | instskip(NEXT) | instid1(VALU_DEP_1)
	v_sub_nc_u32_e32 v1, v1, v7
	v_subrev_nc_u32_e32 v7, s62, v1
	v_cmp_le_u32_e32 vcc_lo, s62, v1
	s_wait_alu 0xfffd
	s_delay_alu instid0(VALU_DEP_2) | instskip(SKIP_1) | instid1(VALU_DEP_1)
	v_cndmask_b32_e32 v1, v1, v7, vcc_lo
	v_xor_b32_e32 v2, v2, v6
	v_sub_nc_u32_e32 v2, v2, v6
	s_delay_alu instid0(VALU_DEP_1) | instskip(NEXT) | instid1(VALU_DEP_1)
	v_sub_nc_u32_e32 v3, 0, v2
	v_max_i32_e32 v3, v2, v3
	s_delay_alu instid0(VALU_DEP_1) | instskip(NEXT) | instid1(VALU_DEP_1)
	v_mul_hi_u32 v6, v3, s70
	v_mul_lo_u32 v6, v6, s61
	s_delay_alu instid0(VALU_DEP_1) | instskip(NEXT) | instid1(VALU_DEP_1)
	v_sub_nc_u32_e32 v3, v3, v6
	v_subrev_nc_u32_e32 v10, s61, v3
	v_cmp_le_u32_e64 s0, s61, v3
	s_wait_alu 0xf1ff
	s_delay_alu instid0(VALU_DEP_1) | instskip(NEXT) | instid1(VALU_DEP_1)
	v_cndmask_b32_e64 v3, v3, v10, s0
	v_subrev_nc_u32_e32 v7, s61, v3
	v_add_nc_u32_e32 v6, 1, v5
	s_delay_alu instid0(VALU_DEP_1) | instskip(SKIP_1) | instid1(VALU_DEP_2)
	v_cndmask_b32_e32 v5, v5, v6, vcc_lo
	v_cmp_le_u32_e32 vcc_lo, s62, v1
	v_add_nc_u32_e32 v6, 1, v5
	s_wait_alu 0xfffd
	s_delay_alu instid0(VALU_DEP_1) | instskip(SKIP_3) | instid1(VALU_DEP_4)
	v_cndmask_b32_e32 v1, v5, v6, vcc_lo
	v_cmp_le_u32_e32 vcc_lo, s61, v3
	v_ashrrev_i32_e32 v5, 31, v2
	v_mul_lo_u32 v2, v2, s12
	v_xor_b32_e32 v6, v1, v4
	s_wait_alu 0xfffd
	v_cndmask_b32_e32 v3, v3, v7, vcc_lo
	v_mov_b32_e32 v1, 0
	s_and_not1_b32 vcc_lo, exec_lo, s33
	v_sub_nc_u32_e32 v11, v6, v4
	s_delay_alu instid0(VALU_DEP_3) | instskip(SKIP_1) | instid1(VALU_DEP_2)
	v_xor_b32_e32 v3, v3, v5
	v_sub_nc_u32_e32 v10, v0, v2
	v_sub_nc_u32_e32 v12, v3, v5
	s_wait_alu 0xfffe
	s_cbranch_vccnz .LBB71_17
; %bb.4:                                ;   in Loop: Header=BB71_3 Depth=1
	v_mul_lo_u32 v1, v11, s13
	s_delay_alu instid0(VALU_DEP_2) | instskip(SKIP_3) | instid1(VALU_DEP_3)
	v_mul_lo_u32 v3, v12, s14
	v_mul_lo_u32 v4, v10, s15
	s_mov_b32 s2, 0
	s_mov_b64 s[24:25], s[22:23]
	v_subrev_nc_u32_e32 v2, s19, v1
	s_delay_alu instid0(VALU_DEP_3) | instskip(NEXT) | instid1(VALU_DEP_3)
	v_subrev_nc_u32_e32 v3, s28, v3
	v_subrev_nc_u32_e32 v13, s29, v4
	v_mov_b32_e32 v1, 0
	s_branch .LBB71_6
.LBB71_5:                               ;   in Loop: Header=BB71_6 Depth=2
	s_add_co_i32 s2, s2, 1
	s_add_nc_u64 s[24:25], s[24:25], s[38:39]
	s_wait_alu 0xfffe
	s_cmp_eq_u32 s2, s9
	s_cbranch_scc1 .LBB71_17
.LBB71_6:                               ;   Parent Loop BB71_3 Depth=1
                                        ; =>  This Loop Header: Depth=2
                                        ;       Child Loop BB71_9 Depth 3
                                        ;         Child Loop BB71_12 Depth 4
                                        ;           Child Loop BB71_15 Depth 5
	s_and_not1_b32 vcc_lo, exec_lo, s50
	s_wait_alu 0xfffe
	s_cbranch_vccnz .LBB71_5
; %bb.7:                                ;   in Loop: Header=BB71_6 Depth=2
	s_mul_u64 s[26:27], s[58:59], s[2:3]
	s_mov_b32 s75, 0
	s_wait_alu 0xfffe
	s_add_nc_u64 s[26:27], s[20:21], s[26:27]
	s_mov_b64 s[34:35], s[24:25]
	s_branch .LBB71_9
.LBB71_8:                               ;   in Loop: Header=BB71_9 Depth=3
	s_add_co_i32 s75, s75, 1
	s_add_nc_u64 s[34:35], s[34:35], s[36:37]
	s_wait_alu 0xfffe
	s_cmp_eq_u32 s75, s30
	s_cbranch_scc1 .LBB71_5
.LBB71_9:                               ;   Parent Loop BB71_3 Depth=1
                                        ;     Parent Loop BB71_6 Depth=2
                                        ; =>    This Loop Header: Depth=3
                                        ;         Child Loop BB71_12 Depth 4
                                        ;           Child Loop BB71_15 Depth 5
	s_and_not1_b32 vcc_lo, exec_lo, s51
	s_wait_alu 0xfffe
	s_cbranch_vccnz .LBB71_8
; %bb.10:                               ;   in Loop: Header=BB71_9 Depth=3
	v_mad_co_u64_u32 v[6:7], null, s75, s16, v[2:3]
	s_mov_b32 s76, 0
	s_mov_b64 s[40:41], s[34:35]
	v_mad_co_u64_u32 v[4:5], null, s56, v6, s[26:27]
	v_cmp_gt_i32_e32 vcc_lo, 0, v6
	v_cmp_le_i32_e64 s0, s4, v6
	s_or_b32 s77, vcc_lo, s0
	v_mad_co_u64_u32 v[14:15], null, s57, v6, v[5:6]
	s_delay_alu instid0(VALU_DEP_1)
	v_mov_b32_e32 v5, v14
	s_branch .LBB71_12
.LBB71_11:                              ;   in Loop: Header=BB71_12 Depth=4
	s_add_co_i32 s76, s76, 1
	s_add_nc_u64 s[40:41], s[40:41], s[66:67]
	s_wait_alu 0xfffe
	s_cmp_eq_u32 s76, s31
	s_cbranch_scc1 .LBB71_8
.LBB71_12:                              ;   Parent Loop BB71_3 Depth=1
                                        ;     Parent Loop BB71_6 Depth=2
                                        ;       Parent Loop BB71_9 Depth=3
                                        ; =>      This Loop Header: Depth=4
                                        ;           Child Loop BB71_15 Depth 5
	s_and_not1_b32 vcc_lo, exec_lo, s1
	s_wait_alu 0xfffe
	s_cbranch_vccnz .LBB71_11
; %bb.13:                               ;   in Loop: Header=BB71_12 Depth=4
	v_mad_co_u64_u32 v[14:15], null, s76, s17, v[3:4]
	s_mov_b64 s[42:43], s[40:41]
	s_mov_b32 s79, s8
	v_mad_co_u64_u32 v[6:7], null, s54, v14, v[4:5]
	v_cmp_gt_i32_e32 vcc_lo, 0, v14
	v_cmp_le_i32_e64 s0, s5, v14
	s_or_b32 s0, vcc_lo, s0
	v_mad_co_u64_u32 v[15:16], null, s55, v14, v[7:8]
	s_wait_alu 0xfffe
	s_or_b32 s78, s77, s0
	s_delay_alu instid0(VALU_DEP_1)
	v_dual_mov_b32 v14, v13 :: v_dual_mov_b32 v7, v15
	s_branch .LBB71_15
.LBB71_14:                              ;   in Loop: Header=BB71_15 Depth=5
	s_wait_alu 0xfffe
	s_or_b32 exec_lo, exec_lo, s0
	v_add_nc_u32_e32 v14, s18, v14
	s_add_co_i32 s79, s79, -1
	s_add_nc_u64 s[42:43], s[42:43], s[64:65]
	s_cmp_eq_u32 s79, 0
	s_cbranch_scc1 .LBB71_11
.LBB71_15:                              ;   Parent Loop BB71_3 Depth=1
                                        ;     Parent Loop BB71_6 Depth=2
                                        ;       Parent Loop BB71_9 Depth=3
                                        ;         Parent Loop BB71_12 Depth=4
                                        ; =>        This Inner Loop Header: Depth=5
	s_delay_alu instid0(VALU_DEP_1)
	v_cmp_gt_i32_e32 vcc_lo, 0, v14
	v_cmp_le_i32_e64 s0, s6, v14
	s_or_b32 s0, vcc_lo, s0
	s_wait_alu 0xfffe
	s_nor_b32 s80, s78, s0
	s_wait_alu 0xfffe
	s_and_saveexec_b32 s0, s80
	s_cbranch_execz .LBB71_14
; %bb.16:                               ;   in Loop: Header=BB71_15 Depth=5
	v_mad_co_u64_u32 v[15:16], null, s52, v14, v[6:7]
	s_load_i8 s80, s[42:43], 0x0
	v_mad_co_u64_u32 v[16:17], null, s53, v14, v[16:17]
	global_load_i8 v15, v[15:16], off
	s_wait_loadcnt 0x0
	s_wait_kmcnt 0x0
	v_mad_i32_i24 v1, s80, v15, v1
	s_branch .LBB71_14
.LBB71_17:                              ;   in Loop: Header=BB71_3 Depth=1
	s_delay_alu instid0(VALU_DEP_1)
	v_ashrrev_i32_e32 v2, 31, v12
	v_mul_lo_u32 v14, s47, v12
	v_ashrrev_i32_e32 v4, 31, v10
	v_ashrrev_i32_e32 v13, 31, v11
	v_mul_lo_u32 v16, s45, v10
	v_mul_lo_u32 v15, s46, v2
	v_mad_co_u64_u32 v[2:3], null, s46, v12, 0
	v_mul_lo_u32 v17, s44, v4
	v_mad_co_u64_u32 v[4:5], null, s44, v10, 0
	;; [unrolled: 2-line block ×3, first 2 shown]
	v_add3_u32 v3, v3, v15, v14
	v_mul_lo_u32 v10, s48, v13
	v_add3_u32 v5, v5, v17, v16
	s_delay_alu instid0(VALU_DEP_3) | instskip(NEXT) | instid1(VALU_DEP_2)
	v_lshlrev_b64_e32 v[2:3], 2, v[2:3]
	v_lshlrev_b64_e32 v[4:5], 2, v[4:5]
	s_delay_alu instid0(VALU_DEP_4) | instskip(NEXT) | instid1(VALU_DEP_3)
	v_add3_u32 v7, v7, v10, v12
	v_add_co_u32 v2, vcc_lo, s10, v2
	s_wait_alu 0xfffd
	s_delay_alu instid0(VALU_DEP_4) | instskip(NEXT) | instid1(VALU_DEP_3)
	v_add_co_ci_u32_e64 v3, null, s11, v3, vcc_lo
	v_lshlrev_b64_e32 v[6:7], 2, v[6:7]
	s_delay_alu instid0(VALU_DEP_3) | instskip(SKIP_1) | instid1(VALU_DEP_3)
	v_add_co_u32 v2, vcc_lo, v2, v4
	s_wait_alu 0xfffd
	v_add_co_ci_u32_e64 v4, null, v3, v5, vcc_lo
	s_delay_alu instid0(VALU_DEP_2) | instskip(SKIP_1) | instid1(VALU_DEP_2)
	v_add_co_u32 v3, vcc_lo, v2, v6
	s_wait_alu 0xfffd
	v_add_co_ci_u32_e64 v4, null, v4, v7, vcc_lo
	s_and_not1_b32 vcc_lo, exec_lo, s72
	s_wait_alu 0xfffe
	s_cbranch_vccnz .LBB71_2
; %bb.18:                               ;   in Loop: Header=BB71_3 Depth=1
	global_load_b32 v2, v[3:4], off
	v_mul_lo_u32 v1, v1, v8
	s_wait_loadcnt 0x0
	v_cvt_i32_f32_e32 v2, v2
	s_delay_alu instid0(VALU_DEP_1)
	v_mad_co_u64_u32 v[1:2], null, v2, v9, v[1:2]
	s_branch .LBB71_2
.LBB71_19:
	s_endpgm
	.section	.rodata,"a",@progbits
	.p2align	6, 0x0
	.amdhsa_kernel naive_conv_ab_nonpacked_fwd_ncdhw_int8_t_int32_t_float_0
		.amdhsa_group_segment_fixed_size 0
		.amdhsa_private_segment_fixed_size 0
		.amdhsa_kernarg_size 528
		.amdhsa_user_sgpr_count 2
		.amdhsa_user_sgpr_dispatch_ptr 0
		.amdhsa_user_sgpr_queue_ptr 0
		.amdhsa_user_sgpr_kernarg_segment_ptr 1
		.amdhsa_user_sgpr_dispatch_id 0
		.amdhsa_user_sgpr_private_segment_size 0
		.amdhsa_wavefront_size32 1
		.amdhsa_uses_dynamic_stack 0
		.amdhsa_enable_private_segment 0
		.amdhsa_system_sgpr_workgroup_id_x 1
		.amdhsa_system_sgpr_workgroup_id_y 0
		.amdhsa_system_sgpr_workgroup_id_z 0
		.amdhsa_system_sgpr_workgroup_info 0
		.amdhsa_system_vgpr_workitem_id 0
		.amdhsa_next_free_vgpr 18
		.amdhsa_next_free_sgpr 82
		.amdhsa_reserve_vcc 1
		.amdhsa_float_round_mode_32 0
		.amdhsa_float_round_mode_16_64 0
		.amdhsa_float_denorm_mode_32 3
		.amdhsa_float_denorm_mode_16_64 3
		.amdhsa_fp16_overflow 0
		.amdhsa_workgroup_processor_mode 1
		.amdhsa_memory_ordered 1
		.amdhsa_forward_progress 1
		.amdhsa_inst_pref_size 15
		.amdhsa_round_robin_scheduling 0
		.amdhsa_exception_fp_ieee_invalid_op 0
		.amdhsa_exception_fp_denorm_src 0
		.amdhsa_exception_fp_ieee_div_zero 0
		.amdhsa_exception_fp_ieee_overflow 0
		.amdhsa_exception_fp_ieee_underflow 0
		.amdhsa_exception_fp_ieee_inexact 0
		.amdhsa_exception_int_div_zero 0
	.end_amdhsa_kernel
	.text
.Lfunc_end71:
	.size	naive_conv_ab_nonpacked_fwd_ncdhw_int8_t_int32_t_float_0, .Lfunc_end71-naive_conv_ab_nonpacked_fwd_ncdhw_int8_t_int32_t_float_0
                                        ; -- End function
	.set naive_conv_ab_nonpacked_fwd_ncdhw_int8_t_int32_t_float_0.num_vgpr, 18
	.set naive_conv_ab_nonpacked_fwd_ncdhw_int8_t_int32_t_float_0.num_agpr, 0
	.set naive_conv_ab_nonpacked_fwd_ncdhw_int8_t_int32_t_float_0.numbered_sgpr, 82
	.set naive_conv_ab_nonpacked_fwd_ncdhw_int8_t_int32_t_float_0.num_named_barrier, 0
	.set naive_conv_ab_nonpacked_fwd_ncdhw_int8_t_int32_t_float_0.private_seg_size, 0
	.set naive_conv_ab_nonpacked_fwd_ncdhw_int8_t_int32_t_float_0.uses_vcc, 1
	.set naive_conv_ab_nonpacked_fwd_ncdhw_int8_t_int32_t_float_0.uses_flat_scratch, 0
	.set naive_conv_ab_nonpacked_fwd_ncdhw_int8_t_int32_t_float_0.has_dyn_sized_stack, 0
	.set naive_conv_ab_nonpacked_fwd_ncdhw_int8_t_int32_t_float_0.has_recursion, 0
	.set naive_conv_ab_nonpacked_fwd_ncdhw_int8_t_int32_t_float_0.has_indirect_call, 0
	.section	.AMDGPU.csdata,"",@progbits
; Kernel info:
; codeLenInByte = 1908
; TotalNumSgprs: 84
; NumVgprs: 18
; ScratchSize: 0
; MemoryBound: 0
; FloatMode: 240
; IeeeMode: 1
; LDSByteSize: 0 bytes/workgroup (compile time only)
; SGPRBlocks: 0
; VGPRBlocks: 2
; NumSGPRsForWavesPerEU: 84
; NumVGPRsForWavesPerEU: 18
; Occupancy: 16
; WaveLimiterHint : 1
; COMPUTE_PGM_RSRC2:SCRATCH_EN: 0
; COMPUTE_PGM_RSRC2:USER_SGPR: 2
; COMPUTE_PGM_RSRC2:TRAP_HANDLER: 0
; COMPUTE_PGM_RSRC2:TGID_X_EN: 1
; COMPUTE_PGM_RSRC2:TGID_Y_EN: 0
; COMPUTE_PGM_RSRC2:TGID_Z_EN: 0
; COMPUTE_PGM_RSRC2:TIDIG_COMP_CNT: 0
	.text
	.protected	naive_conv_ab_packed_fwd_ndhwc_float_double_float_0 ; -- Begin function naive_conv_ab_packed_fwd_ndhwc_float_double_float_0
	.globl	naive_conv_ab_packed_fwd_ndhwc_float_double_float_0
	.p2align	8
	.type	naive_conv_ab_packed_fwd_ndhwc_float_double_float_0,@function
naive_conv_ab_packed_fwd_ndhwc_float_double_float_0: ; @naive_conv_ab_packed_fwd_ndhwc_float_double_float_0
; %bb.0:
	s_load_b512 s[4:19], s[0:1], 0xb8
	s_mov_b32 s25, exec_lo
	s_wait_kmcnt 0x0
	s_abs_i32 s3, s10
	s_mul_i32 s52, s12, s8
	s_cvt_f32_u32 s2, s3
	s_mul_i32 s33, s52, s11
	s_delay_alu instid0(SALU_CYCLE_2) | instskip(NEXT) | instid1(TRANS32_DEP_1)
	v_rcp_iflag_f32_e32 v1, s2
	v_readfirstlane_b32 s2, v1
	s_mul_f32 s2, s2, 0x4f7ffffe
	s_wait_alu 0xfffe
	s_delay_alu instid0(SALU_CYCLE_2) | instskip(SKIP_2) | instid1(SALU_CYCLE_1)
	s_cvt_u32_f32 s20, s2
	s_sub_co_i32 s2, 0, s3
	s_wait_alu 0xfffe
	s_mul_i32 s2, s2, s20
	s_wait_alu 0xfffe
	s_mul_hi_u32 s21, s20, s2
	s_abs_i32 s2, ttmp9
	s_add_co_i32 s20, s20, s21
	s_wait_alu 0xfffe
	s_mul_hi_u32 s20, s2, s20
	s_delay_alu instid0(SALU_CYCLE_1) | instskip(SKIP_2) | instid1(SALU_CYCLE_1)
	s_mul_i32 s21, s20, s3
	s_add_co_i32 s22, s20, 1
	s_sub_co_i32 s21, s2, s21
	s_sub_co_i32 s23, s21, s3
	s_cmp_ge_u32 s21, s3
	s_cselect_b32 s20, s22, s20
	s_cselect_b32 s21, s23, s21
	s_add_co_i32 s22, s20, 1
	s_cmp_ge_u32 s21, s3
	s_mul_i32 s21, s10, s7
	s_cselect_b32 s22, s22, s20
	s_abs_i32 s20, s7
	s_abs_i32 s7, s21
	s_cvt_f32_u32 s3, s20
	s_cvt_f32_u32 s23, s7
	s_wait_alu 0xfffe
	s_delay_alu instid0(SALU_CYCLE_1) | instskip(NEXT) | instid1(SALU_CYCLE_1)
	v_rcp_iflag_f32_e32 v1, s3
	v_rcp_iflag_f32_e32 v2, s23
	s_mov_b32 s3, 0
	s_delay_alu instid0(TRANS32_DEP_2) | instskip(NEXT) | instid1(TRANS32_DEP_1)
	v_readfirstlane_b32 s24, v1
	v_readfirstlane_b32 s23, v2
	v_cmpx_gt_i32_e64 s33, v0
	s_cbranch_execz .LBB72_21
; %bb.1:
	s_mul_f32 s24, s24, 0x4f7ffffe
	s_ashr_i32 s26, ttmp9, 31
	s_ashr_i32 s45, s10, 31
	s_sub_co_i32 s25, 0, s20
	s_cvt_u32_f32 s24, s24
	s_xor_b32 s27, s26, s45
	s_mul_f32 s28, s23, 0x4f7ffffe
	s_xor_b32 s22, s22, s27
	s_mul_i32 s25, s25, s24
	s_wait_alu 0xfffe
	s_sub_co_i32 s27, s22, s27
	s_mul_hi_u32 s23, s24, s25
	s_abs_i32 s22, s27
	s_wait_alu 0xfffe
	s_add_co_i32 s24, s24, s23
	s_mov_b32 s23, s3
	s_cvt_u32_f32 s28, s28
	s_mov_b32 s25, s3
	s_sub_co_i32 s29, 0, s7
	s_wait_alu 0xfffe
	s_mul_u64 s[24:25], s[22:23], s[24:25]
	s_mul_i32 s29, s29, s28
	s_mul_i32 s25, s25, s20
	s_ashr_i32 s23, s27, 31
	s_mul_hi_u32 s24, s28, s29
	s_mul_i32 s27, s27, s10
	s_sub_co_i32 s22, s22, s25
	s_ashr_i32 s21, s21, 31
	s_add_co_i32 s24, s28, s24
	s_sub_co_i32 s46, ttmp9, s27
	s_wait_alu 0xfffe
	s_sub_co_i32 s27, s22, s20
	s_cmp_ge_u32 s22, s20
	s_mov_b32 s25, s3
	s_cselect_b32 s22, s27, s22
	s_mul_u64 s[28:29], s[2:3], s[24:25]
	s_wait_alu 0xfffe
	s_sub_co_i32 s24, s22, s20
	s_cmp_ge_u32 s22, s20
	s_load_b64 s[34:35], s[0:1], 0x108
	s_cselect_b32 s20, s24, s22
	s_xor_b32 s37, s26, s21
	s_xor_b32 s20, s20, s23
	s_add_co_i32 s28, s29, 1
	s_sub_co_i32 s50, s20, s23
	s_mul_i32 s20, s29, s7
	s_mov_b32 s44, s10
	s_sub_co_i32 s2, s2, s20
	s_load_b256 s[20:27], s[0:1], 0x0
	s_sub_co_i32 s30, s2, s7
	s_cmp_ge_u32 s2, s7
	s_mov_b32 s60, s11
	s_cselect_b32 s36, s28, s29
	s_cselect_b32 s2, s30, s2
	s_load_b128 s[28:31], s[0:1], 0xf8
	s_add_co_i32 s38, s36, 1
	s_cmp_ge_u32 s2, s7
	s_mov_b32 s10, s12
	s_cselect_b32 s2, s38, s36
	s_wait_kmcnt 0x0
	s_mul_i32 s36, s35, s8
	s_wait_alu 0xfffe
	s_xor_b32 s2, s2, s37
	s_ashr_i32 s51, s50, 31
	s_ashr_i32 s61, s11, 31
	;; [unrolled: 1-line block ×3, first 2 shown]
	s_wait_alu 0xfffe
	s_sub_co_i32 s56, s2, s37
	s_mul_u64 s[62:63], s[50:51], s[44:45]
	s_mul_u64 s[60:61], s[10:11], s[60:61]
	s_ashr_i32 s47, s46, 31
	s_ashr_i32 s37, s36, 31
	;; [unrolled: 1-line block ×4, first 2 shown]
	s_mov_b32 s42, s8
	s_add_nc_u64 s[62:63], s[62:63], s[46:47]
	s_mul_u64 s[60:61], s[60:61], s[36:37]
	s_mul_i32 s58, s35, s9
	s_mul_u64 s[48:49], s[56:57], s[42:43]
	s_mul_u64 s[60:61], s[60:61], s[62:63]
	s_ashr_i32 s39, s4, 31
	s_ashr_i32 s41, s5, 31
	;; [unrolled: 1-line block ×8, first 2 shown]
	s_lshl_b64 s[66:67], s[60:61], 2
	s_lshl_b64 s[48:49], s[48:49], 2
	s_cmp_lt_i32 s30, 1
	s_mul_i32 s2, s46, s13
	s_cselect_b32 s11, -1, 0
	s_wait_alu 0xfffe
	s_sub_co_i32 s19, s2, s19
	v_cmp_neq_f64_e64 s2, s[24:25], 1.0
	v_cmp_neq_f64_e64 s13, s[26:27], 0
	s_cmp_gt_i32 s31, 0
	s_load_b32 s53, s[0:1], 0x11c
	s_cselect_b32 s42, -1, 0
	s_cmp_gt_i32 s34, 0
	s_load_b64 s[0:1], s[0:1], 0x20
	s_cselect_b32 s60, -1, 0
	s_cmp_gt_i32 s9, 0
	s_mov_b32 s40, s5
	s_cselect_b32 s61, -1, 0
	s_abs_i32 s62, s8
	s_abs_i32 s63, s12
	s_cvt_f32_u32 s38, s62
	s_abs_i32 s64, s52
	s_mov_b32 s54, s9
	s_cvt_f32_u32 s44, s64
	v_rcp_iflag_f32_e32 v1, s38
	s_mov_b32 s38, s4
	s_cvt_f32_u32 s4, s63
	v_rcp_iflag_f32_e32 v2, s44
	s_mov_b32 s44, s30
	s_mov_b32 s46, s31
	s_ashr_i32 s69, s52, 31
	s_wait_kmcnt 0x0
	s_add_nc_u64 s[0:1], s[0:1], s[66:67]
	s_delay_alu instid0(TRANS32_DEP_2) | instskip(SKIP_4) | instid1(SALU_CYCLE_3)
	v_readfirstlane_b32 s12, v1
	v_rcp_iflag_f32_e32 v1, s4
	s_add_nc_u64 s[4:5], s[0:1], s[48:49]
	s_and_b32 s66, s53, 0xffff
	s_mul_f32 s12, s12, 0x4f7ffffe
	s_cvt_u32_f32 s0, s12
	v_readfirstlane_b32 s12, v2
	s_delay_alu instid0(TRANS32_DEP_1)
	v_readfirstlane_b32 s1, v1
	s_or_b32 s65, s2, s13
	s_sub_co_i32 s2, 0, s62
	s_wait_alu 0xfffe
	s_mul_i32 s2, s2, s0
	s_mul_f32 s1, s1, 0x4f7ffffe
	s_mul_f32 s12, s12, 0x4f7ffffe
	s_wait_alu 0xfffe
	s_mul_hi_u32 s2, s0, s2
	s_cvt_u32_f32 s1, s1
	s_wait_alu 0xfffe
	s_add_co_i32 s67, s0, s2
	s_sub_co_i32 s0, 0, s63
	s_cvt_u32_f32 s2, s12
	s_mul_i32 s0, s0, s1
	s_sub_co_i32 s12, 0, s64
	s_mul_hi_u32 s0, s1, s0
	s_wait_alu 0xfffe
	s_mul_i32 s12, s12, s2
	s_add_co_i32 s68, s1, s0
	s_mul_hi_u32 s30, s2, s12
	s_mul_u64 s[0:1], s[54:55], s[56:57]
	s_mul_u64 s[12:13], s[6:7], s[40:41]
	s_lshl_b64 s[0:1], s[0:1], 2
	s_mul_u64 s[52:53], s[12:13], s[38:39]
	s_add_co_i32 s70, s2, s30
	s_mul_u64 s[30:31], s[34:35], s[46:47]
	s_add_nc_u64 s[12:13], s[20:21], s[0:1]
	s_mul_u64 s[0:1], s[52:53], s[50:51]
	s_mul_u64 s[50:51], s[30:31], s[54:55]
	s_lshl_b64 s[20:21], s[0:1], 2
	s_mul_u64 s[0:1], s[34:35], s[54:55]
	s_mul_u64 s[30:31], s[50:51], s[44:45]
	s_lshl_b64 s[50:51], s[50:51], 2
	s_lshl_b64 s[52:53], s[0:1], 2
	;; [unrolled: 1-line block ×3, first 2 shown]
	s_mov_b32 s35, 0
	s_branch .LBB72_3
.LBB72_2:                               ;   in Loop: Header=BB72_3 Depth=1
	s_delay_alu instid0(VALU_DEP_1) | instskip(SKIP_1) | instid1(VALU_DEP_1)
	v_cvt_f32_f64_e32 v3, v[3:4]
	v_add_nc_u32_e32 v0, s66, v0
	v_cmp_le_i32_e32 vcc_lo, s33, v0
	s_or_b32 s35, vcc_lo, s35
	global_store_b32 v[1:2], v3, off
	s_and_not1_b32 exec_lo, exec_lo, s35
	s_cbranch_execz .LBB72_21
.LBB72_3:                               ; =>This Loop Header: Depth=1
                                        ;     Child Loop BB72_8 Depth 2
                                        ;       Child Loop BB72_11 Depth 3
                                        ;         Child Loop BB72_14 Depth 4
                                        ;           Child Loop BB72_17 Depth 5
	v_sub_nc_u32_e32 v1, 0, v0
	s_mov_b32 s39, -1
	s_delay_alu instid0(VALU_DEP_1) | instskip(NEXT) | instid1(VALU_DEP_1)
	v_max_i32_e32 v1, v0, v1
	v_mul_hi_u32 v2, v1, s67
	s_delay_alu instid0(VALU_DEP_1) | instskip(NEXT) | instid1(VALU_DEP_1)
	v_mul_lo_u32 v3, v2, s62
	v_sub_nc_u32_e32 v4, v1, v3
	s_delay_alu instid0(VALU_DEP_1) | instskip(SKIP_2) | instid1(VALU_DEP_2)
	v_subrev_nc_u32_e32 v5, s62, v4
	v_cmp_le_u32_e32 vcc_lo, s62, v4
	s_wait_alu 0xfffd
	v_dual_cndmask_b32 v4, v4, v5 :: v_dual_add_nc_u32 v3, 1, v2
	s_delay_alu instid0(VALU_DEP_1) | instskip(SKIP_1) | instid1(VALU_DEP_3)
	v_cndmask_b32_e32 v2, v2, v3, vcc_lo
	v_ashrrev_i32_e32 v3, 31, v0
	v_cmp_le_u32_e32 vcc_lo, s62, v4
	s_delay_alu instid0(VALU_DEP_3) | instskip(NEXT) | instid1(VALU_DEP_3)
	v_add_nc_u32_e32 v5, 1, v2
	v_xor_b32_e32 v6, s43, v3
	s_wait_alu 0xfffd
	s_delay_alu instid0(VALU_DEP_2) | instskip(SKIP_1) | instid1(VALU_DEP_2)
	v_cndmask_b32_e32 v2, v2, v5, vcc_lo
	v_mul_hi_u32 v5, v1, s70
	v_xor_b32_e32 v2, v2, v6
	s_delay_alu instid0(VALU_DEP_2) | instskip(NEXT) | instid1(VALU_DEP_2)
	v_mul_lo_u32 v7, v5, s64
	v_sub_nc_u32_e32 v4, v2, v6
	s_delay_alu instid0(VALU_DEP_1) | instskip(SKIP_1) | instid1(VALU_DEP_4)
	v_sub_nc_u32_e32 v2, 0, v4
	v_mul_lo_u32 v8, v4, s8
	v_sub_nc_u32_e32 v1, v1, v7
	s_delay_alu instid0(VALU_DEP_3) | instskip(NEXT) | instid1(VALU_DEP_2)
	v_max_i32_e32 v2, v4, v2
	v_subrev_nc_u32_e32 v7, s64, v1
	v_cmp_le_u32_e64 s0, s64, v1
	s_delay_alu instid0(VALU_DEP_3) | instskip(NEXT) | instid1(VALU_DEP_1)
	v_mul_hi_u32 v6, v2, s68
	v_mul_lo_u32 v6, v6, s63
	s_delay_alu instid0(VALU_DEP_1) | instskip(NEXT) | instid1(VALU_DEP_1)
	v_sub_nc_u32_e32 v2, v2, v6
	v_subrev_nc_u32_e32 v6, s63, v2
	v_cmp_le_u32_e32 vcc_lo, s63, v2
	s_wait_alu 0xfffd
	s_delay_alu instid0(VALU_DEP_2)
	v_cndmask_b32_e32 v6, v2, v6, vcc_lo
	s_wait_alu 0xf1ff
	v_cndmask_b32_e64 v2, v1, v7, s0
	v_sub_nc_u32_e32 v1, v0, v8
	s_and_not1_b32 vcc_lo, exec_lo, s11
	v_cmp_le_u32_e64 s2, s63, v6
	s_delay_alu instid0(VALU_DEP_3)
	v_cmp_le_u32_e64 s1, s64, v2
	s_wait_alu 0xfffe
	s_cbranch_vccnz .LBB72_5
; %bb.4:                                ;   in Loop: Header=BB72_3 Depth=1
	v_ashrrev_i32_e32 v2, 31, v1
	s_mov_b32 s39, 0
.LBB72_5:                               ;   in Loop: Header=BB72_3 Depth=1
	v_add_nc_u32_e32 v7, 1, v5
	v_ashrrev_i32_e32 v4, 31, v4
	s_wait_alu 0xfffe
	s_and_not1_b32 vcc_lo, exec_lo, s39
	s_delay_alu instid0(VALU_DEP_2) | instskip(SKIP_1) | instid1(VALU_DEP_2)
	v_cndmask_b32_e64 v5, v5, v7, s0
	v_subrev_nc_u32_e32 v7, s63, v6
	v_add_nc_u32_e32 v8, 1, v5
	s_delay_alu instid0(VALU_DEP_2) | instskip(SKIP_1) | instid1(VALU_DEP_3)
	v_cndmask_b32_e64 v6, v6, v7, s2
	v_xor_b32_e32 v7, s69, v3
	v_cndmask_b32_e64 v3, v5, v8, s1
	s_delay_alu instid0(VALU_DEP_3) | instskip(NEXT) | instid1(VALU_DEP_2)
	v_xor_b32_e32 v5, v6, v4
	v_xor_b32_e32 v6, v3, v7
	s_delay_alu instid0(VALU_DEP_2) | instskip(SKIP_2) | instid1(VALU_DEP_4)
	v_sub_nc_u32_e32 v5, v5, v4
	v_mov_b32_e32 v3, 0
	v_mov_b32_e32 v4, 0
	v_sub_nc_u32_e32 v20, v6, v7
	s_wait_alu 0xfffe
	s_cbranch_vccnz .LBB72_19
; %bb.6:                                ;   in Loop: Header=BB72_3 Depth=1
	v_ashrrev_i32_e32 v2, 31, v1
	s_delay_alu instid0(VALU_DEP_2) | instskip(SKIP_4) | instid1(VALU_DEP_3)
	v_mul_lo_u32 v8, v20, s14
	v_mul_lo_u32 v9, v5, s15
	s_mov_b32 s1, 0
	s_mov_b32 s2, s19
	v_lshlrev_b64_e32 v[3:4], 2, v[1:2]
	v_subrev_nc_u32_e32 v8, s28, v8
	s_delay_alu instid0(VALU_DEP_3) | instskip(NEXT) | instid1(VALU_DEP_3)
	v_subrev_nc_u32_e32 v9, s29, v9
	v_add_co_u32 v3, vcc_lo, s48, v3
	s_wait_alu 0xfffd
	s_delay_alu instid0(VALU_DEP_4) | instskip(NEXT) | instid1(VALU_DEP_2)
	v_add_co_ci_u32_e64 v4, null, s49, v4, vcc_lo
	v_mul_lo_u32 v11, s31, v3
	v_mad_co_u64_u32 v[6:7], null, s30, v3, s[22:23]
	s_delay_alu instid0(VALU_DEP_3) | instskip(SKIP_2) | instid1(VALU_DEP_3)
	v_mul_lo_u32 v10, s30, v4
	v_mov_b32_e32 v3, 0
	v_mov_b32_e32 v4, 0
	v_add3_u32 v7, v11, v7, v10
	s_branch .LBB72_8
.LBB72_7:                               ;   in Loop: Header=BB72_8 Depth=2
	v_add_co_u32 v6, vcc_lo, v6, s50
	s_wait_alu 0xfffd
	v_add_co_ci_u32_e64 v7, null, s51, v7, vcc_lo
	s_add_co_i32 s1, s1, 1
	s_add_co_i32 s2, s2, s16
	s_wait_alu 0xfffe
	s_cmp_eq_u32 s1, s44
	s_cbranch_scc1 .LBB72_19
.LBB72_8:                               ;   Parent Loop BB72_3 Depth=1
                                        ; =>  This Loop Header: Depth=2
                                        ;       Child Loop BB72_11 Depth 3
                                        ;         Child Loop BB72_14 Depth 4
                                        ;           Child Loop BB72_17 Depth 5
	s_and_not1_b32 vcc_lo, exec_lo, s42
	s_wait_alu 0xfffe
	s_cbranch_vccnz .LBB72_7
; %bb.9:                                ;   in Loop: Header=BB72_8 Depth=2
	s_mul_i32 s0, s1, s16
	v_dual_mov_b32 v11, v7 :: v_dual_mov_b32 v10, v6
	s_wait_alu 0xfffe
	s_add_co_i32 s0, s0, s19
	v_mov_b32_e32 v21, v8
	s_wait_alu 0xfffe
	s_cmp_lt_i32 s0, 0
	s_mul_u64 s[56:57], s[40:41], s[2:3]
	s_cselect_b32 s45, -1, 0
	s_cmp_ge_i32 s0, s38
	s_mov_b32 s39, 0
	s_cselect_b32 s0, -1, 0
	s_wait_alu 0xfffe
	s_or_b32 s45, s45, s0
	s_branch .LBB72_11
.LBB72_10:                              ;   in Loop: Header=BB72_11 Depth=3
	v_add_co_u32 v10, vcc_lo, v10, s52
	v_add_nc_u32_e32 v21, s17, v21
	s_wait_alu 0xfffd
	v_add_co_ci_u32_e64 v11, null, s53, v11, vcc_lo
	s_add_co_i32 s39, s39, 1
	s_wait_alu 0xfffe
	s_cmp_eq_u32 s39, s46
	s_cbranch_scc1 .LBB72_7
.LBB72_11:                              ;   Parent Loop BB72_3 Depth=1
                                        ;     Parent Loop BB72_8 Depth=2
                                        ; =>    This Loop Header: Depth=3
                                        ;         Child Loop BB72_14 Depth 4
                                        ;           Child Loop BB72_17 Depth 5
	s_and_not1_b32 vcc_lo, exec_lo, s60
	s_wait_alu 0xfffe
	s_cbranch_vccnz .LBB72_10
; %bb.12:                               ;   in Loop: Header=BB72_11 Depth=3
	v_add_co_u32 v12, s0, s56, v21
	s_wait_alu 0xf1ff
	v_add_co_ci_u32_e64 v13, null, s57, 0, s0
	v_mad_co_u64_u32 v[14:15], null, s39, s17, v[8:9]
	s_delay_alu instid0(VALU_DEP_3) | instskip(NEXT) | instid1(VALU_DEP_3)
	v_mul_lo_u32 v16, s7, v12
	v_mul_lo_u32 v17, s6, v13
	v_mad_co_u64_u32 v[12:13], null, s6, v12, 0
	v_mov_b32_e32 v22, v9
	s_mov_b32 s47, 0
	v_cmp_gt_i32_e32 vcc_lo, 0, v14
	v_cmp_le_i32_e64 s0, s40, v14
	v_dual_mov_b32 v15, v11 :: v_dual_mov_b32 v14, v10
	v_add3_u32 v13, v13, v17, v16
	s_or_b32 s0, vcc_lo, s0
	s_wait_alu 0xfffe
	s_or_b32 s71, s45, s0
	s_branch .LBB72_14
.LBB72_13:                              ;   in Loop: Header=BB72_14 Depth=4
	v_add_co_u32 v14, vcc_lo, v14, s54
	v_add_nc_u32_e32 v22, s18, v22
	s_wait_alu 0xfffd
	v_add_co_ci_u32_e64 v15, null, s55, v15, vcc_lo
	s_add_co_i32 s47, s47, 1
	s_wait_alu 0xfffe
	s_cmp_eq_u32 s47, s34
	s_cbranch_scc1 .LBB72_10
.LBB72_14:                              ;   Parent Loop BB72_3 Depth=1
                                        ;     Parent Loop BB72_8 Depth=2
                                        ;       Parent Loop BB72_11 Depth=3
                                        ; =>      This Loop Header: Depth=4
                                        ;           Child Loop BB72_17 Depth 5
	s_and_not1_b32 vcc_lo, exec_lo, s61
	s_wait_alu 0xfffe
	s_cbranch_vccnz .LBB72_13
; %bb.15:                               ;   in Loop: Header=BB72_14 Depth=4
	v_add_co_u32 v16, vcc_lo, v12, v22
	s_wait_alu 0xfffd
	v_add_co_ci_u32_e64 v17, null, 0, v13, vcc_lo
	v_mad_co_u64_u32 v[18:19], null, s47, s18, v[9:10]
	s_mov_b32 s72, s9
	v_lshlrev_b64_e32 v[16:17], 2, v[16:17]
	v_cmp_le_i32_e64 s0, s6, v18
	s_delay_alu instid0(VALU_DEP_2) | instskip(SKIP_1) | instid1(VALU_DEP_3)
	v_add_co_u32 v16, vcc_lo, s20, v16
	s_wait_alu 0xfffd
	v_add_co_ci_u32_e64 v17, null, s21, v17, vcc_lo
	v_cmp_gt_i32_e32 vcc_lo, 0, v18
	s_delay_alu instid0(VALU_DEP_3) | instskip(NEXT) | instid1(VALU_DEP_3)
	v_mul_lo_u32 v23, s59, v16
	v_mul_lo_u32 v19, s58, v17
	v_mad_co_u64_u32 v[16:17], null, s58, v16, s[12:13]
	s_or_b32 s0, vcc_lo, s0
	s_wait_alu 0xfffe
	s_nor_b32 s0, s71, s0
	v_add3_u32 v17, v23, v17, v19
	v_dual_mov_b32 v19, v15 :: v_dual_mov_b32 v18, v14
	s_branch .LBB72_17
.LBB72_16:                              ;   in Loop: Header=BB72_17 Depth=5
	s_or_b32 exec_lo, exec_lo, s73
	v_add_co_u32 v16, vcc_lo, v16, 4
	s_wait_alu 0xfffd
	v_add_co_ci_u32_e64 v17, null, 0, v17, vcc_lo
	v_add_co_u32 v18, vcc_lo, v18, 4
	s_wait_alu 0xfffd
	v_add_co_ci_u32_e64 v19, null, 0, v19, vcc_lo
	s_add_co_i32 s72, s72, -1
	s_delay_alu instid0(SALU_CYCLE_1)
	s_cmp_eq_u32 s72, 0
	s_cbranch_scc1 .LBB72_13
.LBB72_17:                              ;   Parent Loop BB72_3 Depth=1
                                        ;     Parent Loop BB72_8 Depth=2
                                        ;       Parent Loop BB72_11 Depth=3
                                        ;         Parent Loop BB72_14 Depth=4
                                        ; =>        This Inner Loop Header: Depth=5
	s_wait_alu 0xfffe
	s_and_saveexec_b32 s73, s0
	s_cbranch_execz .LBB72_16
; %bb.18:                               ;   in Loop: Header=BB72_17 Depth=5
	global_load_b32 v23, v[16:17], off
	global_load_b32 v25, v[18:19], off
	s_wait_loadcnt 0x1
	v_cvt_f64_f32_e32 v[23:24], v23
	s_wait_loadcnt 0x0
	v_cvt_f64_f32_e32 v[25:26], v25
	s_delay_alu instid0(VALU_DEP_1)
	v_fma_f64 v[3:4], v[23:24], v[25:26], v[3:4]
	s_branch .LBB72_16
.LBB72_19:                              ;   in Loop: Header=BB72_3 Depth=1
	v_ashrrev_i32_e32 v6, 31, v5
	v_lshlrev_b64_e32 v[1:2], 2, v[1:2]
	s_delay_alu instid0(VALU_DEP_2) | instskip(NEXT) | instid1(VALU_DEP_1)
	v_mad_co_i64_i32 v[5:6], null, v20, s10, v[5:6]
	v_mul_lo_u32 v7, v6, s36
	s_delay_alu instid0(VALU_DEP_2) | instskip(SKIP_1) | instid1(VALU_DEP_1)
	v_mul_lo_u32 v8, v5, s37
	v_mad_co_u64_u32 v[5:6], null, v5, s36, 0
	v_add3_u32 v6, v6, v8, v7
	s_delay_alu instid0(VALU_DEP_1) | instskip(NEXT) | instid1(VALU_DEP_1)
	v_lshlrev_b64_e32 v[5:6], 2, v[5:6]
	v_add_co_u32 v5, vcc_lo, s4, v5
	s_wait_alu 0xfffd
	s_delay_alu instid0(VALU_DEP_2) | instskip(NEXT) | instid1(VALU_DEP_2)
	v_add_co_ci_u32_e64 v6, null, s5, v6, vcc_lo
	v_add_co_u32 v1, vcc_lo, v5, v1
	s_wait_alu 0xfffd
	s_delay_alu instid0(VALU_DEP_2)
	v_add_co_ci_u32_e64 v2, null, v6, v2, vcc_lo
	s_and_not1_b32 vcc_lo, exec_lo, s65
	s_wait_alu 0xfffe
	s_cbranch_vccnz .LBB72_2
; %bb.20:                               ;   in Loop: Header=BB72_3 Depth=1
	global_load_b32 v5, v[1:2], off
	s_wait_loadcnt 0x0
	v_cvt_f64_f32_e32 v[5:6], v5
	s_delay_alu instid0(VALU_DEP_1) | instskip(NEXT) | instid1(VALU_DEP_1)
	v_mul_f64_e32 v[5:6], s[26:27], v[5:6]
	v_fma_f64 v[3:4], s[24:25], v[3:4], v[5:6]
	s_branch .LBB72_2
.LBB72_21:
	s_endpgm
	.section	.rodata,"a",@progbits
	.p2align	6, 0x0
	.amdhsa_kernel naive_conv_ab_packed_fwd_ndhwc_float_double_float_0
		.amdhsa_group_segment_fixed_size 0
		.amdhsa_private_segment_fixed_size 0
		.amdhsa_kernarg_size 528
		.amdhsa_user_sgpr_count 2
		.amdhsa_user_sgpr_dispatch_ptr 0
		.amdhsa_user_sgpr_queue_ptr 0
		.amdhsa_user_sgpr_kernarg_segment_ptr 1
		.amdhsa_user_sgpr_dispatch_id 0
		.amdhsa_user_sgpr_private_segment_size 0
		.amdhsa_wavefront_size32 1
		.amdhsa_uses_dynamic_stack 0
		.amdhsa_enable_private_segment 0
		.amdhsa_system_sgpr_workgroup_id_x 1
		.amdhsa_system_sgpr_workgroup_id_y 0
		.amdhsa_system_sgpr_workgroup_id_z 0
		.amdhsa_system_sgpr_workgroup_info 0
		.amdhsa_system_vgpr_workitem_id 0
		.amdhsa_next_free_vgpr 27
		.amdhsa_next_free_sgpr 74
		.amdhsa_reserve_vcc 1
		.amdhsa_float_round_mode_32 0
		.amdhsa_float_round_mode_16_64 0
		.amdhsa_float_denorm_mode_32 3
		.amdhsa_float_denorm_mode_16_64 3
		.amdhsa_fp16_overflow 0
		.amdhsa_workgroup_processor_mode 1
		.amdhsa_memory_ordered 1
		.amdhsa_forward_progress 1
		.amdhsa_inst_pref_size 18
		.amdhsa_round_robin_scheduling 0
		.amdhsa_exception_fp_ieee_invalid_op 0
		.amdhsa_exception_fp_denorm_src 0
		.amdhsa_exception_fp_ieee_div_zero 0
		.amdhsa_exception_fp_ieee_overflow 0
		.amdhsa_exception_fp_ieee_underflow 0
		.amdhsa_exception_fp_ieee_inexact 0
		.amdhsa_exception_int_div_zero 0
	.end_amdhsa_kernel
	.text
.Lfunc_end72:
	.size	naive_conv_ab_packed_fwd_ndhwc_float_double_float_0, .Lfunc_end72-naive_conv_ab_packed_fwd_ndhwc_float_double_float_0
                                        ; -- End function
	.set naive_conv_ab_packed_fwd_ndhwc_float_double_float_0.num_vgpr, 27
	.set naive_conv_ab_packed_fwd_ndhwc_float_double_float_0.num_agpr, 0
	.set naive_conv_ab_packed_fwd_ndhwc_float_double_float_0.numbered_sgpr, 74
	.set naive_conv_ab_packed_fwd_ndhwc_float_double_float_0.num_named_barrier, 0
	.set naive_conv_ab_packed_fwd_ndhwc_float_double_float_0.private_seg_size, 0
	.set naive_conv_ab_packed_fwd_ndhwc_float_double_float_0.uses_vcc, 1
	.set naive_conv_ab_packed_fwd_ndhwc_float_double_float_0.uses_flat_scratch, 0
	.set naive_conv_ab_packed_fwd_ndhwc_float_double_float_0.has_dyn_sized_stack, 0
	.set naive_conv_ab_packed_fwd_ndhwc_float_double_float_0.has_recursion, 0
	.set naive_conv_ab_packed_fwd_ndhwc_float_double_float_0.has_indirect_call, 0
	.section	.AMDGPU.csdata,"",@progbits
; Kernel info:
; codeLenInByte = 2224
; TotalNumSgprs: 76
; NumVgprs: 27
; ScratchSize: 0
; MemoryBound: 0
; FloatMode: 240
; IeeeMode: 1
; LDSByteSize: 0 bytes/workgroup (compile time only)
; SGPRBlocks: 0
; VGPRBlocks: 3
; NumSGPRsForWavesPerEU: 76
; NumVGPRsForWavesPerEU: 27
; Occupancy: 16
; WaveLimiterHint : 1
; COMPUTE_PGM_RSRC2:SCRATCH_EN: 0
; COMPUTE_PGM_RSRC2:USER_SGPR: 2
; COMPUTE_PGM_RSRC2:TRAP_HANDLER: 0
; COMPUTE_PGM_RSRC2:TGID_X_EN: 1
; COMPUTE_PGM_RSRC2:TGID_Y_EN: 0
; COMPUTE_PGM_RSRC2:TGID_Z_EN: 0
; COMPUTE_PGM_RSRC2:TIDIG_COMP_CNT: 0
	.text
	.protected	naive_conv_ab_nonpacked_fwd_ndhwc_float_double_float_0 ; -- Begin function naive_conv_ab_nonpacked_fwd_ndhwc_float_double_float_0
	.globl	naive_conv_ab_nonpacked_fwd_ndhwc_float_double_float_0
	.p2align	8
	.type	naive_conv_ab_nonpacked_fwd_ndhwc_float_double_float_0,@function
naive_conv_ab_nonpacked_fwd_ndhwc_float_double_float_0: ; @naive_conv_ab_nonpacked_fwd_ndhwc_float_double_float_0
; %bb.0:
	s_load_b512 s[4:19], s[0:1], 0xb8
	s_mov_b32 s24, exec_lo
	s_wait_kmcnt 0x0
	s_abs_i32 s3, s10
	s_mul_i32 s34, s12, s8
	s_cvt_f32_u32 s2, s3
	s_delay_alu instid0(SALU_CYCLE_3) | instskip(NEXT) | instid1(TRANS32_DEP_1)
	v_rcp_iflag_f32_e32 v1, s2
	v_readfirstlane_b32 s2, v1
	s_mul_f32 s2, s2, 0x4f7ffffe
	s_wait_alu 0xfffe
	s_delay_alu instid0(SALU_CYCLE_2) | instskip(SKIP_2) | instid1(SALU_CYCLE_1)
	s_cvt_u32_f32 s20, s2
	s_sub_co_i32 s2, 0, s3
	s_wait_alu 0xfffe
	s_mul_i32 s2, s2, s20
	s_wait_alu 0xfffe
	s_mul_hi_u32 s21, s20, s2
	s_abs_i32 s2, ttmp9
	s_add_co_i32 s20, s20, s21
	s_wait_alu 0xfffe
	s_mul_hi_u32 s20, s2, s20
	s_delay_alu instid0(SALU_CYCLE_1) | instskip(SKIP_2) | instid1(SALU_CYCLE_1)
	s_mul_i32 s21, s20, s3
	s_add_co_i32 s22, s20, 1
	s_sub_co_i32 s21, s2, s21
	s_sub_co_i32 s23, s21, s3
	s_cmp_ge_u32 s21, s3
	s_cselect_b32 s20, s22, s20
	s_cselect_b32 s21, s23, s21
	s_add_co_i32 s22, s20, 1
	s_cmp_ge_u32 s21, s3
	s_mul_i32 s21, s10, s7
	s_cselect_b32 s22, s22, s20
	s_abs_i32 s20, s7
	s_abs_i32 s33, s21
	s_cvt_f32_u32 s3, s20
	s_cvt_f32_u32 s7, s33
	s_wait_alu 0xfffe
	s_delay_alu instid0(SALU_CYCLE_1) | instskip(NEXT) | instid1(SALU_CYCLE_1)
	v_rcp_iflag_f32_e32 v1, s3
	v_rcp_iflag_f32_e32 v2, s7
	s_mul_i32 s7, s34, s11
	s_mov_b32 s3, 0
	s_delay_alu instid0(TRANS32_DEP_2) | instskip(NEXT) | instid1(TRANS32_DEP_1)
	v_readfirstlane_b32 s23, v1
	v_readfirstlane_b32 s11, v2
	s_wait_alu 0xfffe
	v_cmpx_gt_i32_e64 s7, v0
	s_cbranch_execz .LBB73_21
; %bb.1:
	s_mul_f32 s23, s23, 0x4f7ffffe
	s_ashr_i32 s26, ttmp9, 31
	s_ashr_i32 s24, s10, 31
	s_mul_f32 s11, s11, 0x4f7ffffe
	s_cvt_u32_f32 s23, s23
	s_sub_co_i32 s25, 0, s20
	s_xor_b32 s24, s26, s24
	s_cvt_u32_f32 s11, s11
	s_xor_b32 s22, s22, s24
	s_mul_i32 s25, s25, s23
	s_sub_co_i32 s27, s22, s24
	s_mul_hi_u32 s24, s23, s25
	s_sub_co_i32 s28, 0, s33
	s_abs_i32 s22, s27
	s_add_co_i32 s24, s23, s24
	s_mov_b32 s23, s3
	s_mov_b32 s25, s3
	s_mul_i32 s28, s28, s11
	s_mul_u64 s[24:25], s[22:23], s[24:25]
	s_mul_hi_u32 s24, s11, s28
	s_ashr_i32 s23, s27, 31
	s_add_co_i32 s24, s11, s24
	s_mul_i32 s11, s25, s20
	s_mul_i32 s27, s27, s10
	s_sub_co_i32 s11, s22, s11
	s_ashr_i32 s21, s21, 31
	s_sub_co_i32 s10, ttmp9, s27
	s_sub_co_i32 s22, s11, s20
	s_cmp_ge_u32 s11, s20
	s_mov_b32 s25, s3
	s_cselect_b32 s11, s22, s11
	s_mul_u64 s[56:57], s[2:3], s[24:25]
	s_sub_co_i32 s22, s11, s20
	s_cmp_ge_u32 s11, s20
	s_load_b512 s[36:51], s[0:1], 0x68
	s_cselect_b32 s11, s22, s11
	s_clause 0x1
	s_load_b128 s[28:31], s[0:1], 0xf8
	s_load_b128 s[52:55], s[0:1], 0xa8
	s_xor_b32 s11, s11, s23
	s_xor_b32 s35, s26, s21
	s_sub_co_i32 s68, s11, s23
	s_mul_i32 s11, s57, s33
	s_load_b256 s[20:27], s[0:1], 0x0
	s_sub_co_i32 s2, s2, s11
	s_add_co_i32 s11, s57, 1
	s_wait_alu 0xfffe
	s_sub_co_i32 s56, s2, s33
	s_cmp_ge_u32 s2, s33
	s_cselect_b32 s11, s11, s57
	s_cselect_b32 s2, s56, s2
	s_add_co_i32 s56, s11, 1
	s_wait_alu 0xfffe
	s_cmp_ge_u32 s2, s33
	s_load_b32 s33, s[0:1], 0x108
	s_cselect_b32 s2, s56, s11
	s_ashr_i32 s69, s68, 31
	s_wait_alu 0xfffe
	s_xor_b32 s2, s2, s35
	s_ashr_i32 s11, s10, 31
	s_wait_alu 0xfffe
	s_sub_co_i32 s70, s2, s35
	s_wait_kmcnt 0x0
	s_mul_u64 s[54:55], s[54:55], s[68:69]
	s_ashr_i32 s71, s70, 31
	s_mul_u64 s[52:53], s[52:53], s[10:11]
	s_mul_u64 s[46:47], s[46:47], s[70:71]
	s_lshl_b64 s[54:55], s[54:55], 2
	s_lshl_b64 s[80:81], s[52:53], 2
	;; [unrolled: 1-line block ×3, first 2 shown]
	s_cmp_lt_i32 s30, 1
	v_cmp_neq_f64_e64 s2, s[24:25], 1.0
	v_cmp_neq_f64_e64 s35, s[26:27], 0
	s_mul_i32 s10, s10, s13
	s_cselect_b32 s72, -1, 0
	s_sub_co_i32 s19, s10, s19
	s_cmp_gt_i32 s31, 0
	s_clause 0x1
	s_load_b32 s13, s[0:1], 0x11c
	s_load_b64 s[10:11], s[0:1], 0x20
	s_cselect_b32 s73, -1, 0
	s_cmp_gt_i32 s33, 0
	s_cselect_b32 s74, -1, 0
	s_cmp_gt_i32 s9, 0
	s_cselect_b32 s75, -1, 0
	s_abs_i32 s76, s8
	s_abs_i32 s77, s12
	s_cvt_f32_u32 s52, s76
	s_cvt_f32_u32 s12, s77
	s_abs_i32 s78, s34
	s_ashr_i32 s84, s34, 31
	v_rcp_iflag_f32_e32 v1, s52
	v_rcp_iflag_f32_e32 v2, s12
	s_cvt_f32_u32 s12, s78
	s_lshl_b64 s[36:37], s[36:37], 2
	s_wait_kmcnt 0x0
	s_add_nc_u64 s[10:11], s[10:11], s[54:55]
	s_load_b512 s[52:67], s[0:1], 0x28
	s_add_nc_u64 s[0:1], s[10:11], s[80:81]
	s_and_b32 s80, s13, 0xffff
	s_delay_alu instid0(TRANS32_DEP_2)
	v_readfirstlane_b32 s79, v1
	v_rcp_iflag_f32_e32 v1, s12
	s_add_nc_u64 s[10:11], s[0:1], s[46:47]
	v_readfirstlane_b32 s1, v2
	s_sub_co_i32 s13, 0, s77
	s_mul_f32 s0, s79, 0x4f7ffffe
	s_ashr_i32 s81, s8, 31
	s_mul_f32 s1, s1, 0x4f7ffffe
	s_delay_alu instid0(SALU_CYCLE_1) | instskip(SKIP_1) | instid1(TRANS32_DEP_1)
	s_cvt_u32_f32 s0, s0
	s_or_b32 s79, s2, s35
	v_readfirstlane_b32 s12, v1
	s_sub_co_i32 s2, 0, s76
	s_cvt_u32_f32 s1, s1
	s_wait_alu 0xfffe
	s_mul_i32 s2, s2, s0
	s_lshl_b64 s[34:35], s[38:39], 2
	s_mul_f32 s12, s12, 0x4f7ffffe
	s_wait_alu 0xfffe
	s_mul_hi_u32 s2, s0, s2
	s_mul_i32 s13, s13, s1
	s_wait_alu 0xfffe
	s_add_co_i32 s82, s0, s2
	s_mul_hi_u32 s0, s1, s13
	s_cvt_u32_f32 s2, s12
	s_add_co_i32 s83, s1, s0
	s_sub_co_i32 s0, 0, s78
	s_wait_kmcnt 0x0
	s_mul_u64 s[38:39], s[62:63], s[68:69]
	s_wait_alu 0xfffe
	s_mul_i32 s12, s0, s2
	s_mul_u64 s[0:1], s[42:43], s[70:71]
	s_wait_alu 0xfffe
	s_mul_hi_u32 s12, s2, s12
	s_lshl_b64 s[0:1], s[0:1], 2
	s_wait_alu 0xfffe
	s_add_co_i32 s85, s2, s12
	s_add_nc_u64 s[12:13], s[22:23], s[0:1]
	s_mul_u64 s[0:1], s[54:55], s[70:71]
	s_lshl_b64 s[22:23], s[40:41], 2
	s_lshl_b64 s[0:1], s[0:1], 2
	;; [unrolled: 1-line block ×4, first 2 shown]
	s_add_nc_u64 s[0:1], s[0:1], s[40:41]
	s_lshl_b64 s[40:41], s[64:65], 2
	s_add_nc_u64 s[20:21], s[20:21], s[0:1]
	s_lshl_b64 s[42:43], s[60:61], 2
	s_lshl_b64 s[46:47], s[58:59], 2
	;; [unrolled: 1-line block ×4, first 2 shown]
	s_mov_b32 s58, 0
	s_branch .LBB73_3
.LBB73_2:                               ;   in Loop: Header=BB73_3 Depth=1
	s_delay_alu instid0(VALU_DEP_1) | instskip(SKIP_1) | instid1(VALU_DEP_1)
	v_cvt_f32_f64_e32 v1, v[1:2]
	v_add_nc_u32_e32 v0, s80, v0
	v_cmp_le_i32_e32 vcc_lo, s7, v0
	s_or_b32 s58, vcc_lo, s58
	global_store_b32 v[3:4], v1, off
	s_wait_alu 0xfffe
	s_and_not1_b32 exec_lo, exec_lo, s58
	s_cbranch_execz .LBB73_21
.LBB73_3:                               ; =>This Loop Header: Depth=1
                                        ;     Child Loop BB73_8 Depth 2
                                        ;       Child Loop BB73_11 Depth 3
                                        ;         Child Loop BB73_14 Depth 4
                                        ;           Child Loop BB73_17 Depth 5
	v_sub_nc_u32_e32 v1, 0, v0
	s_mov_b32 s56, -1
                                        ; implicit-def: $vgpr18
	s_delay_alu instid0(VALU_DEP_1) | instskip(NEXT) | instid1(VALU_DEP_1)
	v_max_i32_e32 v4, v0, v1
	v_mul_hi_u32 v1, v4, s82
	s_delay_alu instid0(VALU_DEP_1) | instskip(SKIP_1) | instid1(VALU_DEP_2)
	v_mul_lo_u32 v2, v1, s76
	v_add_nc_u32_e32 v3, 1, v1
	v_sub_nc_u32_e32 v2, v4, v2
	s_delay_alu instid0(VALU_DEP_1) | instskip(SKIP_2) | instid1(VALU_DEP_2)
	v_subrev_nc_u32_e32 v5, s76, v2
	v_cmp_le_u32_e32 vcc_lo, s76, v2
	s_wait_alu 0xfffd
	v_dual_cndmask_b32 v3, v1, v3 :: v_dual_cndmask_b32 v2, v2, v5
	v_ashrrev_i32_e32 v1, 31, v0
	s_delay_alu instid0(VALU_DEP_2) | instskip(NEXT) | instid1(VALU_DEP_3)
	v_add_nc_u32_e32 v5, 1, v3
	v_cmp_le_u32_e32 vcc_lo, s76, v2
	s_delay_alu instid0(VALU_DEP_3) | instskip(SKIP_1) | instid1(VALU_DEP_3)
	v_xor_b32_e32 v6, s81, v1
	s_wait_alu 0xfffd
	v_cndmask_b32_e32 v2, v3, v5, vcc_lo
	s_delay_alu instid0(VALU_DEP_1) | instskip(NEXT) | instid1(VALU_DEP_1)
	v_xor_b32_e32 v2, v2, v6
	v_sub_nc_u32_e32 v2, v2, v6
	s_delay_alu instid0(VALU_DEP_1) | instskip(SKIP_1) | instid1(VALU_DEP_2)
	v_sub_nc_u32_e32 v3, 0, v2
	v_mul_lo_u32 v8, v2, s8
	v_max_i32_e32 v5, v2, v3
	v_mul_hi_u32 v3, v4, s85
	s_delay_alu instid0(VALU_DEP_3) | instskip(NEXT) | instid1(VALU_DEP_3)
	v_sub_nc_u32_e32 v17, v0, v8
	v_mul_hi_u32 v6, v5, s83
	s_delay_alu instid0(VALU_DEP_3) | instskip(NEXT) | instid1(VALU_DEP_2)
	v_mul_lo_u32 v7, v3, s78
	v_mul_lo_u32 v6, v6, s77
	s_delay_alu instid0(VALU_DEP_1) | instskip(NEXT) | instid1(VALU_DEP_3)
	v_sub_nc_u32_e32 v5, v5, v6
	v_sub_nc_u32_e32 v6, v4, v7
	s_delay_alu instid0(VALU_DEP_2) | instskip(NEXT) | instid1(VALU_DEP_2)
	v_subrev_nc_u32_e32 v4, s77, v5
	v_subrev_nc_u32_e32 v7, s78, v6
	v_cmp_le_u32_e32 vcc_lo, s77, v5
	v_cmp_le_u32_e64 s0, s78, v6
	s_wait_alu 0xfffd
	v_cndmask_b32_e32 v4, v5, v4, vcc_lo
	s_wait_alu 0xf1ff
	s_delay_alu instid0(VALU_DEP_2) | instskip(SKIP_1) | instid1(VALU_DEP_2)
	v_cndmask_b32_e64 v5, v6, v7, s0
	s_and_not1_b32 vcc_lo, exec_lo, s72
	v_cmp_le_u32_e64 s2, s77, v4
	s_delay_alu instid0(VALU_DEP_2)
	v_cmp_le_u32_e64 s1, s78, v5
	s_wait_alu 0xfffe
	s_cbranch_vccnz .LBB73_5
; %bb.4:                                ;   in Loop: Header=BB73_3 Depth=1
	v_ashrrev_i32_e32 v18, 31, v17
	s_mov_b32 s56, 0
.LBB73_5:                               ;   in Loop: Header=BB73_3 Depth=1
	v_add_nc_u32_e32 v5, 1, v3
	v_ashrrev_i32_e32 v2, 31, v2
	s_wait_alu 0xfffe
	s_and_not1_b32 vcc_lo, exec_lo, s56
	s_delay_alu instid0(VALU_DEP_2) | instskip(SKIP_1) | instid1(VALU_DEP_2)
	v_cndmask_b32_e64 v3, v3, v5, s0
	v_subrev_nc_u32_e32 v5, s77, v4
	v_add_nc_u32_e32 v6, 1, v3
	s_delay_alu instid0(VALU_DEP_2) | instskip(SKIP_1) | instid1(VALU_DEP_3)
	v_cndmask_b32_e64 v4, v4, v5, s2
	v_xor_b32_e32 v5, s84, v1
	v_cndmask_b32_e64 v1, v3, v6, s1
	s_delay_alu instid0(VALU_DEP_3) | instskip(NEXT) | instid1(VALU_DEP_2)
	v_xor_b32_e32 v3, v4, v2
	v_xor_b32_e32 v4, v1, v5
	s_delay_alu instid0(VALU_DEP_2) | instskip(SKIP_2) | instid1(VALU_DEP_4)
	v_sub_nc_u32_e32 v19, v3, v2
	v_mov_b32_e32 v1, 0
	v_mov_b32_e32 v2, 0
	v_sub_nc_u32_e32 v20, v4, v5
	s_wait_alu 0xfffe
	s_cbranch_vccnz .LBB73_19
; %bb.6:                                ;   in Loop: Header=BB73_3 Depth=1
	v_ashrrev_i32_e32 v18, 31, v17
	s_delay_alu instid0(VALU_DEP_2)
	v_mul_lo_u32 v1, v20, s14
	v_mul_lo_u32 v2, v19, s15
	v_mad_co_u64_u32 v[3:4], null, s22, v17, s[12:13]
	v_mul_lo_u32 v7, s23, v17
	v_mul_lo_u32 v8, s22, v18
	s_mov_b32 s1, 0
	s_mov_b32 s2, s19
	v_subrev_nc_u32_e32 v5, s28, v1
	v_subrev_nc_u32_e32 v6, s29, v2
	v_mov_b32_e32 v1, 0
	v_mov_b32_e32 v2, 0
	v_add3_u32 v4, v7, v4, v8
	s_branch .LBB73_8
.LBB73_7:                               ;   in Loop: Header=BB73_8 Depth=2
	v_add_co_u32 v3, vcc_lo, v3, s34
	s_wait_alu 0xfffd
	v_add_co_ci_u32_e64 v4, null, s35, v4, vcc_lo
	s_add_co_i32 s1, s1, 1
	s_add_co_i32 s2, s2, s16
	s_wait_alu 0xfffe
	s_cmp_eq_u32 s1, s30
	s_cbranch_scc1 .LBB73_19
.LBB73_8:                               ;   Parent Loop BB73_3 Depth=1
                                        ; =>  This Loop Header: Depth=2
                                        ;       Child Loop BB73_11 Depth 3
                                        ;         Child Loop BB73_14 Depth 4
                                        ;           Child Loop BB73_17 Depth 5
	s_and_not1_b32 vcc_lo, exec_lo, s73
	s_wait_alu 0xfffe
	s_cbranch_vccnz .LBB73_7
; %bb.9:                                ;   in Loop: Header=BB73_8 Depth=2
	s_mul_i32 s0, s1, s16
	v_dual_mov_b32 v21, v5 :: v_dual_mov_b32 v8, v4
	s_wait_alu 0xfffe
	s_add_co_i32 s0, s0, s19
	v_mov_b32_e32 v7, v3
	s_wait_alu 0xfffe
	s_cmp_lt_i32 s0, 0
	s_mul_u64 s[56:57], s[42:43], s[2:3]
	s_cselect_b32 s60, -1, 0
	s_cmp_ge_i32 s0, s4
	s_mov_b32 s59, 0
	s_cselect_b32 s0, -1, 0
	s_wait_alu 0xfffe
	s_add_nc_u64 s[56:57], s[20:21], s[56:57]
	s_or_b32 s60, s60, s0
	s_branch .LBB73_11
.LBB73_10:                              ;   in Loop: Header=BB73_11 Depth=3
	v_add_co_u32 v7, vcc_lo, v7, s36
	s_wait_alu 0xfffd
	v_add_co_ci_u32_e64 v8, null, s37, v8, vcc_lo
	v_add_nc_u32_e32 v21, s17, v21
	s_add_co_i32 s59, s59, 1
	s_wait_alu 0xfffe
	s_cmp_eq_u32 s59, s31
	s_cbranch_scc1 .LBB73_7
.LBB73_11:                              ;   Parent Loop BB73_3 Depth=1
                                        ;     Parent Loop BB73_8 Depth=2
                                        ; =>    This Loop Header: Depth=3
                                        ;         Child Loop BB73_14 Depth 4
                                        ;           Child Loop BB73_17 Depth 5
	s_and_not1_b32 vcc_lo, exec_lo, s74
	s_wait_alu 0xfffe
	s_cbranch_vccnz .LBB73_10
; %bb.12:                               ;   in Loop: Header=BB73_11 Depth=3
	v_mad_co_u64_u32 v[9:10], null, s46, v21, s[56:57]
	v_mad_co_u64_u32 v[11:12], null, s59, s17, v[5:6]
	v_mov_b32_e32 v22, v6
	s_mov_b32 s61, 0
	s_delay_alu instid0(VALU_DEP_2)
	v_mad_co_u64_u32 v[12:13], null, s47, v21, v[10:11]
	v_cmp_gt_i32_e32 vcc_lo, 0, v11
	v_cmp_le_i32_e64 s0, s5, v11
	s_or_b32 s0, vcc_lo, s0
	v_mov_b32_e32 v10, v12
	v_dual_mov_b32 v12, v8 :: v_dual_mov_b32 v11, v7
	s_wait_alu 0xfffe
	s_or_b32 s62, s60, s0
	s_branch .LBB73_14
.LBB73_13:                              ;   in Loop: Header=BB73_14 Depth=4
	v_add_co_u32 v11, vcc_lo, v11, s38
	s_wait_alu 0xfffd
	v_add_co_ci_u32_e64 v12, null, s39, v12, vcc_lo
	v_add_nc_u32_e32 v22, s18, v22
	s_add_co_i32 s61, s61, 1
	s_wait_alu 0xfffe
	s_cmp_eq_u32 s61, s33
	s_cbranch_scc1 .LBB73_10
.LBB73_14:                              ;   Parent Loop BB73_3 Depth=1
                                        ;     Parent Loop BB73_8 Depth=2
                                        ;       Parent Loop BB73_11 Depth=3
                                        ; =>      This Loop Header: Depth=4
                                        ;           Child Loop BB73_17 Depth 5
	s_and_not1_b32 vcc_lo, exec_lo, s75
	s_wait_alu 0xfffe
	s_cbranch_vccnz .LBB73_13
; %bb.15:                               ;   in Loop: Header=BB73_14 Depth=4
	v_mad_co_u64_u32 v[13:14], null, s54, v22, v[9:10]
	v_mad_co_u64_u32 v[15:16], null, s61, s18, v[6:7]
	s_mov_b32 s63, s9
	v_mad_co_u64_u32 v[23:24], null, s55, v22, v[14:15]
	v_cmp_gt_i32_e32 vcc_lo, 0, v15
	v_cmp_le_i32_e64 s0, s6, v15
	v_dual_mov_b32 v16, v12 :: v_dual_mov_b32 v15, v11
	s_delay_alu instid0(VALU_DEP_4)
	v_mov_b32_e32 v14, v23
	s_or_b32 s0, vcc_lo, s0
	s_wait_alu 0xfffe
	s_nor_b32 s0, s62, s0
	s_branch .LBB73_17
.LBB73_16:                              ;   in Loop: Header=BB73_17 Depth=5
	s_or_b32 exec_lo, exec_lo, s64
	v_add_co_u32 v15, vcc_lo, v15, s40
	s_wait_alu 0xfffd
	v_add_co_ci_u32_e64 v16, null, s41, v16, vcc_lo
	v_add_co_u32 v13, vcc_lo, v13, s52
	s_wait_alu 0xfffd
	v_add_co_ci_u32_e64 v14, null, s53, v14, vcc_lo
	s_add_co_i32 s63, s63, -1
	s_delay_alu instid0(SALU_CYCLE_1)
	s_cmp_eq_u32 s63, 0
	s_cbranch_scc1 .LBB73_13
.LBB73_17:                              ;   Parent Loop BB73_3 Depth=1
                                        ;     Parent Loop BB73_8 Depth=2
                                        ;       Parent Loop BB73_11 Depth=3
                                        ;         Parent Loop BB73_14 Depth=4
                                        ; =>        This Inner Loop Header: Depth=5
	s_wait_alu 0xfffe
	s_and_saveexec_b32 s64, s0
	s_cbranch_execz .LBB73_16
; %bb.18:                               ;   in Loop: Header=BB73_17 Depth=5
	global_load_b32 v23, v[13:14], off
	global_load_b32 v25, v[15:16], off
	s_wait_loadcnt 0x1
	v_cvt_f64_f32_e32 v[23:24], v23
	s_wait_loadcnt 0x0
	v_cvt_f64_f32_e32 v[25:26], v25
	s_delay_alu instid0(VALU_DEP_1)
	v_fma_f64 v[1:2], v[23:24], v[25:26], v[1:2]
	s_branch .LBB73_16
.LBB73_19:                              ;   in Loop: Header=BB73_3 Depth=1
	s_delay_alu instid0(VALU_DEP_1) | instskip(SKIP_3) | instid1(VALU_DEP_4)
	v_ashrrev_i32_e32 v5, 31, v20
	v_mul_lo_u32 v7, s51, v20
	v_mad_co_u64_u32 v[3:4], null, s50, v20, 0
	v_ashrrev_i32_e32 v9, 31, v19
	v_mul_lo_u32 v8, s50, v5
	v_mul_lo_u32 v10, s49, v19
	v_mad_co_u64_u32 v[5:6], null, s48, v19, 0
	s_delay_alu instid0(VALU_DEP_4)
	v_mul_lo_u32 v9, s48, v9
	v_mul_lo_u32 v11, v18, s44
	;; [unrolled: 1-line block ×3, first 2 shown]
	v_add3_u32 v4, v4, v8, v7
	v_mad_co_u64_u32 v[7:8], null, v17, s44, 0
	v_add3_u32 v6, v6, v9, v10
	s_delay_alu instid0(VALU_DEP_3) | instskip(NEXT) | instid1(VALU_DEP_2)
	v_lshlrev_b64_e32 v[3:4], 2, v[3:4]
	v_lshlrev_b64_e32 v[5:6], 2, v[5:6]
	s_delay_alu instid0(VALU_DEP_4) | instskip(NEXT) | instid1(VALU_DEP_3)
	v_add3_u32 v8, v8, v12, v11
	v_add_co_u32 v9, vcc_lo, s10, v3
	s_wait_alu 0xfffd
	s_delay_alu instid0(VALU_DEP_4) | instskip(NEXT) | instid1(VALU_DEP_3)
	v_add_co_ci_u32_e64 v10, null, s11, v4, vcc_lo
	v_lshlrev_b64_e32 v[3:4], 2, v[7:8]
	s_delay_alu instid0(VALU_DEP_3) | instskip(SKIP_1) | instid1(VALU_DEP_3)
	v_add_co_u32 v5, vcc_lo, v9, v5
	s_wait_alu 0xfffd
	v_add_co_ci_u32_e64 v6, null, v10, v6, vcc_lo
	s_delay_alu instid0(VALU_DEP_2) | instskip(SKIP_1) | instid1(VALU_DEP_2)
	v_add_co_u32 v3, vcc_lo, v5, v3
	s_wait_alu 0xfffd
	v_add_co_ci_u32_e64 v4, null, v6, v4, vcc_lo
	s_and_not1_b32 vcc_lo, exec_lo, s79
	s_wait_alu 0xfffe
	s_cbranch_vccnz .LBB73_2
; %bb.20:                               ;   in Loop: Header=BB73_3 Depth=1
	global_load_b32 v5, v[3:4], off
	s_wait_loadcnt 0x0
	v_cvt_f64_f32_e32 v[5:6], v5
	s_delay_alu instid0(VALU_DEP_1) | instskip(NEXT) | instid1(VALU_DEP_1)
	v_mul_f64_e32 v[5:6], s[26:27], v[5:6]
	v_fma_f64 v[1:2], s[24:25], v[1:2], v[5:6]
	s_branch .LBB73_2
.LBB73_21:
	s_endpgm
	.section	.rodata,"a",@progbits
	.p2align	6, 0x0
	.amdhsa_kernel naive_conv_ab_nonpacked_fwd_ndhwc_float_double_float_0
		.amdhsa_group_segment_fixed_size 0
		.amdhsa_private_segment_fixed_size 0
		.amdhsa_kernarg_size 528
		.amdhsa_user_sgpr_count 2
		.amdhsa_user_sgpr_dispatch_ptr 0
		.amdhsa_user_sgpr_queue_ptr 0
		.amdhsa_user_sgpr_kernarg_segment_ptr 1
		.amdhsa_user_sgpr_dispatch_id 0
		.amdhsa_user_sgpr_private_segment_size 0
		.amdhsa_wavefront_size32 1
		.amdhsa_uses_dynamic_stack 0
		.amdhsa_enable_private_segment 0
		.amdhsa_system_sgpr_workgroup_id_x 1
		.amdhsa_system_sgpr_workgroup_id_y 0
		.amdhsa_system_sgpr_workgroup_id_z 0
		.amdhsa_system_sgpr_workgroup_info 0
		.amdhsa_system_vgpr_workitem_id 0
		.amdhsa_next_free_vgpr 27
		.amdhsa_next_free_sgpr 86
		.amdhsa_reserve_vcc 1
		.amdhsa_float_round_mode_32 0
		.amdhsa_float_round_mode_16_64 0
		.amdhsa_float_denorm_mode_32 3
		.amdhsa_float_denorm_mode_16_64 3
		.amdhsa_fp16_overflow 0
		.amdhsa_workgroup_processor_mode 1
		.amdhsa_memory_ordered 1
		.amdhsa_forward_progress 1
		.amdhsa_inst_pref_size 17
		.amdhsa_round_robin_scheduling 0
		.amdhsa_exception_fp_ieee_invalid_op 0
		.amdhsa_exception_fp_denorm_src 0
		.amdhsa_exception_fp_ieee_div_zero 0
		.amdhsa_exception_fp_ieee_overflow 0
		.amdhsa_exception_fp_ieee_underflow 0
		.amdhsa_exception_fp_ieee_inexact 0
		.amdhsa_exception_int_div_zero 0
	.end_amdhsa_kernel
	.text
.Lfunc_end73:
	.size	naive_conv_ab_nonpacked_fwd_ndhwc_float_double_float_0, .Lfunc_end73-naive_conv_ab_nonpacked_fwd_ndhwc_float_double_float_0
                                        ; -- End function
	.set naive_conv_ab_nonpacked_fwd_ndhwc_float_double_float_0.num_vgpr, 27
	.set naive_conv_ab_nonpacked_fwd_ndhwc_float_double_float_0.num_agpr, 0
	.set naive_conv_ab_nonpacked_fwd_ndhwc_float_double_float_0.numbered_sgpr, 86
	.set naive_conv_ab_nonpacked_fwd_ndhwc_float_double_float_0.num_named_barrier, 0
	.set naive_conv_ab_nonpacked_fwd_ndhwc_float_double_float_0.private_seg_size, 0
	.set naive_conv_ab_nonpacked_fwd_ndhwc_float_double_float_0.uses_vcc, 1
	.set naive_conv_ab_nonpacked_fwd_ndhwc_float_double_float_0.uses_flat_scratch, 0
	.set naive_conv_ab_nonpacked_fwd_ndhwc_float_double_float_0.has_dyn_sized_stack, 0
	.set naive_conv_ab_nonpacked_fwd_ndhwc_float_double_float_0.has_recursion, 0
	.set naive_conv_ab_nonpacked_fwd_ndhwc_float_double_float_0.has_indirect_call, 0
	.section	.AMDGPU.csdata,"",@progbits
; Kernel info:
; codeLenInByte = 2152
; TotalNumSgprs: 88
; NumVgprs: 27
; ScratchSize: 0
; MemoryBound: 0
; FloatMode: 240
; IeeeMode: 1
; LDSByteSize: 0 bytes/workgroup (compile time only)
; SGPRBlocks: 0
; VGPRBlocks: 3
; NumSGPRsForWavesPerEU: 88
; NumVGPRsForWavesPerEU: 27
; Occupancy: 16
; WaveLimiterHint : 1
; COMPUTE_PGM_RSRC2:SCRATCH_EN: 0
; COMPUTE_PGM_RSRC2:USER_SGPR: 2
; COMPUTE_PGM_RSRC2:TRAP_HANDLER: 0
; COMPUTE_PGM_RSRC2:TGID_X_EN: 1
; COMPUTE_PGM_RSRC2:TGID_Y_EN: 0
; COMPUTE_PGM_RSRC2:TGID_Z_EN: 0
; COMPUTE_PGM_RSRC2:TIDIG_COMP_CNT: 0
	.text
	.protected	naive_conv_ab_packed_fwd_ndhwc_float_double_float_1 ; -- Begin function naive_conv_ab_packed_fwd_ndhwc_float_double_float_1
	.globl	naive_conv_ab_packed_fwd_ndhwc_float_double_float_1
	.p2align	8
	.type	naive_conv_ab_packed_fwd_ndhwc_float_double_float_1,@function
naive_conv_ab_packed_fwd_ndhwc_float_double_float_1: ; @naive_conv_ab_packed_fwd_ndhwc_float_double_float_1
; %bb.0:
	s_load_b512 s[4:19], s[0:1], 0xb8
	s_mov_b32 s25, exec_lo
	s_wait_kmcnt 0x0
	s_abs_i32 s3, s10
	s_mul_i32 s52, s12, s8
	s_cvt_f32_u32 s2, s3
	s_mul_i32 s33, s52, s11
	s_delay_alu instid0(SALU_CYCLE_2) | instskip(NEXT) | instid1(TRANS32_DEP_1)
	v_rcp_iflag_f32_e32 v1, s2
	v_readfirstlane_b32 s2, v1
	s_mul_f32 s2, s2, 0x4f7ffffe
	s_wait_alu 0xfffe
	s_delay_alu instid0(SALU_CYCLE_2) | instskip(SKIP_2) | instid1(SALU_CYCLE_1)
	s_cvt_u32_f32 s20, s2
	s_sub_co_i32 s2, 0, s3
	s_wait_alu 0xfffe
	s_mul_i32 s2, s2, s20
	s_wait_alu 0xfffe
	s_mul_hi_u32 s21, s20, s2
	s_abs_i32 s2, ttmp9
	s_add_co_i32 s20, s20, s21
	s_wait_alu 0xfffe
	s_mul_hi_u32 s20, s2, s20
	s_delay_alu instid0(SALU_CYCLE_1) | instskip(SKIP_2) | instid1(SALU_CYCLE_1)
	s_mul_i32 s21, s20, s3
	s_add_co_i32 s22, s20, 1
	s_sub_co_i32 s21, s2, s21
	s_sub_co_i32 s23, s21, s3
	s_cmp_ge_u32 s21, s3
	s_cselect_b32 s20, s22, s20
	s_cselect_b32 s21, s23, s21
	s_add_co_i32 s22, s20, 1
	s_cmp_ge_u32 s21, s3
	s_mul_i32 s21, s10, s7
	s_cselect_b32 s22, s22, s20
	s_abs_i32 s20, s7
	s_abs_i32 s7, s21
	s_cvt_f32_u32 s3, s20
	s_cvt_f32_u32 s23, s7
	s_wait_alu 0xfffe
	s_delay_alu instid0(SALU_CYCLE_1) | instskip(NEXT) | instid1(SALU_CYCLE_1)
	v_rcp_iflag_f32_e32 v1, s3
	v_rcp_iflag_f32_e32 v2, s23
	s_mov_b32 s3, 0
	s_delay_alu instid0(TRANS32_DEP_2) | instskip(NEXT) | instid1(TRANS32_DEP_1)
	v_readfirstlane_b32 s24, v1
	v_readfirstlane_b32 s23, v2
	v_cmpx_gt_i32_e64 s33, v0
	s_cbranch_execz .LBB74_21
; %bb.1:
	s_mul_f32 s24, s24, 0x4f7ffffe
	s_ashr_i32 s26, ttmp9, 31
	s_ashr_i32 s45, s10, 31
	s_sub_co_i32 s25, 0, s20
	s_cvt_u32_f32 s24, s24
	s_xor_b32 s27, s26, s45
	s_mul_f32 s28, s23, 0x4f7ffffe
	s_xor_b32 s22, s22, s27
	s_mul_i32 s25, s25, s24
	s_wait_alu 0xfffe
	s_sub_co_i32 s27, s22, s27
	s_mul_hi_u32 s23, s24, s25
	s_abs_i32 s22, s27
	s_wait_alu 0xfffe
	s_add_co_i32 s24, s24, s23
	s_mov_b32 s23, s3
	s_cvt_u32_f32 s28, s28
	s_mov_b32 s25, s3
	s_sub_co_i32 s29, 0, s7
	s_wait_alu 0xfffe
	s_mul_u64 s[24:25], s[22:23], s[24:25]
	s_mul_i32 s29, s29, s28
	s_mul_i32 s25, s25, s20
	s_ashr_i32 s23, s27, 31
	s_mul_hi_u32 s24, s28, s29
	s_mul_i32 s27, s27, s10
	s_sub_co_i32 s22, s22, s25
	s_ashr_i32 s21, s21, 31
	s_add_co_i32 s24, s28, s24
	s_sub_co_i32 s46, ttmp9, s27
	s_wait_alu 0xfffe
	s_sub_co_i32 s27, s22, s20
	s_cmp_ge_u32 s22, s20
	s_mov_b32 s25, s3
	s_cselect_b32 s22, s27, s22
	s_mul_u64 s[28:29], s[2:3], s[24:25]
	s_wait_alu 0xfffe
	s_sub_co_i32 s24, s22, s20
	s_cmp_ge_u32 s22, s20
	s_load_b64 s[34:35], s[0:1], 0x108
	s_cselect_b32 s20, s24, s22
	s_xor_b32 s37, s26, s21
	s_xor_b32 s20, s20, s23
	s_add_co_i32 s28, s29, 1
	s_sub_co_i32 s50, s20, s23
	s_mul_i32 s20, s29, s7
	s_mov_b32 s44, s10
	s_sub_co_i32 s2, s2, s20
	s_load_b256 s[20:27], s[0:1], 0x0
	s_sub_co_i32 s30, s2, s7
	s_cmp_ge_u32 s2, s7
	s_mov_b32 s60, s11
	s_cselect_b32 s36, s28, s29
	s_cselect_b32 s2, s30, s2
	s_load_b128 s[28:31], s[0:1], 0xf8
	s_add_co_i32 s38, s36, 1
	s_cmp_ge_u32 s2, s7
	s_mov_b32 s10, s12
	s_cselect_b32 s2, s38, s36
	s_wait_kmcnt 0x0
	s_mul_i32 s36, s35, s8
	s_wait_alu 0xfffe
	s_xor_b32 s2, s2, s37
	s_ashr_i32 s51, s50, 31
	s_ashr_i32 s61, s11, 31
	;; [unrolled: 1-line block ×3, first 2 shown]
	s_wait_alu 0xfffe
	s_sub_co_i32 s56, s2, s37
	s_mul_u64 s[62:63], s[50:51], s[44:45]
	s_mul_u64 s[60:61], s[10:11], s[60:61]
	s_ashr_i32 s47, s46, 31
	s_ashr_i32 s37, s36, 31
	;; [unrolled: 1-line block ×4, first 2 shown]
	s_mov_b32 s42, s8
	s_add_nc_u64 s[62:63], s[62:63], s[46:47]
	s_mul_u64 s[60:61], s[60:61], s[36:37]
	s_mul_i32 s58, s35, s9
	s_mul_u64 s[48:49], s[56:57], s[42:43]
	s_mul_u64 s[60:61], s[60:61], s[62:63]
	s_ashr_i32 s39, s4, 31
	s_ashr_i32 s41, s5, 31
	;; [unrolled: 1-line block ×8, first 2 shown]
	s_lshl_b64 s[66:67], s[60:61], 2
	s_lshl_b64 s[48:49], s[48:49], 2
	s_cmp_lt_i32 s30, 1
	s_mul_i32 s2, s46, s13
	s_cselect_b32 s11, -1, 0
	s_wait_alu 0xfffe
	s_sub_co_i32 s19, s2, s19
	v_cmp_neq_f64_e64 s2, s[24:25], 1.0
	v_cmp_neq_f64_e64 s13, s[26:27], 0
	s_cmp_gt_i32 s31, 0
	s_load_b32 s53, s[0:1], 0x11c
	s_cselect_b32 s42, -1, 0
	s_cmp_gt_i32 s34, 0
	s_load_b64 s[0:1], s[0:1], 0x20
	s_cselect_b32 s60, -1, 0
	s_cmp_gt_i32 s9, 0
	s_mov_b32 s40, s5
	s_cselect_b32 s61, -1, 0
	s_abs_i32 s62, s8
	s_abs_i32 s63, s12
	s_cvt_f32_u32 s38, s62
	s_abs_i32 s64, s52
	s_mov_b32 s54, s9
	s_cvt_f32_u32 s44, s64
	v_rcp_iflag_f32_e32 v1, s38
	s_mov_b32 s38, s4
	s_cvt_f32_u32 s4, s63
	v_rcp_iflag_f32_e32 v2, s44
	s_mov_b32 s44, s30
	s_mov_b32 s46, s31
	s_ashr_i32 s69, s52, 31
	s_wait_kmcnt 0x0
	s_add_nc_u64 s[0:1], s[0:1], s[66:67]
	s_delay_alu instid0(TRANS32_DEP_2) | instskip(SKIP_4) | instid1(SALU_CYCLE_3)
	v_readfirstlane_b32 s12, v1
	v_rcp_iflag_f32_e32 v1, s4
	s_add_nc_u64 s[4:5], s[0:1], s[48:49]
	s_and_b32 s66, s53, 0xffff
	s_mul_f32 s12, s12, 0x4f7ffffe
	s_cvt_u32_f32 s0, s12
	v_readfirstlane_b32 s12, v2
	s_delay_alu instid0(TRANS32_DEP_1)
	v_readfirstlane_b32 s1, v1
	s_or_b32 s65, s2, s13
	s_sub_co_i32 s2, 0, s62
	s_wait_alu 0xfffe
	s_mul_i32 s2, s2, s0
	s_mul_f32 s1, s1, 0x4f7ffffe
	s_mul_f32 s12, s12, 0x4f7ffffe
	s_wait_alu 0xfffe
	s_mul_hi_u32 s2, s0, s2
	s_cvt_u32_f32 s1, s1
	s_wait_alu 0xfffe
	s_add_co_i32 s67, s0, s2
	s_sub_co_i32 s0, 0, s63
	s_cvt_u32_f32 s2, s12
	s_mul_i32 s0, s0, s1
	s_sub_co_i32 s12, 0, s64
	s_mul_hi_u32 s0, s1, s0
	s_wait_alu 0xfffe
	s_mul_i32 s12, s12, s2
	s_add_co_i32 s68, s1, s0
	s_mul_hi_u32 s30, s2, s12
	s_mul_u64 s[0:1], s[54:55], s[56:57]
	s_mul_u64 s[12:13], s[6:7], s[40:41]
	s_lshl_b64 s[0:1], s[0:1], 2
	s_mul_u64 s[52:53], s[12:13], s[38:39]
	s_add_co_i32 s70, s2, s30
	s_mul_u64 s[30:31], s[34:35], s[46:47]
	s_add_nc_u64 s[12:13], s[20:21], s[0:1]
	s_mul_u64 s[0:1], s[52:53], s[50:51]
	s_mul_u64 s[50:51], s[30:31], s[54:55]
	s_lshl_b64 s[20:21], s[0:1], 2
	s_mul_u64 s[0:1], s[34:35], s[54:55]
	s_mul_u64 s[30:31], s[50:51], s[44:45]
	s_lshl_b64 s[50:51], s[50:51], 2
	s_lshl_b64 s[52:53], s[0:1], 2
	;; [unrolled: 1-line block ×3, first 2 shown]
	s_mov_b32 s35, 0
	s_branch .LBB74_3
.LBB74_2:                               ;   in Loop: Header=BB74_3 Depth=1
	s_delay_alu instid0(VALU_DEP_1) | instskip(SKIP_1) | instid1(VALU_DEP_1)
	v_cvt_f32_f64_e32 v3, v[3:4]
	v_add_nc_u32_e32 v0, s66, v0
	v_cmp_le_i32_e32 vcc_lo, s33, v0
	s_or_b32 s35, vcc_lo, s35
	global_store_b32 v[1:2], v3, off
	s_and_not1_b32 exec_lo, exec_lo, s35
	s_cbranch_execz .LBB74_21
.LBB74_3:                               ; =>This Loop Header: Depth=1
                                        ;     Child Loop BB74_8 Depth 2
                                        ;       Child Loop BB74_11 Depth 3
                                        ;         Child Loop BB74_14 Depth 4
                                        ;           Child Loop BB74_17 Depth 5
	v_sub_nc_u32_e32 v1, 0, v0
	s_mov_b32 s39, -1
	s_delay_alu instid0(VALU_DEP_1) | instskip(NEXT) | instid1(VALU_DEP_1)
	v_max_i32_e32 v1, v0, v1
	v_mul_hi_u32 v2, v1, s67
	s_delay_alu instid0(VALU_DEP_1) | instskip(NEXT) | instid1(VALU_DEP_1)
	v_mul_lo_u32 v3, v2, s62
	v_sub_nc_u32_e32 v4, v1, v3
	s_delay_alu instid0(VALU_DEP_1) | instskip(SKIP_2) | instid1(VALU_DEP_2)
	v_subrev_nc_u32_e32 v5, s62, v4
	v_cmp_le_u32_e32 vcc_lo, s62, v4
	s_wait_alu 0xfffd
	v_dual_cndmask_b32 v4, v4, v5 :: v_dual_add_nc_u32 v3, 1, v2
	s_delay_alu instid0(VALU_DEP_1) | instskip(SKIP_1) | instid1(VALU_DEP_3)
	v_cndmask_b32_e32 v2, v2, v3, vcc_lo
	v_ashrrev_i32_e32 v3, 31, v0
	v_cmp_le_u32_e32 vcc_lo, s62, v4
	s_delay_alu instid0(VALU_DEP_3) | instskip(NEXT) | instid1(VALU_DEP_3)
	v_add_nc_u32_e32 v5, 1, v2
	v_xor_b32_e32 v6, s43, v3
	s_wait_alu 0xfffd
	s_delay_alu instid0(VALU_DEP_2) | instskip(SKIP_1) | instid1(VALU_DEP_2)
	v_cndmask_b32_e32 v2, v2, v5, vcc_lo
	v_mul_hi_u32 v5, v1, s70
	v_xor_b32_e32 v2, v2, v6
	s_delay_alu instid0(VALU_DEP_2) | instskip(NEXT) | instid1(VALU_DEP_2)
	v_mul_lo_u32 v7, v5, s64
	v_sub_nc_u32_e32 v4, v2, v6
	s_delay_alu instid0(VALU_DEP_1) | instskip(SKIP_1) | instid1(VALU_DEP_4)
	v_sub_nc_u32_e32 v2, 0, v4
	v_mul_lo_u32 v8, v4, s8
	v_sub_nc_u32_e32 v1, v1, v7
	s_delay_alu instid0(VALU_DEP_3) | instskip(NEXT) | instid1(VALU_DEP_2)
	v_max_i32_e32 v2, v4, v2
	v_subrev_nc_u32_e32 v7, s64, v1
	v_cmp_le_u32_e64 s0, s64, v1
	s_delay_alu instid0(VALU_DEP_3) | instskip(NEXT) | instid1(VALU_DEP_1)
	v_mul_hi_u32 v6, v2, s68
	v_mul_lo_u32 v6, v6, s63
	s_delay_alu instid0(VALU_DEP_1) | instskip(NEXT) | instid1(VALU_DEP_1)
	v_sub_nc_u32_e32 v2, v2, v6
	v_subrev_nc_u32_e32 v6, s63, v2
	v_cmp_le_u32_e32 vcc_lo, s63, v2
	s_wait_alu 0xfffd
	s_delay_alu instid0(VALU_DEP_2)
	v_cndmask_b32_e32 v6, v2, v6, vcc_lo
	s_wait_alu 0xf1ff
	v_cndmask_b32_e64 v2, v1, v7, s0
	v_sub_nc_u32_e32 v1, v0, v8
	s_and_not1_b32 vcc_lo, exec_lo, s11
	v_cmp_le_u32_e64 s2, s63, v6
	s_delay_alu instid0(VALU_DEP_3)
	v_cmp_le_u32_e64 s1, s64, v2
	s_wait_alu 0xfffe
	s_cbranch_vccnz .LBB74_5
; %bb.4:                                ;   in Loop: Header=BB74_3 Depth=1
	v_ashrrev_i32_e32 v2, 31, v1
	s_mov_b32 s39, 0
.LBB74_5:                               ;   in Loop: Header=BB74_3 Depth=1
	v_add_nc_u32_e32 v7, 1, v5
	v_ashrrev_i32_e32 v4, 31, v4
	s_wait_alu 0xfffe
	s_and_not1_b32 vcc_lo, exec_lo, s39
	s_delay_alu instid0(VALU_DEP_2) | instskip(SKIP_1) | instid1(VALU_DEP_2)
	v_cndmask_b32_e64 v5, v5, v7, s0
	v_subrev_nc_u32_e32 v7, s63, v6
	v_add_nc_u32_e32 v8, 1, v5
	s_delay_alu instid0(VALU_DEP_2) | instskip(SKIP_1) | instid1(VALU_DEP_3)
	v_cndmask_b32_e64 v6, v6, v7, s2
	v_xor_b32_e32 v7, s69, v3
	v_cndmask_b32_e64 v3, v5, v8, s1
	s_delay_alu instid0(VALU_DEP_3) | instskip(NEXT) | instid1(VALU_DEP_2)
	v_xor_b32_e32 v5, v6, v4
	v_xor_b32_e32 v6, v3, v7
	s_delay_alu instid0(VALU_DEP_2) | instskip(SKIP_2) | instid1(VALU_DEP_4)
	v_sub_nc_u32_e32 v5, v5, v4
	v_mov_b32_e32 v3, 0
	v_mov_b32_e32 v4, 0
	v_sub_nc_u32_e32 v20, v6, v7
	s_wait_alu 0xfffe
	s_cbranch_vccnz .LBB74_19
; %bb.6:                                ;   in Loop: Header=BB74_3 Depth=1
	v_ashrrev_i32_e32 v2, 31, v1
	s_delay_alu instid0(VALU_DEP_2) | instskip(SKIP_4) | instid1(VALU_DEP_3)
	v_mul_lo_u32 v8, v20, s14
	v_mul_lo_u32 v9, v5, s15
	s_mov_b32 s1, 0
	s_mov_b32 s2, s19
	v_lshlrev_b64_e32 v[3:4], 2, v[1:2]
	v_subrev_nc_u32_e32 v8, s28, v8
	s_delay_alu instid0(VALU_DEP_3) | instskip(NEXT) | instid1(VALU_DEP_3)
	v_subrev_nc_u32_e32 v9, s29, v9
	v_add_co_u32 v3, vcc_lo, s48, v3
	s_wait_alu 0xfffd
	s_delay_alu instid0(VALU_DEP_4) | instskip(NEXT) | instid1(VALU_DEP_2)
	v_add_co_ci_u32_e64 v4, null, s49, v4, vcc_lo
	v_mul_lo_u32 v11, s31, v3
	v_mad_co_u64_u32 v[6:7], null, s30, v3, s[22:23]
	s_delay_alu instid0(VALU_DEP_3) | instskip(SKIP_2) | instid1(VALU_DEP_3)
	v_mul_lo_u32 v10, s30, v4
	v_mov_b32_e32 v3, 0
	v_mov_b32_e32 v4, 0
	v_add3_u32 v7, v11, v7, v10
	s_branch .LBB74_8
.LBB74_7:                               ;   in Loop: Header=BB74_8 Depth=2
	v_add_co_u32 v6, vcc_lo, v6, s50
	s_wait_alu 0xfffd
	v_add_co_ci_u32_e64 v7, null, s51, v7, vcc_lo
	s_add_co_i32 s1, s1, 1
	s_add_co_i32 s2, s2, s16
	s_wait_alu 0xfffe
	s_cmp_eq_u32 s1, s44
	s_cbranch_scc1 .LBB74_19
.LBB74_8:                               ;   Parent Loop BB74_3 Depth=1
                                        ; =>  This Loop Header: Depth=2
                                        ;       Child Loop BB74_11 Depth 3
                                        ;         Child Loop BB74_14 Depth 4
                                        ;           Child Loop BB74_17 Depth 5
	s_and_not1_b32 vcc_lo, exec_lo, s42
	s_wait_alu 0xfffe
	s_cbranch_vccnz .LBB74_7
; %bb.9:                                ;   in Loop: Header=BB74_8 Depth=2
	s_mul_i32 s0, s1, s16
	v_dual_mov_b32 v11, v7 :: v_dual_mov_b32 v10, v6
	s_wait_alu 0xfffe
	s_add_co_i32 s0, s0, s19
	v_mov_b32_e32 v21, v8
	s_wait_alu 0xfffe
	s_cmp_lt_i32 s0, 0
	s_mul_u64 s[56:57], s[40:41], s[2:3]
	s_cselect_b32 s45, -1, 0
	s_cmp_ge_i32 s0, s38
	s_mov_b32 s39, 0
	s_cselect_b32 s0, -1, 0
	s_wait_alu 0xfffe
	s_or_b32 s45, s45, s0
	s_branch .LBB74_11
.LBB74_10:                              ;   in Loop: Header=BB74_11 Depth=3
	v_add_co_u32 v10, vcc_lo, v10, s52
	v_add_nc_u32_e32 v21, s17, v21
	s_wait_alu 0xfffd
	v_add_co_ci_u32_e64 v11, null, s53, v11, vcc_lo
	s_add_co_i32 s39, s39, 1
	s_wait_alu 0xfffe
	s_cmp_eq_u32 s39, s46
	s_cbranch_scc1 .LBB74_7
.LBB74_11:                              ;   Parent Loop BB74_3 Depth=1
                                        ;     Parent Loop BB74_8 Depth=2
                                        ; =>    This Loop Header: Depth=3
                                        ;         Child Loop BB74_14 Depth 4
                                        ;           Child Loop BB74_17 Depth 5
	s_and_not1_b32 vcc_lo, exec_lo, s60
	s_wait_alu 0xfffe
	s_cbranch_vccnz .LBB74_10
; %bb.12:                               ;   in Loop: Header=BB74_11 Depth=3
	v_add_co_u32 v12, s0, s56, v21
	s_wait_alu 0xf1ff
	v_add_co_ci_u32_e64 v13, null, s57, 0, s0
	v_mad_co_u64_u32 v[14:15], null, s39, s17, v[8:9]
	s_delay_alu instid0(VALU_DEP_3) | instskip(NEXT) | instid1(VALU_DEP_3)
	v_mul_lo_u32 v16, s7, v12
	v_mul_lo_u32 v17, s6, v13
	v_mad_co_u64_u32 v[12:13], null, s6, v12, 0
	v_mov_b32_e32 v22, v9
	s_mov_b32 s47, 0
	v_cmp_gt_i32_e32 vcc_lo, 0, v14
	v_cmp_le_i32_e64 s0, s40, v14
	v_dual_mov_b32 v15, v11 :: v_dual_mov_b32 v14, v10
	v_add3_u32 v13, v13, v17, v16
	s_or_b32 s0, vcc_lo, s0
	s_wait_alu 0xfffe
	s_or_b32 s71, s45, s0
	s_branch .LBB74_14
.LBB74_13:                              ;   in Loop: Header=BB74_14 Depth=4
	v_add_co_u32 v14, vcc_lo, v14, s54
	v_add_nc_u32_e32 v22, s18, v22
	s_wait_alu 0xfffd
	v_add_co_ci_u32_e64 v15, null, s55, v15, vcc_lo
	s_add_co_i32 s47, s47, 1
	s_wait_alu 0xfffe
	s_cmp_eq_u32 s47, s34
	s_cbranch_scc1 .LBB74_10
.LBB74_14:                              ;   Parent Loop BB74_3 Depth=1
                                        ;     Parent Loop BB74_8 Depth=2
                                        ;       Parent Loop BB74_11 Depth=3
                                        ; =>      This Loop Header: Depth=4
                                        ;           Child Loop BB74_17 Depth 5
	s_and_not1_b32 vcc_lo, exec_lo, s61
	s_wait_alu 0xfffe
	s_cbranch_vccnz .LBB74_13
; %bb.15:                               ;   in Loop: Header=BB74_14 Depth=4
	v_add_co_u32 v16, vcc_lo, v12, v22
	s_wait_alu 0xfffd
	v_add_co_ci_u32_e64 v17, null, 0, v13, vcc_lo
	v_mad_co_u64_u32 v[18:19], null, s47, s18, v[9:10]
	s_mov_b32 s72, s9
	v_lshlrev_b64_e32 v[16:17], 2, v[16:17]
	v_cmp_le_i32_e64 s0, s6, v18
	s_delay_alu instid0(VALU_DEP_2) | instskip(SKIP_1) | instid1(VALU_DEP_3)
	v_add_co_u32 v16, vcc_lo, s20, v16
	s_wait_alu 0xfffd
	v_add_co_ci_u32_e64 v17, null, s21, v17, vcc_lo
	v_cmp_gt_i32_e32 vcc_lo, 0, v18
	s_delay_alu instid0(VALU_DEP_3) | instskip(NEXT) | instid1(VALU_DEP_3)
	v_mul_lo_u32 v23, s59, v16
	v_mul_lo_u32 v19, s58, v17
	v_mad_co_u64_u32 v[16:17], null, s58, v16, s[12:13]
	s_or_b32 s0, vcc_lo, s0
	s_wait_alu 0xfffe
	s_nor_b32 s0, s71, s0
	v_add3_u32 v17, v23, v17, v19
	v_dual_mov_b32 v19, v15 :: v_dual_mov_b32 v18, v14
	s_branch .LBB74_17
.LBB74_16:                              ;   in Loop: Header=BB74_17 Depth=5
	s_or_b32 exec_lo, exec_lo, s73
	v_add_co_u32 v16, vcc_lo, v16, 4
	s_wait_alu 0xfffd
	v_add_co_ci_u32_e64 v17, null, 0, v17, vcc_lo
	v_add_co_u32 v18, vcc_lo, v18, 4
	s_wait_alu 0xfffd
	v_add_co_ci_u32_e64 v19, null, 0, v19, vcc_lo
	s_add_co_i32 s72, s72, -1
	s_delay_alu instid0(SALU_CYCLE_1)
	s_cmp_eq_u32 s72, 0
	s_cbranch_scc1 .LBB74_13
.LBB74_17:                              ;   Parent Loop BB74_3 Depth=1
                                        ;     Parent Loop BB74_8 Depth=2
                                        ;       Parent Loop BB74_11 Depth=3
                                        ;         Parent Loop BB74_14 Depth=4
                                        ; =>        This Inner Loop Header: Depth=5
	s_wait_alu 0xfffe
	s_and_saveexec_b32 s73, s0
	s_cbranch_execz .LBB74_16
; %bb.18:                               ;   in Loop: Header=BB74_17 Depth=5
	global_load_b32 v23, v[16:17], off
	global_load_b32 v24, v[18:19], off
	s_wait_loadcnt 0x1
	v_and_b32_e32 v23, 0xffffe000, v23
	s_wait_loadcnt 0x0
	v_and_b32_e32 v25, 0xffffe000, v24
	s_delay_alu instid0(VALU_DEP_2) | instskip(NEXT) | instid1(VALU_DEP_2)
	v_cvt_f64_f32_e32 v[23:24], v23
	v_cvt_f64_f32_e32 v[25:26], v25
	s_delay_alu instid0(VALU_DEP_1)
	v_fma_f64 v[3:4], v[23:24], v[25:26], v[3:4]
	s_branch .LBB74_16
.LBB74_19:                              ;   in Loop: Header=BB74_3 Depth=1
	v_ashrrev_i32_e32 v6, 31, v5
	v_lshlrev_b64_e32 v[1:2], 2, v[1:2]
	s_delay_alu instid0(VALU_DEP_2) | instskip(NEXT) | instid1(VALU_DEP_1)
	v_mad_co_i64_i32 v[5:6], null, v20, s10, v[5:6]
	v_mul_lo_u32 v7, v6, s36
	s_delay_alu instid0(VALU_DEP_2) | instskip(SKIP_1) | instid1(VALU_DEP_1)
	v_mul_lo_u32 v8, v5, s37
	v_mad_co_u64_u32 v[5:6], null, v5, s36, 0
	v_add3_u32 v6, v6, v8, v7
	s_delay_alu instid0(VALU_DEP_1) | instskip(NEXT) | instid1(VALU_DEP_1)
	v_lshlrev_b64_e32 v[5:6], 2, v[5:6]
	v_add_co_u32 v5, vcc_lo, s4, v5
	s_wait_alu 0xfffd
	s_delay_alu instid0(VALU_DEP_2) | instskip(NEXT) | instid1(VALU_DEP_2)
	v_add_co_ci_u32_e64 v6, null, s5, v6, vcc_lo
	v_add_co_u32 v1, vcc_lo, v5, v1
	s_wait_alu 0xfffd
	s_delay_alu instid0(VALU_DEP_2)
	v_add_co_ci_u32_e64 v2, null, v6, v2, vcc_lo
	s_and_not1_b32 vcc_lo, exec_lo, s65
	s_wait_alu 0xfffe
	s_cbranch_vccnz .LBB74_2
; %bb.20:                               ;   in Loop: Header=BB74_3 Depth=1
	global_load_b32 v5, v[1:2], off
	s_wait_loadcnt 0x0
	v_cvt_f64_f32_e32 v[5:6], v5
	s_delay_alu instid0(VALU_DEP_1) | instskip(NEXT) | instid1(VALU_DEP_1)
	v_mul_f64_e32 v[5:6], s[26:27], v[5:6]
	v_fma_f64 v[3:4], s[24:25], v[3:4], v[5:6]
	s_branch .LBB74_2
.LBB74_21:
	s_endpgm
	.section	.rodata,"a",@progbits
	.p2align	6, 0x0
	.amdhsa_kernel naive_conv_ab_packed_fwd_ndhwc_float_double_float_1
		.amdhsa_group_segment_fixed_size 0
		.amdhsa_private_segment_fixed_size 0
		.amdhsa_kernarg_size 528
		.amdhsa_user_sgpr_count 2
		.amdhsa_user_sgpr_dispatch_ptr 0
		.amdhsa_user_sgpr_queue_ptr 0
		.amdhsa_user_sgpr_kernarg_segment_ptr 1
		.amdhsa_user_sgpr_dispatch_id 0
		.amdhsa_user_sgpr_private_segment_size 0
		.amdhsa_wavefront_size32 1
		.amdhsa_uses_dynamic_stack 0
		.amdhsa_enable_private_segment 0
		.amdhsa_system_sgpr_workgroup_id_x 1
		.amdhsa_system_sgpr_workgroup_id_y 0
		.amdhsa_system_sgpr_workgroup_id_z 0
		.amdhsa_system_sgpr_workgroup_info 0
		.amdhsa_system_vgpr_workitem_id 0
		.amdhsa_next_free_vgpr 27
		.amdhsa_next_free_sgpr 74
		.amdhsa_reserve_vcc 1
		.amdhsa_float_round_mode_32 0
		.amdhsa_float_round_mode_16_64 0
		.amdhsa_float_denorm_mode_32 3
		.amdhsa_float_denorm_mode_16_64 3
		.amdhsa_fp16_overflow 0
		.amdhsa_workgroup_processor_mode 1
		.amdhsa_memory_ordered 1
		.amdhsa_forward_progress 1
		.amdhsa_inst_pref_size 18
		.amdhsa_round_robin_scheduling 0
		.amdhsa_exception_fp_ieee_invalid_op 0
		.amdhsa_exception_fp_denorm_src 0
		.amdhsa_exception_fp_ieee_div_zero 0
		.amdhsa_exception_fp_ieee_overflow 0
		.amdhsa_exception_fp_ieee_underflow 0
		.amdhsa_exception_fp_ieee_inexact 0
		.amdhsa_exception_int_div_zero 0
	.end_amdhsa_kernel
	.text
.Lfunc_end74:
	.size	naive_conv_ab_packed_fwd_ndhwc_float_double_float_1, .Lfunc_end74-naive_conv_ab_packed_fwd_ndhwc_float_double_float_1
                                        ; -- End function
	.set naive_conv_ab_packed_fwd_ndhwc_float_double_float_1.num_vgpr, 27
	.set naive_conv_ab_packed_fwd_ndhwc_float_double_float_1.num_agpr, 0
	.set naive_conv_ab_packed_fwd_ndhwc_float_double_float_1.numbered_sgpr, 74
	.set naive_conv_ab_packed_fwd_ndhwc_float_double_float_1.num_named_barrier, 0
	.set naive_conv_ab_packed_fwd_ndhwc_float_double_float_1.private_seg_size, 0
	.set naive_conv_ab_packed_fwd_ndhwc_float_double_float_1.uses_vcc, 1
	.set naive_conv_ab_packed_fwd_ndhwc_float_double_float_1.uses_flat_scratch, 0
	.set naive_conv_ab_packed_fwd_ndhwc_float_double_float_1.has_dyn_sized_stack, 0
	.set naive_conv_ab_packed_fwd_ndhwc_float_double_float_1.has_recursion, 0
	.set naive_conv_ab_packed_fwd_ndhwc_float_double_float_1.has_indirect_call, 0
	.section	.AMDGPU.csdata,"",@progbits
; Kernel info:
; codeLenInByte = 2244
; TotalNumSgprs: 76
; NumVgprs: 27
; ScratchSize: 0
; MemoryBound: 0
; FloatMode: 240
; IeeeMode: 1
; LDSByteSize: 0 bytes/workgroup (compile time only)
; SGPRBlocks: 0
; VGPRBlocks: 3
; NumSGPRsForWavesPerEU: 76
; NumVGPRsForWavesPerEU: 27
; Occupancy: 16
; WaveLimiterHint : 1
; COMPUTE_PGM_RSRC2:SCRATCH_EN: 0
; COMPUTE_PGM_RSRC2:USER_SGPR: 2
; COMPUTE_PGM_RSRC2:TRAP_HANDLER: 0
; COMPUTE_PGM_RSRC2:TGID_X_EN: 1
; COMPUTE_PGM_RSRC2:TGID_Y_EN: 0
; COMPUTE_PGM_RSRC2:TGID_Z_EN: 0
; COMPUTE_PGM_RSRC2:TIDIG_COMP_CNT: 0
	.text
	.protected	naive_conv_ab_nonpacked_fwd_ndhwc_float_double_float_1 ; -- Begin function naive_conv_ab_nonpacked_fwd_ndhwc_float_double_float_1
	.globl	naive_conv_ab_nonpacked_fwd_ndhwc_float_double_float_1
	.p2align	8
	.type	naive_conv_ab_nonpacked_fwd_ndhwc_float_double_float_1,@function
naive_conv_ab_nonpacked_fwd_ndhwc_float_double_float_1: ; @naive_conv_ab_nonpacked_fwd_ndhwc_float_double_float_1
; %bb.0:
	s_load_b512 s[4:19], s[0:1], 0xb8
	s_mov_b32 s24, exec_lo
	s_wait_kmcnt 0x0
	s_abs_i32 s3, s10
	s_mul_i32 s34, s12, s8
	s_cvt_f32_u32 s2, s3
	s_delay_alu instid0(SALU_CYCLE_3) | instskip(NEXT) | instid1(TRANS32_DEP_1)
	v_rcp_iflag_f32_e32 v1, s2
	v_readfirstlane_b32 s2, v1
	s_mul_f32 s2, s2, 0x4f7ffffe
	s_wait_alu 0xfffe
	s_delay_alu instid0(SALU_CYCLE_2) | instskip(SKIP_2) | instid1(SALU_CYCLE_1)
	s_cvt_u32_f32 s20, s2
	s_sub_co_i32 s2, 0, s3
	s_wait_alu 0xfffe
	s_mul_i32 s2, s2, s20
	s_wait_alu 0xfffe
	s_mul_hi_u32 s21, s20, s2
	s_abs_i32 s2, ttmp9
	s_add_co_i32 s20, s20, s21
	s_wait_alu 0xfffe
	s_mul_hi_u32 s20, s2, s20
	s_delay_alu instid0(SALU_CYCLE_1) | instskip(SKIP_2) | instid1(SALU_CYCLE_1)
	s_mul_i32 s21, s20, s3
	s_add_co_i32 s22, s20, 1
	s_sub_co_i32 s21, s2, s21
	s_sub_co_i32 s23, s21, s3
	s_cmp_ge_u32 s21, s3
	s_cselect_b32 s20, s22, s20
	s_cselect_b32 s21, s23, s21
	s_add_co_i32 s22, s20, 1
	s_cmp_ge_u32 s21, s3
	s_mul_i32 s21, s10, s7
	s_cselect_b32 s22, s22, s20
	s_abs_i32 s20, s7
	s_abs_i32 s33, s21
	s_cvt_f32_u32 s3, s20
	s_cvt_f32_u32 s7, s33
	s_wait_alu 0xfffe
	s_delay_alu instid0(SALU_CYCLE_1) | instskip(NEXT) | instid1(SALU_CYCLE_1)
	v_rcp_iflag_f32_e32 v1, s3
	v_rcp_iflag_f32_e32 v2, s7
	s_mul_i32 s7, s34, s11
	s_mov_b32 s3, 0
	s_delay_alu instid0(TRANS32_DEP_2) | instskip(NEXT) | instid1(TRANS32_DEP_1)
	v_readfirstlane_b32 s23, v1
	v_readfirstlane_b32 s11, v2
	s_wait_alu 0xfffe
	v_cmpx_gt_i32_e64 s7, v0
	s_cbranch_execz .LBB75_21
; %bb.1:
	s_mul_f32 s23, s23, 0x4f7ffffe
	s_ashr_i32 s26, ttmp9, 31
	s_ashr_i32 s24, s10, 31
	s_mul_f32 s11, s11, 0x4f7ffffe
	s_cvt_u32_f32 s23, s23
	s_sub_co_i32 s25, 0, s20
	s_xor_b32 s24, s26, s24
	s_cvt_u32_f32 s11, s11
	s_xor_b32 s22, s22, s24
	s_mul_i32 s25, s25, s23
	s_sub_co_i32 s27, s22, s24
	s_mul_hi_u32 s24, s23, s25
	s_sub_co_i32 s28, 0, s33
	s_abs_i32 s22, s27
	s_add_co_i32 s24, s23, s24
	s_mov_b32 s23, s3
	s_mov_b32 s25, s3
	s_mul_i32 s28, s28, s11
	s_mul_u64 s[24:25], s[22:23], s[24:25]
	s_mul_hi_u32 s24, s11, s28
	s_ashr_i32 s23, s27, 31
	s_add_co_i32 s24, s11, s24
	s_mul_i32 s11, s25, s20
	s_mul_i32 s27, s27, s10
	s_sub_co_i32 s11, s22, s11
	s_ashr_i32 s21, s21, 31
	s_sub_co_i32 s10, ttmp9, s27
	s_sub_co_i32 s22, s11, s20
	s_cmp_ge_u32 s11, s20
	s_mov_b32 s25, s3
	s_cselect_b32 s11, s22, s11
	s_mul_u64 s[56:57], s[2:3], s[24:25]
	s_sub_co_i32 s22, s11, s20
	s_cmp_ge_u32 s11, s20
	s_load_b512 s[36:51], s[0:1], 0x68
	s_cselect_b32 s11, s22, s11
	s_clause 0x1
	s_load_b128 s[28:31], s[0:1], 0xf8
	s_load_b128 s[52:55], s[0:1], 0xa8
	s_xor_b32 s11, s11, s23
	s_xor_b32 s35, s26, s21
	s_sub_co_i32 s68, s11, s23
	s_mul_i32 s11, s57, s33
	s_load_b256 s[20:27], s[0:1], 0x0
	s_sub_co_i32 s2, s2, s11
	s_add_co_i32 s11, s57, 1
	s_wait_alu 0xfffe
	s_sub_co_i32 s56, s2, s33
	s_cmp_ge_u32 s2, s33
	s_cselect_b32 s11, s11, s57
	s_cselect_b32 s2, s56, s2
	s_add_co_i32 s56, s11, 1
	s_wait_alu 0xfffe
	s_cmp_ge_u32 s2, s33
	s_load_b32 s33, s[0:1], 0x108
	s_cselect_b32 s2, s56, s11
	s_ashr_i32 s69, s68, 31
	s_wait_alu 0xfffe
	s_xor_b32 s2, s2, s35
	s_ashr_i32 s11, s10, 31
	s_wait_alu 0xfffe
	s_sub_co_i32 s70, s2, s35
	s_wait_kmcnt 0x0
	s_mul_u64 s[54:55], s[54:55], s[68:69]
	s_ashr_i32 s71, s70, 31
	s_mul_u64 s[52:53], s[52:53], s[10:11]
	s_mul_u64 s[46:47], s[46:47], s[70:71]
	s_lshl_b64 s[54:55], s[54:55], 2
	s_lshl_b64 s[80:81], s[52:53], 2
	;; [unrolled: 1-line block ×3, first 2 shown]
	s_cmp_lt_i32 s30, 1
	v_cmp_neq_f64_e64 s2, s[24:25], 1.0
	v_cmp_neq_f64_e64 s35, s[26:27], 0
	s_mul_i32 s10, s10, s13
	s_cselect_b32 s72, -1, 0
	s_sub_co_i32 s19, s10, s19
	s_cmp_gt_i32 s31, 0
	s_clause 0x1
	s_load_b32 s13, s[0:1], 0x11c
	s_load_b64 s[10:11], s[0:1], 0x20
	s_cselect_b32 s73, -1, 0
	s_cmp_gt_i32 s33, 0
	s_cselect_b32 s74, -1, 0
	s_cmp_gt_i32 s9, 0
	s_cselect_b32 s75, -1, 0
	s_abs_i32 s76, s8
	s_abs_i32 s77, s12
	s_cvt_f32_u32 s52, s76
	s_cvt_f32_u32 s12, s77
	s_abs_i32 s78, s34
	s_ashr_i32 s84, s34, 31
	v_rcp_iflag_f32_e32 v1, s52
	v_rcp_iflag_f32_e32 v2, s12
	s_cvt_f32_u32 s12, s78
	s_lshl_b64 s[36:37], s[36:37], 2
	s_wait_kmcnt 0x0
	s_add_nc_u64 s[10:11], s[10:11], s[54:55]
	s_load_b512 s[52:67], s[0:1], 0x28
	s_add_nc_u64 s[0:1], s[10:11], s[80:81]
	s_and_b32 s80, s13, 0xffff
	s_delay_alu instid0(TRANS32_DEP_2)
	v_readfirstlane_b32 s79, v1
	v_rcp_iflag_f32_e32 v1, s12
	s_add_nc_u64 s[10:11], s[0:1], s[46:47]
	v_readfirstlane_b32 s1, v2
	s_sub_co_i32 s13, 0, s77
	s_mul_f32 s0, s79, 0x4f7ffffe
	s_ashr_i32 s81, s8, 31
	s_mul_f32 s1, s1, 0x4f7ffffe
	s_delay_alu instid0(SALU_CYCLE_1) | instskip(SKIP_1) | instid1(TRANS32_DEP_1)
	s_cvt_u32_f32 s0, s0
	s_or_b32 s79, s2, s35
	v_readfirstlane_b32 s12, v1
	s_sub_co_i32 s2, 0, s76
	s_cvt_u32_f32 s1, s1
	s_wait_alu 0xfffe
	s_mul_i32 s2, s2, s0
	s_lshl_b64 s[34:35], s[38:39], 2
	s_mul_f32 s12, s12, 0x4f7ffffe
	s_wait_alu 0xfffe
	s_mul_hi_u32 s2, s0, s2
	s_mul_i32 s13, s13, s1
	s_wait_alu 0xfffe
	s_add_co_i32 s82, s0, s2
	s_mul_hi_u32 s0, s1, s13
	s_cvt_u32_f32 s2, s12
	s_add_co_i32 s83, s1, s0
	s_sub_co_i32 s0, 0, s78
	s_wait_kmcnt 0x0
	s_mul_u64 s[38:39], s[62:63], s[68:69]
	s_wait_alu 0xfffe
	s_mul_i32 s12, s0, s2
	s_mul_u64 s[0:1], s[42:43], s[70:71]
	s_wait_alu 0xfffe
	s_mul_hi_u32 s12, s2, s12
	s_lshl_b64 s[0:1], s[0:1], 2
	s_wait_alu 0xfffe
	s_add_co_i32 s85, s2, s12
	s_add_nc_u64 s[12:13], s[22:23], s[0:1]
	s_mul_u64 s[0:1], s[54:55], s[70:71]
	s_lshl_b64 s[22:23], s[40:41], 2
	s_lshl_b64 s[0:1], s[0:1], 2
	;; [unrolled: 1-line block ×4, first 2 shown]
	s_add_nc_u64 s[0:1], s[0:1], s[40:41]
	s_lshl_b64 s[40:41], s[64:65], 2
	s_add_nc_u64 s[20:21], s[20:21], s[0:1]
	s_lshl_b64 s[42:43], s[60:61], 2
	s_lshl_b64 s[46:47], s[58:59], 2
	;; [unrolled: 1-line block ×4, first 2 shown]
	s_mov_b32 s58, 0
	s_branch .LBB75_3
.LBB75_2:                               ;   in Loop: Header=BB75_3 Depth=1
	s_delay_alu instid0(VALU_DEP_1) | instskip(SKIP_1) | instid1(VALU_DEP_1)
	v_cvt_f32_f64_e32 v1, v[1:2]
	v_add_nc_u32_e32 v0, s80, v0
	v_cmp_le_i32_e32 vcc_lo, s7, v0
	s_or_b32 s58, vcc_lo, s58
	global_store_b32 v[3:4], v1, off
	s_wait_alu 0xfffe
	s_and_not1_b32 exec_lo, exec_lo, s58
	s_cbranch_execz .LBB75_21
.LBB75_3:                               ; =>This Loop Header: Depth=1
                                        ;     Child Loop BB75_8 Depth 2
                                        ;       Child Loop BB75_11 Depth 3
                                        ;         Child Loop BB75_14 Depth 4
                                        ;           Child Loop BB75_17 Depth 5
	v_sub_nc_u32_e32 v1, 0, v0
	s_mov_b32 s56, -1
                                        ; implicit-def: $vgpr18
	s_delay_alu instid0(VALU_DEP_1) | instskip(NEXT) | instid1(VALU_DEP_1)
	v_max_i32_e32 v4, v0, v1
	v_mul_hi_u32 v1, v4, s82
	s_delay_alu instid0(VALU_DEP_1) | instskip(SKIP_1) | instid1(VALU_DEP_2)
	v_mul_lo_u32 v2, v1, s76
	v_add_nc_u32_e32 v3, 1, v1
	v_sub_nc_u32_e32 v2, v4, v2
	s_delay_alu instid0(VALU_DEP_1) | instskip(SKIP_2) | instid1(VALU_DEP_2)
	v_subrev_nc_u32_e32 v5, s76, v2
	v_cmp_le_u32_e32 vcc_lo, s76, v2
	s_wait_alu 0xfffd
	v_dual_cndmask_b32 v3, v1, v3 :: v_dual_cndmask_b32 v2, v2, v5
	v_ashrrev_i32_e32 v1, 31, v0
	s_delay_alu instid0(VALU_DEP_2) | instskip(NEXT) | instid1(VALU_DEP_3)
	v_add_nc_u32_e32 v5, 1, v3
	v_cmp_le_u32_e32 vcc_lo, s76, v2
	s_delay_alu instid0(VALU_DEP_3) | instskip(SKIP_1) | instid1(VALU_DEP_3)
	v_xor_b32_e32 v6, s81, v1
	s_wait_alu 0xfffd
	v_cndmask_b32_e32 v2, v3, v5, vcc_lo
	s_delay_alu instid0(VALU_DEP_1) | instskip(NEXT) | instid1(VALU_DEP_1)
	v_xor_b32_e32 v2, v2, v6
	v_sub_nc_u32_e32 v2, v2, v6
	s_delay_alu instid0(VALU_DEP_1) | instskip(SKIP_1) | instid1(VALU_DEP_2)
	v_sub_nc_u32_e32 v3, 0, v2
	v_mul_lo_u32 v8, v2, s8
	v_max_i32_e32 v5, v2, v3
	v_mul_hi_u32 v3, v4, s85
	s_delay_alu instid0(VALU_DEP_3) | instskip(NEXT) | instid1(VALU_DEP_3)
	v_sub_nc_u32_e32 v17, v0, v8
	v_mul_hi_u32 v6, v5, s83
	s_delay_alu instid0(VALU_DEP_3) | instskip(NEXT) | instid1(VALU_DEP_2)
	v_mul_lo_u32 v7, v3, s78
	v_mul_lo_u32 v6, v6, s77
	s_delay_alu instid0(VALU_DEP_1) | instskip(NEXT) | instid1(VALU_DEP_3)
	v_sub_nc_u32_e32 v5, v5, v6
	v_sub_nc_u32_e32 v6, v4, v7
	s_delay_alu instid0(VALU_DEP_2) | instskip(NEXT) | instid1(VALU_DEP_2)
	v_subrev_nc_u32_e32 v4, s77, v5
	v_subrev_nc_u32_e32 v7, s78, v6
	v_cmp_le_u32_e32 vcc_lo, s77, v5
	v_cmp_le_u32_e64 s0, s78, v6
	s_wait_alu 0xfffd
	v_cndmask_b32_e32 v4, v5, v4, vcc_lo
	s_wait_alu 0xf1ff
	s_delay_alu instid0(VALU_DEP_2) | instskip(SKIP_1) | instid1(VALU_DEP_2)
	v_cndmask_b32_e64 v5, v6, v7, s0
	s_and_not1_b32 vcc_lo, exec_lo, s72
	v_cmp_le_u32_e64 s2, s77, v4
	s_delay_alu instid0(VALU_DEP_2)
	v_cmp_le_u32_e64 s1, s78, v5
	s_wait_alu 0xfffe
	s_cbranch_vccnz .LBB75_5
; %bb.4:                                ;   in Loop: Header=BB75_3 Depth=1
	v_ashrrev_i32_e32 v18, 31, v17
	s_mov_b32 s56, 0
.LBB75_5:                               ;   in Loop: Header=BB75_3 Depth=1
	v_add_nc_u32_e32 v5, 1, v3
	v_ashrrev_i32_e32 v2, 31, v2
	s_wait_alu 0xfffe
	s_and_not1_b32 vcc_lo, exec_lo, s56
	s_delay_alu instid0(VALU_DEP_2) | instskip(SKIP_1) | instid1(VALU_DEP_2)
	v_cndmask_b32_e64 v3, v3, v5, s0
	v_subrev_nc_u32_e32 v5, s77, v4
	v_add_nc_u32_e32 v6, 1, v3
	s_delay_alu instid0(VALU_DEP_2) | instskip(SKIP_1) | instid1(VALU_DEP_3)
	v_cndmask_b32_e64 v4, v4, v5, s2
	v_xor_b32_e32 v5, s84, v1
	v_cndmask_b32_e64 v1, v3, v6, s1
	s_delay_alu instid0(VALU_DEP_3) | instskip(NEXT) | instid1(VALU_DEP_2)
	v_xor_b32_e32 v3, v4, v2
	v_xor_b32_e32 v4, v1, v5
	s_delay_alu instid0(VALU_DEP_2) | instskip(SKIP_2) | instid1(VALU_DEP_4)
	v_sub_nc_u32_e32 v19, v3, v2
	v_mov_b32_e32 v1, 0
	v_mov_b32_e32 v2, 0
	v_sub_nc_u32_e32 v20, v4, v5
	s_wait_alu 0xfffe
	s_cbranch_vccnz .LBB75_19
; %bb.6:                                ;   in Loop: Header=BB75_3 Depth=1
	v_ashrrev_i32_e32 v18, 31, v17
	s_delay_alu instid0(VALU_DEP_2)
	v_mul_lo_u32 v1, v20, s14
	v_mul_lo_u32 v2, v19, s15
	v_mad_co_u64_u32 v[3:4], null, s22, v17, s[12:13]
	v_mul_lo_u32 v7, s23, v17
	v_mul_lo_u32 v8, s22, v18
	s_mov_b32 s1, 0
	s_mov_b32 s2, s19
	v_subrev_nc_u32_e32 v5, s28, v1
	v_subrev_nc_u32_e32 v6, s29, v2
	v_mov_b32_e32 v1, 0
	v_mov_b32_e32 v2, 0
	v_add3_u32 v4, v7, v4, v8
	s_branch .LBB75_8
.LBB75_7:                               ;   in Loop: Header=BB75_8 Depth=2
	v_add_co_u32 v3, vcc_lo, v3, s34
	s_wait_alu 0xfffd
	v_add_co_ci_u32_e64 v4, null, s35, v4, vcc_lo
	s_add_co_i32 s1, s1, 1
	s_add_co_i32 s2, s2, s16
	s_wait_alu 0xfffe
	s_cmp_eq_u32 s1, s30
	s_cbranch_scc1 .LBB75_19
.LBB75_8:                               ;   Parent Loop BB75_3 Depth=1
                                        ; =>  This Loop Header: Depth=2
                                        ;       Child Loop BB75_11 Depth 3
                                        ;         Child Loop BB75_14 Depth 4
                                        ;           Child Loop BB75_17 Depth 5
	s_and_not1_b32 vcc_lo, exec_lo, s73
	s_wait_alu 0xfffe
	s_cbranch_vccnz .LBB75_7
; %bb.9:                                ;   in Loop: Header=BB75_8 Depth=2
	s_mul_i32 s0, s1, s16
	v_dual_mov_b32 v21, v5 :: v_dual_mov_b32 v8, v4
	s_wait_alu 0xfffe
	s_add_co_i32 s0, s0, s19
	v_mov_b32_e32 v7, v3
	s_wait_alu 0xfffe
	s_cmp_lt_i32 s0, 0
	s_mul_u64 s[56:57], s[42:43], s[2:3]
	s_cselect_b32 s60, -1, 0
	s_cmp_ge_i32 s0, s4
	s_mov_b32 s59, 0
	s_cselect_b32 s0, -1, 0
	s_wait_alu 0xfffe
	s_add_nc_u64 s[56:57], s[20:21], s[56:57]
	s_or_b32 s60, s60, s0
	s_branch .LBB75_11
.LBB75_10:                              ;   in Loop: Header=BB75_11 Depth=3
	v_add_co_u32 v7, vcc_lo, v7, s36
	s_wait_alu 0xfffd
	v_add_co_ci_u32_e64 v8, null, s37, v8, vcc_lo
	v_add_nc_u32_e32 v21, s17, v21
	s_add_co_i32 s59, s59, 1
	s_wait_alu 0xfffe
	s_cmp_eq_u32 s59, s31
	s_cbranch_scc1 .LBB75_7
.LBB75_11:                              ;   Parent Loop BB75_3 Depth=1
                                        ;     Parent Loop BB75_8 Depth=2
                                        ; =>    This Loop Header: Depth=3
                                        ;         Child Loop BB75_14 Depth 4
                                        ;           Child Loop BB75_17 Depth 5
	s_and_not1_b32 vcc_lo, exec_lo, s74
	s_wait_alu 0xfffe
	s_cbranch_vccnz .LBB75_10
; %bb.12:                               ;   in Loop: Header=BB75_11 Depth=3
	v_mad_co_u64_u32 v[9:10], null, s46, v21, s[56:57]
	v_mad_co_u64_u32 v[11:12], null, s59, s17, v[5:6]
	v_mov_b32_e32 v22, v6
	s_mov_b32 s61, 0
	s_delay_alu instid0(VALU_DEP_2)
	v_mad_co_u64_u32 v[12:13], null, s47, v21, v[10:11]
	v_cmp_gt_i32_e32 vcc_lo, 0, v11
	v_cmp_le_i32_e64 s0, s5, v11
	s_or_b32 s0, vcc_lo, s0
	v_mov_b32_e32 v10, v12
	v_dual_mov_b32 v12, v8 :: v_dual_mov_b32 v11, v7
	s_wait_alu 0xfffe
	s_or_b32 s62, s60, s0
	s_branch .LBB75_14
.LBB75_13:                              ;   in Loop: Header=BB75_14 Depth=4
	v_add_co_u32 v11, vcc_lo, v11, s38
	s_wait_alu 0xfffd
	v_add_co_ci_u32_e64 v12, null, s39, v12, vcc_lo
	v_add_nc_u32_e32 v22, s18, v22
	s_add_co_i32 s61, s61, 1
	s_wait_alu 0xfffe
	s_cmp_eq_u32 s61, s33
	s_cbranch_scc1 .LBB75_10
.LBB75_14:                              ;   Parent Loop BB75_3 Depth=1
                                        ;     Parent Loop BB75_8 Depth=2
                                        ;       Parent Loop BB75_11 Depth=3
                                        ; =>      This Loop Header: Depth=4
                                        ;           Child Loop BB75_17 Depth 5
	s_and_not1_b32 vcc_lo, exec_lo, s75
	s_wait_alu 0xfffe
	s_cbranch_vccnz .LBB75_13
; %bb.15:                               ;   in Loop: Header=BB75_14 Depth=4
	v_mad_co_u64_u32 v[13:14], null, s54, v22, v[9:10]
	v_mad_co_u64_u32 v[15:16], null, s61, s18, v[6:7]
	s_mov_b32 s63, s9
	v_mad_co_u64_u32 v[23:24], null, s55, v22, v[14:15]
	v_cmp_gt_i32_e32 vcc_lo, 0, v15
	v_cmp_le_i32_e64 s0, s6, v15
	v_dual_mov_b32 v16, v12 :: v_dual_mov_b32 v15, v11
	s_delay_alu instid0(VALU_DEP_4)
	v_mov_b32_e32 v14, v23
	s_or_b32 s0, vcc_lo, s0
	s_wait_alu 0xfffe
	s_nor_b32 s0, s62, s0
	s_branch .LBB75_17
.LBB75_16:                              ;   in Loop: Header=BB75_17 Depth=5
	s_or_b32 exec_lo, exec_lo, s64
	v_add_co_u32 v15, vcc_lo, v15, s40
	s_wait_alu 0xfffd
	v_add_co_ci_u32_e64 v16, null, s41, v16, vcc_lo
	v_add_co_u32 v13, vcc_lo, v13, s52
	s_wait_alu 0xfffd
	v_add_co_ci_u32_e64 v14, null, s53, v14, vcc_lo
	s_add_co_i32 s63, s63, -1
	s_delay_alu instid0(SALU_CYCLE_1)
	s_cmp_eq_u32 s63, 0
	s_cbranch_scc1 .LBB75_13
.LBB75_17:                              ;   Parent Loop BB75_3 Depth=1
                                        ;     Parent Loop BB75_8 Depth=2
                                        ;       Parent Loop BB75_11 Depth=3
                                        ;         Parent Loop BB75_14 Depth=4
                                        ; =>        This Inner Loop Header: Depth=5
	s_wait_alu 0xfffe
	s_and_saveexec_b32 s64, s0
	s_cbranch_execz .LBB75_16
; %bb.18:                               ;   in Loop: Header=BB75_17 Depth=5
	global_load_b32 v23, v[13:14], off
	global_load_b32 v24, v[15:16], off
	s_wait_loadcnt 0x1
	v_and_b32_e32 v23, 0xffffe000, v23
	s_wait_loadcnt 0x0
	v_and_b32_e32 v25, 0xffffe000, v24
	s_delay_alu instid0(VALU_DEP_2) | instskip(NEXT) | instid1(VALU_DEP_2)
	v_cvt_f64_f32_e32 v[23:24], v23
	v_cvt_f64_f32_e32 v[25:26], v25
	s_delay_alu instid0(VALU_DEP_1)
	v_fma_f64 v[1:2], v[23:24], v[25:26], v[1:2]
	s_branch .LBB75_16
.LBB75_19:                              ;   in Loop: Header=BB75_3 Depth=1
	s_delay_alu instid0(VALU_DEP_1) | instskip(SKIP_3) | instid1(VALU_DEP_4)
	v_ashrrev_i32_e32 v5, 31, v20
	v_mul_lo_u32 v7, s51, v20
	v_mad_co_u64_u32 v[3:4], null, s50, v20, 0
	v_ashrrev_i32_e32 v9, 31, v19
	v_mul_lo_u32 v8, s50, v5
	v_mul_lo_u32 v10, s49, v19
	v_mad_co_u64_u32 v[5:6], null, s48, v19, 0
	s_delay_alu instid0(VALU_DEP_4)
	v_mul_lo_u32 v9, s48, v9
	v_mul_lo_u32 v11, v18, s44
	;; [unrolled: 1-line block ×3, first 2 shown]
	v_add3_u32 v4, v4, v8, v7
	v_mad_co_u64_u32 v[7:8], null, v17, s44, 0
	v_add3_u32 v6, v6, v9, v10
	s_delay_alu instid0(VALU_DEP_3) | instskip(NEXT) | instid1(VALU_DEP_2)
	v_lshlrev_b64_e32 v[3:4], 2, v[3:4]
	v_lshlrev_b64_e32 v[5:6], 2, v[5:6]
	s_delay_alu instid0(VALU_DEP_4) | instskip(NEXT) | instid1(VALU_DEP_3)
	v_add3_u32 v8, v8, v12, v11
	v_add_co_u32 v9, vcc_lo, s10, v3
	s_wait_alu 0xfffd
	s_delay_alu instid0(VALU_DEP_4) | instskip(NEXT) | instid1(VALU_DEP_3)
	v_add_co_ci_u32_e64 v10, null, s11, v4, vcc_lo
	v_lshlrev_b64_e32 v[3:4], 2, v[7:8]
	s_delay_alu instid0(VALU_DEP_3) | instskip(SKIP_1) | instid1(VALU_DEP_3)
	v_add_co_u32 v5, vcc_lo, v9, v5
	s_wait_alu 0xfffd
	v_add_co_ci_u32_e64 v6, null, v10, v6, vcc_lo
	s_delay_alu instid0(VALU_DEP_2) | instskip(SKIP_1) | instid1(VALU_DEP_2)
	v_add_co_u32 v3, vcc_lo, v5, v3
	s_wait_alu 0xfffd
	v_add_co_ci_u32_e64 v4, null, v6, v4, vcc_lo
	s_and_not1_b32 vcc_lo, exec_lo, s79
	s_wait_alu 0xfffe
	s_cbranch_vccnz .LBB75_2
; %bb.20:                               ;   in Loop: Header=BB75_3 Depth=1
	global_load_b32 v5, v[3:4], off
	s_wait_loadcnt 0x0
	v_cvt_f64_f32_e32 v[5:6], v5
	s_delay_alu instid0(VALU_DEP_1) | instskip(NEXT) | instid1(VALU_DEP_1)
	v_mul_f64_e32 v[5:6], s[26:27], v[5:6]
	v_fma_f64 v[1:2], s[24:25], v[1:2], v[5:6]
	s_branch .LBB75_2
.LBB75_21:
	s_endpgm
	.section	.rodata,"a",@progbits
	.p2align	6, 0x0
	.amdhsa_kernel naive_conv_ab_nonpacked_fwd_ndhwc_float_double_float_1
		.amdhsa_group_segment_fixed_size 0
		.amdhsa_private_segment_fixed_size 0
		.amdhsa_kernarg_size 528
		.amdhsa_user_sgpr_count 2
		.amdhsa_user_sgpr_dispatch_ptr 0
		.amdhsa_user_sgpr_queue_ptr 0
		.amdhsa_user_sgpr_kernarg_segment_ptr 1
		.amdhsa_user_sgpr_dispatch_id 0
		.amdhsa_user_sgpr_private_segment_size 0
		.amdhsa_wavefront_size32 1
		.amdhsa_uses_dynamic_stack 0
		.amdhsa_enable_private_segment 0
		.amdhsa_system_sgpr_workgroup_id_x 1
		.amdhsa_system_sgpr_workgroup_id_y 0
		.amdhsa_system_sgpr_workgroup_id_z 0
		.amdhsa_system_sgpr_workgroup_info 0
		.amdhsa_system_vgpr_workitem_id 0
		.amdhsa_next_free_vgpr 27
		.amdhsa_next_free_sgpr 86
		.amdhsa_reserve_vcc 1
		.amdhsa_float_round_mode_32 0
		.amdhsa_float_round_mode_16_64 0
		.amdhsa_float_denorm_mode_32 3
		.amdhsa_float_denorm_mode_16_64 3
		.amdhsa_fp16_overflow 0
		.amdhsa_workgroup_processor_mode 1
		.amdhsa_memory_ordered 1
		.amdhsa_forward_progress 1
		.amdhsa_inst_pref_size 17
		.amdhsa_round_robin_scheduling 0
		.amdhsa_exception_fp_ieee_invalid_op 0
		.amdhsa_exception_fp_denorm_src 0
		.amdhsa_exception_fp_ieee_div_zero 0
		.amdhsa_exception_fp_ieee_overflow 0
		.amdhsa_exception_fp_ieee_underflow 0
		.amdhsa_exception_fp_ieee_inexact 0
		.amdhsa_exception_int_div_zero 0
	.end_amdhsa_kernel
	.text
.Lfunc_end75:
	.size	naive_conv_ab_nonpacked_fwd_ndhwc_float_double_float_1, .Lfunc_end75-naive_conv_ab_nonpacked_fwd_ndhwc_float_double_float_1
                                        ; -- End function
	.set naive_conv_ab_nonpacked_fwd_ndhwc_float_double_float_1.num_vgpr, 27
	.set naive_conv_ab_nonpacked_fwd_ndhwc_float_double_float_1.num_agpr, 0
	.set naive_conv_ab_nonpacked_fwd_ndhwc_float_double_float_1.numbered_sgpr, 86
	.set naive_conv_ab_nonpacked_fwd_ndhwc_float_double_float_1.num_named_barrier, 0
	.set naive_conv_ab_nonpacked_fwd_ndhwc_float_double_float_1.private_seg_size, 0
	.set naive_conv_ab_nonpacked_fwd_ndhwc_float_double_float_1.uses_vcc, 1
	.set naive_conv_ab_nonpacked_fwd_ndhwc_float_double_float_1.uses_flat_scratch, 0
	.set naive_conv_ab_nonpacked_fwd_ndhwc_float_double_float_1.has_dyn_sized_stack, 0
	.set naive_conv_ab_nonpacked_fwd_ndhwc_float_double_float_1.has_recursion, 0
	.set naive_conv_ab_nonpacked_fwd_ndhwc_float_double_float_1.has_indirect_call, 0
	.section	.AMDGPU.csdata,"",@progbits
; Kernel info:
; codeLenInByte = 2172
; TotalNumSgprs: 88
; NumVgprs: 27
; ScratchSize: 0
; MemoryBound: 0
; FloatMode: 240
; IeeeMode: 1
; LDSByteSize: 0 bytes/workgroup (compile time only)
; SGPRBlocks: 0
; VGPRBlocks: 3
; NumSGPRsForWavesPerEU: 88
; NumVGPRsForWavesPerEU: 27
; Occupancy: 16
; WaveLimiterHint : 1
; COMPUTE_PGM_RSRC2:SCRATCH_EN: 0
; COMPUTE_PGM_RSRC2:USER_SGPR: 2
; COMPUTE_PGM_RSRC2:TRAP_HANDLER: 0
; COMPUTE_PGM_RSRC2:TGID_X_EN: 1
; COMPUTE_PGM_RSRC2:TGID_Y_EN: 0
; COMPUTE_PGM_RSRC2:TGID_Z_EN: 0
; COMPUTE_PGM_RSRC2:TIDIG_COMP_CNT: 0
	.text
	.protected	naive_conv_ab_packed_fwd_ndhwc_half_double_half_0 ; -- Begin function naive_conv_ab_packed_fwd_ndhwc_half_double_half_0
	.globl	naive_conv_ab_packed_fwd_ndhwc_half_double_half_0
	.p2align	8
	.type	naive_conv_ab_packed_fwd_ndhwc_half_double_half_0,@function
naive_conv_ab_packed_fwd_ndhwc_half_double_half_0: ; @naive_conv_ab_packed_fwd_ndhwc_half_double_half_0
; %bb.0:
	s_load_b512 s[4:19], s[0:1], 0xb8
	s_mov_b32 s25, exec_lo
	s_wait_kmcnt 0x0
	s_abs_i32 s3, s10
	s_mul_i32 s52, s12, s8
	s_cvt_f32_u32 s2, s3
	s_mul_i32 s33, s52, s11
	s_delay_alu instid0(SALU_CYCLE_2) | instskip(NEXT) | instid1(TRANS32_DEP_1)
	v_rcp_iflag_f32_e32 v1, s2
	v_readfirstlane_b32 s2, v1
	s_mul_f32 s2, s2, 0x4f7ffffe
	s_wait_alu 0xfffe
	s_delay_alu instid0(SALU_CYCLE_2) | instskip(SKIP_2) | instid1(SALU_CYCLE_1)
	s_cvt_u32_f32 s20, s2
	s_sub_co_i32 s2, 0, s3
	s_wait_alu 0xfffe
	s_mul_i32 s2, s2, s20
	s_wait_alu 0xfffe
	s_mul_hi_u32 s21, s20, s2
	s_abs_i32 s2, ttmp9
	s_add_co_i32 s20, s20, s21
	s_wait_alu 0xfffe
	s_mul_hi_u32 s20, s2, s20
	s_delay_alu instid0(SALU_CYCLE_1) | instskip(SKIP_2) | instid1(SALU_CYCLE_1)
	s_mul_i32 s21, s20, s3
	s_add_co_i32 s22, s20, 1
	s_sub_co_i32 s21, s2, s21
	s_sub_co_i32 s23, s21, s3
	s_cmp_ge_u32 s21, s3
	s_cselect_b32 s20, s22, s20
	s_cselect_b32 s21, s23, s21
	s_add_co_i32 s22, s20, 1
	s_cmp_ge_u32 s21, s3
	s_mul_i32 s21, s10, s7
	s_cselect_b32 s22, s22, s20
	s_abs_i32 s20, s7
	s_abs_i32 s7, s21
	s_cvt_f32_u32 s3, s20
	s_cvt_f32_u32 s23, s7
	s_wait_alu 0xfffe
	s_delay_alu instid0(SALU_CYCLE_1) | instskip(NEXT) | instid1(SALU_CYCLE_1)
	v_rcp_iflag_f32_e32 v1, s3
	v_rcp_iflag_f32_e32 v2, s23
	s_mov_b32 s3, 0
	s_delay_alu instid0(TRANS32_DEP_2) | instskip(NEXT) | instid1(TRANS32_DEP_1)
	v_readfirstlane_b32 s24, v1
	v_readfirstlane_b32 s23, v2
	v_cmpx_gt_i32_e64 s33, v0
	s_cbranch_execz .LBB76_23
; %bb.1:
	s_mul_f32 s24, s24, 0x4f7ffffe
	s_ashr_i32 s26, ttmp9, 31
	s_ashr_i32 s45, s10, 31
	s_sub_co_i32 s25, 0, s20
	s_cvt_u32_f32 s24, s24
	s_xor_b32 s27, s26, s45
	s_mul_f32 s28, s23, 0x4f7ffffe
	s_xor_b32 s22, s22, s27
	s_mul_i32 s25, s25, s24
	s_wait_alu 0xfffe
	s_sub_co_i32 s27, s22, s27
	s_mul_hi_u32 s23, s24, s25
	s_abs_i32 s22, s27
	s_wait_alu 0xfffe
	s_add_co_i32 s24, s24, s23
	s_mov_b32 s23, s3
	s_cvt_u32_f32 s28, s28
	s_mov_b32 s25, s3
	s_sub_co_i32 s29, 0, s7
	s_wait_alu 0xfffe
	s_mul_u64 s[24:25], s[22:23], s[24:25]
	s_mul_i32 s29, s29, s28
	s_mul_i32 s25, s25, s20
	s_ashr_i32 s23, s27, 31
	s_mul_hi_u32 s24, s28, s29
	s_mul_i32 s27, s27, s10
	s_sub_co_i32 s22, s22, s25
	s_ashr_i32 s21, s21, 31
	s_add_co_i32 s24, s28, s24
	s_sub_co_i32 s46, ttmp9, s27
	s_wait_alu 0xfffe
	s_sub_co_i32 s27, s22, s20
	s_cmp_ge_u32 s22, s20
	s_mov_b32 s25, s3
	s_cselect_b32 s22, s27, s22
	s_mul_u64 s[28:29], s[2:3], s[24:25]
	s_wait_alu 0xfffe
	s_sub_co_i32 s24, s22, s20
	s_cmp_ge_u32 s22, s20
	s_load_b64 s[34:35], s[0:1], 0x108
	s_cselect_b32 s20, s24, s22
	s_xor_b32 s37, s26, s21
	s_xor_b32 s20, s20, s23
	s_add_co_i32 s28, s29, 1
	s_sub_co_i32 s50, s20, s23
	s_mul_i32 s20, s29, s7
	s_mov_b32 s44, s10
	s_sub_co_i32 s2, s2, s20
	s_load_b256 s[20:27], s[0:1], 0x0
	s_sub_co_i32 s30, s2, s7
	s_cmp_ge_u32 s2, s7
	s_mov_b32 s60, s11
	s_cselect_b32 s36, s28, s29
	s_cselect_b32 s2, s30, s2
	s_load_b128 s[28:31], s[0:1], 0xf8
	s_add_co_i32 s38, s36, 1
	s_cmp_ge_u32 s2, s7
	s_mov_b32 s10, s12
	s_cselect_b32 s2, s38, s36
	s_wait_kmcnt 0x0
	s_mul_i32 s36, s35, s8
	s_wait_alu 0xfffe
	s_xor_b32 s2, s2, s37
	s_ashr_i32 s51, s50, 31
	s_ashr_i32 s61, s11, 31
	;; [unrolled: 1-line block ×3, first 2 shown]
	s_wait_alu 0xfffe
	s_sub_co_i32 s56, s2, s37
	s_mul_u64 s[62:63], s[50:51], s[44:45]
	s_mul_u64 s[60:61], s[10:11], s[60:61]
	s_ashr_i32 s47, s46, 31
	s_ashr_i32 s37, s36, 31
	;; [unrolled: 1-line block ×4, first 2 shown]
	s_mov_b32 s42, s8
	s_add_nc_u64 s[62:63], s[62:63], s[46:47]
	s_mul_u64 s[60:61], s[60:61], s[36:37]
	s_mul_i32 s58, s35, s9
	s_mul_u64 s[48:49], s[56:57], s[42:43]
	s_mul_u64 s[60:61], s[60:61], s[62:63]
	s_ashr_i32 s39, s4, 31
	s_ashr_i32 s41, s5, 31
	;; [unrolled: 1-line block ×8, first 2 shown]
	s_lshl_b64 s[66:67], s[60:61], 1
	s_lshl_b64 s[48:49], s[48:49], 1
	s_cmp_lt_i32 s30, 1
	s_mul_i32 s2, s46, s13
	s_cselect_b32 s11, -1, 0
	s_wait_alu 0xfffe
	s_sub_co_i32 s19, s2, s19
	v_cmp_neq_f64_e64 s2, s[24:25], 1.0
	v_cmp_neq_f64_e64 s13, s[26:27], 0
	s_cmp_gt_i32 s31, 0
	s_load_b32 s53, s[0:1], 0x11c
	s_cselect_b32 s42, -1, 0
	s_cmp_gt_i32 s34, 0
	s_load_b64 s[0:1], s[0:1], 0x20
	s_cselect_b32 s60, -1, 0
	s_cmp_gt_i32 s9, 0
	s_mov_b32 s40, s5
	s_cselect_b32 s61, -1, 0
	s_abs_i32 s62, s8
	s_abs_i32 s63, s12
	s_cvt_f32_u32 s38, s62
	s_abs_i32 s64, s52
	s_mov_b32 s54, s9
	s_cvt_f32_u32 s44, s64
	v_rcp_iflag_f32_e32 v1, s38
	s_mov_b32 s38, s4
	s_cvt_f32_u32 s4, s63
	v_rcp_iflag_f32_e32 v2, s44
	s_mov_b32 s44, s30
	s_mov_b32 s46, s31
	s_ashr_i32 s69, s52, 31
	v_mov_b32_e32 v20, 0x7e00
	s_wait_kmcnt 0x0
	s_add_nc_u64 s[0:1], s[0:1], s[66:67]
	v_readfirstlane_b32 s12, v1
	v_rcp_iflag_f32_e32 v1, s4
	s_add_nc_u64 s[4:5], s[0:1], s[48:49]
	s_and_b32 s66, s53, 0xffff
	s_mul_f32 s12, s12, 0x4f7ffffe
	s_delay_alu instid0(SALU_CYCLE_3) | instskip(SKIP_1) | instid1(TRANS32_DEP_1)
	s_cvt_u32_f32 s0, s12
	v_readfirstlane_b32 s12, v2
	v_readfirstlane_b32 s1, v1
	s_or_b32 s65, s2, s13
	s_sub_co_i32 s2, 0, s62
	s_wait_alu 0xfffe
	s_mul_i32 s2, s2, s0
	s_mul_f32 s1, s1, 0x4f7ffffe
	s_mul_f32 s12, s12, 0x4f7ffffe
	s_wait_alu 0xfffe
	s_mul_hi_u32 s2, s0, s2
	s_cvt_u32_f32 s1, s1
	s_wait_alu 0xfffe
	s_add_co_i32 s67, s0, s2
	s_sub_co_i32 s0, 0, s63
	s_cvt_u32_f32 s2, s12
	s_mul_i32 s0, s0, s1
	s_sub_co_i32 s12, 0, s64
	s_mul_hi_u32 s0, s1, s0
	s_wait_alu 0xfffe
	s_mul_i32 s12, s12, s2
	s_add_co_i32 s68, s1, s0
	s_mul_hi_u32 s30, s2, s12
	s_mul_u64 s[0:1], s[54:55], s[56:57]
	s_mul_u64 s[12:13], s[6:7], s[40:41]
	s_lshl_b64 s[0:1], s[0:1], 1
	s_mul_u64 s[52:53], s[12:13], s[38:39]
	s_add_co_i32 s70, s2, s30
	s_mul_u64 s[30:31], s[34:35], s[46:47]
	s_add_nc_u64 s[12:13], s[20:21], s[0:1]
	s_mul_u64 s[0:1], s[52:53], s[50:51]
	s_mul_u64 s[50:51], s[30:31], s[54:55]
	s_lshl_b64 s[20:21], s[0:1], 1
	s_mul_u64 s[0:1], s[34:35], s[54:55]
	s_mul_u64 s[30:31], s[50:51], s[44:45]
	s_lshl_b64 s[50:51], s[50:51], 1
	s_lshl_b64 s[52:53], s[0:1], 1
	;; [unrolled: 1-line block ×3, first 2 shown]
	s_mov_b32 s35, 0
	s_branch .LBB76_3
.LBB76_2:                               ;   in Loop: Header=BB76_3 Depth=1
	v_add_nc_u32_e32 v0, s66, v0
	s_delay_alu instid0(VALU_DEP_1) | instskip(SKIP_1) | instid1(SALU_CYCLE_1)
	v_cmp_le_i32_e32 vcc_lo, s33, v0
	s_or_b32 s35, vcc_lo, s35
	s_and_not1_b32 exec_lo, exec_lo, s35
	s_cbranch_execz .LBB76_23
.LBB76_3:                               ; =>This Loop Header: Depth=1
                                        ;     Child Loop BB76_8 Depth 2
                                        ;       Child Loop BB76_11 Depth 3
                                        ;         Child Loop BB76_14 Depth 4
                                        ;           Child Loop BB76_17 Depth 5
	v_sub_nc_u32_e32 v1, 0, v0
	s_mov_b32 s39, -1
	s_delay_alu instid0(VALU_DEP_1) | instskip(NEXT) | instid1(VALU_DEP_1)
	v_max_i32_e32 v3, v0, v1
	v_mul_hi_u32 v1, v3, s67
	s_delay_alu instid0(VALU_DEP_1) | instskip(SKIP_1) | instid1(VALU_DEP_2)
	v_mul_lo_u32 v2, v1, s62
	v_add_nc_u32_e32 v4, 1, v1
	v_sub_nc_u32_e32 v2, v3, v2
	s_delay_alu instid0(VALU_DEP_1) | instskip(SKIP_3) | instid1(VALU_DEP_3)
	v_subrev_nc_u32_e32 v5, s62, v2
	v_cmp_le_u32_e32 vcc_lo, s62, v2
	s_wait_alu 0xfffd
	v_cndmask_b32_e32 v4, v1, v4, vcc_lo
	v_cndmask_b32_e32 v2, v2, v5, vcc_lo
	v_ashrrev_i32_e32 v1, 31, v0
	s_delay_alu instid0(VALU_DEP_3) | instskip(NEXT) | instid1(VALU_DEP_3)
	v_add_nc_u32_e32 v5, 1, v4
	v_cmp_le_u32_e32 vcc_lo, s62, v2
	s_delay_alu instid0(VALU_DEP_3) | instskip(SKIP_1) | instid1(VALU_DEP_3)
	v_xor_b32_e32 v6, s43, v1
	s_wait_alu 0xfffd
	v_cndmask_b32_e32 v2, v4, v5, vcc_lo
	v_mul_hi_u32 v5, v3, s70
	s_delay_alu instid0(VALU_DEP_2) | instskip(NEXT) | instid1(VALU_DEP_2)
	v_xor_b32_e32 v2, v2, v6
	v_mul_lo_u32 v7, v5, s64
	s_delay_alu instid0(VALU_DEP_2) | instskip(NEXT) | instid1(VALU_DEP_1)
	v_sub_nc_u32_e32 v2, v2, v6
	v_sub_nc_u32_e32 v4, 0, v2
	v_mul_lo_u32 v8, v2, s8
	s_delay_alu instid0(VALU_DEP_4) | instskip(NEXT) | instid1(VALU_DEP_3)
	v_sub_nc_u32_e32 v3, v3, v7
	v_max_i32_e32 v4, v2, v4
	s_delay_alu instid0(VALU_DEP_2) | instskip(SKIP_1) | instid1(VALU_DEP_3)
	v_subrev_nc_u32_e32 v7, s64, v3
	v_cmp_le_u32_e64 s0, s64, v3
	v_mul_hi_u32 v6, v4, s68
	s_delay_alu instid0(VALU_DEP_1) | instskip(NEXT) | instid1(VALU_DEP_1)
	v_mul_lo_u32 v6, v6, s63
	v_sub_nc_u32_e32 v4, v4, v6
	s_delay_alu instid0(VALU_DEP_1) | instskip(SKIP_2) | instid1(VALU_DEP_2)
	v_subrev_nc_u32_e32 v6, s63, v4
	v_cmp_le_u32_e32 vcc_lo, s63, v4
	s_wait_alu 0xfffd
	v_cndmask_b32_e32 v6, v4, v6, vcc_lo
	s_wait_alu 0xf1ff
	v_cndmask_b32_e64 v4, v3, v7, s0
	v_sub_nc_u32_e32 v3, v0, v8
	s_and_not1_b32 vcc_lo, exec_lo, s11
	v_cmp_le_u32_e64 s2, s63, v6
	s_delay_alu instid0(VALU_DEP_3)
	v_cmp_le_u32_e64 s1, s64, v4
	s_wait_alu 0xfffe
	s_cbranch_vccnz .LBB76_5
; %bb.4:                                ;   in Loop: Header=BB76_3 Depth=1
	v_ashrrev_i32_e32 v4, 31, v3
	s_mov_b32 s39, 0
.LBB76_5:                               ;   in Loop: Header=BB76_3 Depth=1
	v_add_nc_u32_e32 v7, 1, v5
	v_ashrrev_i32_e32 v2, 31, v2
	s_wait_alu 0xfffe
	s_and_not1_b32 vcc_lo, exec_lo, s39
	s_delay_alu instid0(VALU_DEP_2) | instskip(SKIP_1) | instid1(VALU_DEP_2)
	v_cndmask_b32_e64 v5, v5, v7, s0
	v_subrev_nc_u32_e32 v7, s63, v6
	v_add_nc_u32_e32 v8, 1, v5
	s_delay_alu instid0(VALU_DEP_2) | instskip(SKIP_1) | instid1(VALU_DEP_3)
	v_cndmask_b32_e64 v6, v6, v7, s2
	v_xor_b32_e32 v7, s69, v1
	v_cndmask_b32_e64 v1, v5, v8, s1
	s_delay_alu instid0(VALU_DEP_3) | instskip(NEXT) | instid1(VALU_DEP_2)
	v_xor_b32_e32 v5, v6, v2
	v_xor_b32_e32 v6, v1, v7
	s_delay_alu instid0(VALU_DEP_2) | instskip(SKIP_2) | instid1(VALU_DEP_4)
	v_sub_nc_u32_e32 v5, v5, v2
	v_mov_b32_e32 v1, 0
	v_mov_b32_e32 v2, 0
	v_sub_nc_u32_e32 v21, v6, v7
	s_wait_alu 0xfffe
	s_cbranch_vccnz .LBB76_19
; %bb.6:                                ;   in Loop: Header=BB76_3 Depth=1
	v_ashrrev_i32_e32 v4, 31, v3
	s_delay_alu instid0(VALU_DEP_2) | instskip(SKIP_4) | instid1(VALU_DEP_3)
	v_mul_lo_u32 v8, v21, s14
	v_mul_lo_u32 v9, v5, s15
	s_mov_b32 s1, 0
	s_mov_b32 s2, s19
	v_lshlrev_b64_e32 v[1:2], 1, v[3:4]
	v_subrev_nc_u32_e32 v8, s28, v8
	s_delay_alu instid0(VALU_DEP_3) | instskip(NEXT) | instid1(VALU_DEP_3)
	v_subrev_nc_u32_e32 v9, s29, v9
	v_add_co_u32 v1, vcc_lo, s48, v1
	s_wait_alu 0xfffd
	s_delay_alu instid0(VALU_DEP_4) | instskip(NEXT) | instid1(VALU_DEP_2)
	v_add_co_ci_u32_e64 v2, null, s49, v2, vcc_lo
	v_mul_lo_u32 v11, s31, v1
	v_mad_co_u64_u32 v[6:7], null, s30, v1, s[22:23]
	s_delay_alu instid0(VALU_DEP_3) | instskip(SKIP_2) | instid1(VALU_DEP_3)
	v_mul_lo_u32 v10, s30, v2
	v_mov_b32_e32 v1, 0
	v_mov_b32_e32 v2, 0
	v_add3_u32 v7, v11, v7, v10
	s_branch .LBB76_8
.LBB76_7:                               ;   in Loop: Header=BB76_8 Depth=2
	v_add_co_u32 v6, vcc_lo, v6, s50
	s_wait_alu 0xfffd
	v_add_co_ci_u32_e64 v7, null, s51, v7, vcc_lo
	s_add_co_i32 s1, s1, 1
	s_add_co_i32 s2, s2, s16
	s_wait_alu 0xfffe
	s_cmp_eq_u32 s1, s44
	s_cbranch_scc1 .LBB76_19
.LBB76_8:                               ;   Parent Loop BB76_3 Depth=1
                                        ; =>  This Loop Header: Depth=2
                                        ;       Child Loop BB76_11 Depth 3
                                        ;         Child Loop BB76_14 Depth 4
                                        ;           Child Loop BB76_17 Depth 5
	s_and_not1_b32 vcc_lo, exec_lo, s42
	s_wait_alu 0xfffe
	s_cbranch_vccnz .LBB76_7
; %bb.9:                                ;   in Loop: Header=BB76_8 Depth=2
	s_mul_i32 s0, s1, s16
	v_dual_mov_b32 v11, v7 :: v_dual_mov_b32 v10, v6
	s_wait_alu 0xfffe
	s_add_co_i32 s0, s0, s19
	v_mov_b32_e32 v22, v8
	s_wait_alu 0xfffe
	s_cmp_lt_i32 s0, 0
	s_mul_u64 s[56:57], s[40:41], s[2:3]
	s_cselect_b32 s45, -1, 0
	s_cmp_ge_i32 s0, s38
	s_mov_b32 s39, 0
	s_cselect_b32 s0, -1, 0
	s_wait_alu 0xfffe
	s_or_b32 s45, s45, s0
	s_branch .LBB76_11
.LBB76_10:                              ;   in Loop: Header=BB76_11 Depth=3
	v_add_co_u32 v10, vcc_lo, v10, s52
	v_add_nc_u32_e32 v22, s17, v22
	s_wait_alu 0xfffd
	v_add_co_ci_u32_e64 v11, null, s53, v11, vcc_lo
	s_add_co_i32 s39, s39, 1
	s_wait_alu 0xfffe
	s_cmp_eq_u32 s39, s46
	s_cbranch_scc1 .LBB76_7
.LBB76_11:                              ;   Parent Loop BB76_3 Depth=1
                                        ;     Parent Loop BB76_8 Depth=2
                                        ; =>    This Loop Header: Depth=3
                                        ;         Child Loop BB76_14 Depth 4
                                        ;           Child Loop BB76_17 Depth 5
	s_and_not1_b32 vcc_lo, exec_lo, s60
	s_wait_alu 0xfffe
	s_cbranch_vccnz .LBB76_10
; %bb.12:                               ;   in Loop: Header=BB76_11 Depth=3
	v_add_co_u32 v12, s0, s56, v22
	s_wait_alu 0xf1ff
	v_add_co_ci_u32_e64 v13, null, s57, 0, s0
	v_mad_co_u64_u32 v[14:15], null, s39, s17, v[8:9]
	s_delay_alu instid0(VALU_DEP_3) | instskip(NEXT) | instid1(VALU_DEP_3)
	v_mul_lo_u32 v16, s7, v12
	v_mul_lo_u32 v17, s6, v13
	v_mad_co_u64_u32 v[12:13], null, s6, v12, 0
	v_mov_b32_e32 v23, v9
	s_mov_b32 s47, 0
	v_cmp_gt_i32_e32 vcc_lo, 0, v14
	v_cmp_le_i32_e64 s0, s40, v14
	v_dual_mov_b32 v15, v11 :: v_dual_mov_b32 v14, v10
	v_add3_u32 v13, v13, v17, v16
	s_or_b32 s0, vcc_lo, s0
	s_wait_alu 0xfffe
	s_or_b32 s71, s45, s0
	s_branch .LBB76_14
.LBB76_13:                              ;   in Loop: Header=BB76_14 Depth=4
	v_add_co_u32 v14, vcc_lo, v14, s54
	v_add_nc_u32_e32 v23, s18, v23
	s_wait_alu 0xfffd
	v_add_co_ci_u32_e64 v15, null, s55, v15, vcc_lo
	s_add_co_i32 s47, s47, 1
	s_wait_alu 0xfffe
	s_cmp_eq_u32 s47, s34
	s_cbranch_scc1 .LBB76_10
.LBB76_14:                              ;   Parent Loop BB76_3 Depth=1
                                        ;     Parent Loop BB76_8 Depth=2
                                        ;       Parent Loop BB76_11 Depth=3
                                        ; =>      This Loop Header: Depth=4
                                        ;           Child Loop BB76_17 Depth 5
	s_and_not1_b32 vcc_lo, exec_lo, s61
	s_wait_alu 0xfffe
	s_cbranch_vccnz .LBB76_13
; %bb.15:                               ;   in Loop: Header=BB76_14 Depth=4
	v_add_co_u32 v16, vcc_lo, v12, v23
	s_wait_alu 0xfffd
	v_add_co_ci_u32_e64 v17, null, 0, v13, vcc_lo
	v_mad_co_u64_u32 v[18:19], null, s47, s18, v[9:10]
	s_mov_b32 s72, s9
	v_lshlrev_b64_e32 v[16:17], 1, v[16:17]
	v_cmp_le_i32_e64 s0, s6, v18
	s_delay_alu instid0(VALU_DEP_2) | instskip(SKIP_1) | instid1(VALU_DEP_3)
	v_add_co_u32 v16, vcc_lo, s20, v16
	s_wait_alu 0xfffd
	v_add_co_ci_u32_e64 v17, null, s21, v17, vcc_lo
	v_cmp_gt_i32_e32 vcc_lo, 0, v18
	s_delay_alu instid0(VALU_DEP_3) | instskip(NEXT) | instid1(VALU_DEP_3)
	v_mul_lo_u32 v24, s59, v16
	v_mul_lo_u32 v19, s58, v17
	v_mad_co_u64_u32 v[16:17], null, s58, v16, s[12:13]
	s_or_b32 s0, vcc_lo, s0
	s_wait_alu 0xfffe
	s_nor_b32 s0, s71, s0
	v_add3_u32 v17, v24, v17, v19
	v_dual_mov_b32 v19, v15 :: v_dual_mov_b32 v18, v14
	s_branch .LBB76_17
.LBB76_16:                              ;   in Loop: Header=BB76_17 Depth=5
	s_or_b32 exec_lo, exec_lo, s73
	v_add_co_u32 v16, vcc_lo, v16, 2
	s_wait_alu 0xfffd
	v_add_co_ci_u32_e64 v17, null, 0, v17, vcc_lo
	v_add_co_u32 v18, vcc_lo, v18, 2
	s_wait_alu 0xfffd
	v_add_co_ci_u32_e64 v19, null, 0, v19, vcc_lo
	s_add_co_i32 s72, s72, -1
	s_delay_alu instid0(SALU_CYCLE_1)
	s_cmp_eq_u32 s72, 0
	s_cbranch_scc1 .LBB76_13
.LBB76_17:                              ;   Parent Loop BB76_3 Depth=1
                                        ;     Parent Loop BB76_8 Depth=2
                                        ;       Parent Loop BB76_11 Depth=3
                                        ;         Parent Loop BB76_14 Depth=4
                                        ; =>        This Inner Loop Header: Depth=5
	s_wait_alu 0xfffe
	s_and_saveexec_b32 s73, s0
	s_cbranch_execz .LBB76_16
; %bb.18:                               ;   in Loop: Header=BB76_17 Depth=5
	global_load_u16 v24, v[16:17], off
	global_load_u16 v25, v[18:19], off
	s_wait_loadcnt 0x1
	v_cvt_f32_f16_e32 v24, v24
	s_wait_loadcnt 0x0
	v_cvt_f32_f16_e32 v26, v25
	s_delay_alu instid0(VALU_DEP_2) | instskip(NEXT) | instid1(VALU_DEP_2)
	v_cvt_f64_f32_e32 v[24:25], v24
	v_cvt_f64_f32_e32 v[26:27], v26
	s_delay_alu instid0(VALU_DEP_1)
	v_fma_f64 v[1:2], v[24:25], v[26:27], v[1:2]
	s_branch .LBB76_16
.LBB76_19:                              ;   in Loop: Header=BB76_3 Depth=1
	v_ashrrev_i32_e32 v6, 31, v5
	s_and_b32 vcc_lo, exec_lo, s65
	s_mov_b32 s0, -1
	s_delay_alu instid0(VALU_DEP_1) | instskip(NEXT) | instid1(VALU_DEP_1)
	v_mad_co_i64_i32 v[5:6], null, v21, s10, v[5:6]
	v_mul_lo_u32 v7, v5, s37
	s_delay_alu instid0(VALU_DEP_2) | instskip(SKIP_1) | instid1(VALU_DEP_1)
	v_mul_lo_u32 v6, v6, s36
	v_mad_co_u64_u32 v[3:4], null, v5, s36, v[3:4]
	v_add3_u32 v4, v6, v4, v7
	s_wait_alu 0xfffe
	s_cbranch_vccz .LBB76_21
; %bb.20:                               ;   in Loop: Header=BB76_3 Depth=1
	s_delay_alu instid0(VALU_DEP_1) | instskip(SKIP_1) | instid1(VALU_DEP_1)
	v_lshlrev_b64_e32 v[5:6], 1, v[3:4]
	s_mov_b32 s0, 0
	v_add_co_u32 v5, vcc_lo, s4, v5
	s_wait_alu 0xfffd
	s_delay_alu instid0(VALU_DEP_2) | instskip(SKIP_3) | instid1(VALU_DEP_1)
	v_add_co_ci_u32_e64 v6, null, s5, v6, vcc_lo
	global_load_u16 v7, v[5:6], off
	s_wait_loadcnt 0x0
	v_cvt_f32_f16_e32 v7, v7
	v_cvt_f64_f32_e32 v[7:8], v7
	s_delay_alu instid0(VALU_DEP_1) | instskip(NEXT) | instid1(VALU_DEP_1)
	v_mul_f64_e32 v[7:8], s[26:27], v[7:8]
	v_fma_f64 v[7:8], s[24:25], v[1:2], v[7:8]
	s_delay_alu instid0(VALU_DEP_1) | instskip(SKIP_3) | instid1(VALU_DEP_4)
	v_and_or_b32 v7, 0x1ff, v8, v7
	v_lshrrev_b32_e32 v9, 8, v8
	v_bfe_u32 v10, v8, 20, 11
	v_lshrrev_b32_e32 v8, 16, v8
	v_cmp_ne_u32_e32 vcc_lo, 0, v7
	s_delay_alu instid0(VALU_DEP_3) | instskip(SKIP_2) | instid1(VALU_DEP_1)
	v_sub_nc_u32_e32 v11, 0x3f1, v10
	s_wait_alu 0xfffd
	v_cndmask_b32_e64 v7, 0, 1, vcc_lo
	v_and_or_b32 v7, 0xffe, v9, v7
	s_delay_alu instid0(VALU_DEP_3) | instskip(NEXT) | instid1(VALU_DEP_2)
	v_med3_i32 v9, v11, 0, 13
	v_or_b32_e32 v11, 0x1000, v7
	s_delay_alu instid0(VALU_DEP_1) | instskip(NEXT) | instid1(VALU_DEP_1)
	v_lshrrev_b32_e32 v12, v9, v11
	v_lshlrev_b32_e32 v9, v9, v12
	s_delay_alu instid0(VALU_DEP_1) | instskip(SKIP_2) | instid1(VALU_DEP_1)
	v_cmp_ne_u32_e32 vcc_lo, v9, v11
	s_wait_alu 0xfffd
	v_cndmask_b32_e64 v9, 0, 1, vcc_lo
	v_or_b32_e32 v9, v12, v9
	v_add_nc_u32_e32 v10, 0xfffffc10, v10
	s_delay_alu instid0(VALU_DEP_1) | instskip(SKIP_2) | instid1(VALU_DEP_2)
	v_lshl_or_b32 v11, v10, 12, v7
	v_cmp_gt_i32_e32 vcc_lo, 1, v10
	s_wait_alu 0xfffd
	v_cndmask_b32_e32 v9, v11, v9, vcc_lo
	s_delay_alu instid0(VALU_DEP_1) | instskip(SKIP_1) | instid1(VALU_DEP_2)
	v_and_b32_e32 v11, 7, v9
	v_lshrrev_b32_e32 v9, 2, v9
	v_cmp_lt_i32_e32 vcc_lo, 5, v11
	s_wait_alu 0xfffd
	v_cndmask_b32_e64 v12, 0, 1, vcc_lo
	v_cmp_eq_u32_e32 vcc_lo, 3, v11
	s_wait_alu 0xfffd
	v_cndmask_b32_e64 v11, 0, 1, vcc_lo
	v_cmp_ne_u32_e32 vcc_lo, 0, v7
	s_delay_alu instid0(VALU_DEP_2) | instskip(SKIP_3) | instid1(VALU_DEP_3)
	v_or_b32_e32 v11, v11, v12
	s_wait_alu 0xfffd
	v_cndmask_b32_e32 v7, 0x7c00, v20, vcc_lo
	v_cmp_gt_i32_e32 vcc_lo, 31, v10
	v_add_nc_u32_e32 v9, v9, v11
	s_wait_alu 0xfffd
	s_delay_alu instid0(VALU_DEP_1) | instskip(SKIP_2) | instid1(VALU_DEP_2)
	v_cndmask_b32_e32 v9, 0x7c00, v9, vcc_lo
	v_cmp_eq_u32_e32 vcc_lo, 0x40f, v10
	s_wait_alu 0xfffd
	v_cndmask_b32_e32 v7, v9, v7, vcc_lo
	s_delay_alu instid0(VALU_DEP_1)
	v_and_or_b32 v7, 0x8000, v8, v7
	global_store_b16 v[5:6], v7, off
.LBB76_21:                              ;   in Loop: Header=BB76_3 Depth=1
	s_wait_alu 0xfffe
	s_and_not1_b32 vcc_lo, exec_lo, s0
	s_wait_alu 0xfffe
	s_cbranch_vccnz .LBB76_2
; %bb.22:                               ;   in Loop: Header=BB76_3 Depth=1
	v_and_or_b32 v1, 0x1ff, v2, v1
	v_lshrrev_b32_e32 v5, 8, v2
	v_bfe_u32 v6, v2, 20, 11
	s_delay_alu instid0(VALU_DEP_3) | instskip(NEXT) | instid1(VALU_DEP_2)
	v_cmp_ne_u32_e32 vcc_lo, 0, v1
	v_sub_nc_u32_e32 v7, 0x3f1, v6
	s_wait_alu 0xfffd
	v_cndmask_b32_e64 v1, 0, 1, vcc_lo
	s_delay_alu instid0(VALU_DEP_1) | instskip(NEXT) | instid1(VALU_DEP_3)
	v_and_or_b32 v1, 0xffe, v5, v1
	v_med3_i32 v5, v7, 0, 13
	s_delay_alu instid0(VALU_DEP_2) | instskip(NEXT) | instid1(VALU_DEP_1)
	v_or_b32_e32 v7, 0x1000, v1
	v_lshrrev_b32_e32 v8, v5, v7
	s_delay_alu instid0(VALU_DEP_1) | instskip(NEXT) | instid1(VALU_DEP_1)
	v_lshlrev_b32_e32 v5, v5, v8
	v_cmp_ne_u32_e32 vcc_lo, v5, v7
	s_wait_alu 0xfffd
	v_cndmask_b32_e64 v5, 0, 1, vcc_lo
	s_delay_alu instid0(VALU_DEP_1) | instskip(SKIP_1) | instid1(VALU_DEP_1)
	v_or_b32_e32 v5, v8, v5
	v_add_nc_u32_e32 v6, 0xfffffc10, v6
	v_lshl_or_b32 v7, v6, 12, v1
	v_cmp_gt_i32_e32 vcc_lo, 1, v6
	s_wait_alu 0xfffd
	s_delay_alu instid0(VALU_DEP_2) | instskip(NEXT) | instid1(VALU_DEP_1)
	v_cndmask_b32_e32 v5, v7, v5, vcc_lo
	v_and_b32_e32 v7, 7, v5
	v_lshrrev_b32_e32 v5, 2, v5
	s_delay_alu instid0(VALU_DEP_2)
	v_cmp_lt_i32_e32 vcc_lo, 5, v7
	s_wait_alu 0xfffd
	v_cndmask_b32_e64 v8, 0, 1, vcc_lo
	v_cmp_eq_u32_e32 vcc_lo, 3, v7
	s_wait_alu 0xfffd
	v_cndmask_b32_e64 v7, 0, 1, vcc_lo
	v_cmp_ne_u32_e32 vcc_lo, 0, v1
	s_delay_alu instid0(VALU_DEP_2) | instskip(SKIP_3) | instid1(VALU_DEP_3)
	v_or_b32_e32 v7, v7, v8
	s_wait_alu 0xfffd
	v_cndmask_b32_e32 v1, 0x7c00, v20, vcc_lo
	v_cmp_gt_i32_e32 vcc_lo, 31, v6
	v_add_nc_u32_e32 v5, v5, v7
	v_lshrrev_b32_e32 v7, 16, v2
	s_wait_alu 0xfffd
	s_delay_alu instid0(VALU_DEP_2) | instskip(SKIP_2) | instid1(VALU_DEP_2)
	v_cndmask_b32_e32 v5, 0x7c00, v5, vcc_lo
	v_cmp_eq_u32_e32 vcc_lo, 0x40f, v6
	s_wait_alu 0xfffd
	v_cndmask_b32_e32 v5, v5, v1, vcc_lo
	v_lshlrev_b64_e32 v[1:2], 1, v[3:4]
	s_delay_alu instid0(VALU_DEP_2) | instskip(NEXT) | instid1(VALU_DEP_2)
	v_and_or_b32 v3, 0x8000, v7, v5
	v_add_co_u32 v1, vcc_lo, s4, v1
	s_wait_alu 0xfffd
	s_delay_alu instid0(VALU_DEP_3)
	v_add_co_ci_u32_e64 v2, null, s5, v2, vcc_lo
	global_store_b16 v[1:2], v3, off
	s_branch .LBB76_2
.LBB76_23:
	s_endpgm
	.section	.rodata,"a",@progbits
	.p2align	6, 0x0
	.amdhsa_kernel naive_conv_ab_packed_fwd_ndhwc_half_double_half_0
		.amdhsa_group_segment_fixed_size 0
		.amdhsa_private_segment_fixed_size 0
		.amdhsa_kernarg_size 528
		.amdhsa_user_sgpr_count 2
		.amdhsa_user_sgpr_dispatch_ptr 0
		.amdhsa_user_sgpr_queue_ptr 0
		.amdhsa_user_sgpr_kernarg_segment_ptr 1
		.amdhsa_user_sgpr_dispatch_id 0
		.amdhsa_user_sgpr_private_segment_size 0
		.amdhsa_wavefront_size32 1
		.amdhsa_uses_dynamic_stack 0
		.amdhsa_enable_private_segment 0
		.amdhsa_system_sgpr_workgroup_id_x 1
		.amdhsa_system_sgpr_workgroup_id_y 0
		.amdhsa_system_sgpr_workgroup_id_z 0
		.amdhsa_system_sgpr_workgroup_info 0
		.amdhsa_system_vgpr_workitem_id 0
		.amdhsa_next_free_vgpr 28
		.amdhsa_next_free_sgpr 74
		.amdhsa_reserve_vcc 1
		.amdhsa_float_round_mode_32 0
		.amdhsa_float_round_mode_16_64 0
		.amdhsa_float_denorm_mode_32 3
		.amdhsa_float_denorm_mode_16_64 3
		.amdhsa_fp16_overflow 0
		.amdhsa_workgroup_processor_mode 1
		.amdhsa_memory_ordered 1
		.amdhsa_forward_progress 1
		.amdhsa_inst_pref_size 23
		.amdhsa_round_robin_scheduling 0
		.amdhsa_exception_fp_ieee_invalid_op 0
		.amdhsa_exception_fp_denorm_src 0
		.amdhsa_exception_fp_ieee_div_zero 0
		.amdhsa_exception_fp_ieee_overflow 0
		.amdhsa_exception_fp_ieee_underflow 0
		.amdhsa_exception_fp_ieee_inexact 0
		.amdhsa_exception_int_div_zero 0
	.end_amdhsa_kernel
	.text
.Lfunc_end76:
	.size	naive_conv_ab_packed_fwd_ndhwc_half_double_half_0, .Lfunc_end76-naive_conv_ab_packed_fwd_ndhwc_half_double_half_0
                                        ; -- End function
	.set naive_conv_ab_packed_fwd_ndhwc_half_double_half_0.num_vgpr, 28
	.set naive_conv_ab_packed_fwd_ndhwc_half_double_half_0.num_agpr, 0
	.set naive_conv_ab_packed_fwd_ndhwc_half_double_half_0.numbered_sgpr, 74
	.set naive_conv_ab_packed_fwd_ndhwc_half_double_half_0.num_named_barrier, 0
	.set naive_conv_ab_packed_fwd_ndhwc_half_double_half_0.private_seg_size, 0
	.set naive_conv_ab_packed_fwd_ndhwc_half_double_half_0.uses_vcc, 1
	.set naive_conv_ab_packed_fwd_ndhwc_half_double_half_0.uses_flat_scratch, 0
	.set naive_conv_ab_packed_fwd_ndhwc_half_double_half_0.has_dyn_sized_stack, 0
	.set naive_conv_ab_packed_fwd_ndhwc_half_double_half_0.has_recursion, 0
	.set naive_conv_ab_packed_fwd_ndhwc_half_double_half_0.has_indirect_call, 0
	.section	.AMDGPU.csdata,"",@progbits
; Kernel info:
; codeLenInByte = 2840
; TotalNumSgprs: 76
; NumVgprs: 28
; ScratchSize: 0
; MemoryBound: 0
; FloatMode: 240
; IeeeMode: 1
; LDSByteSize: 0 bytes/workgroup (compile time only)
; SGPRBlocks: 0
; VGPRBlocks: 3
; NumSGPRsForWavesPerEU: 76
; NumVGPRsForWavesPerEU: 28
; Occupancy: 16
; WaveLimiterHint : 1
; COMPUTE_PGM_RSRC2:SCRATCH_EN: 0
; COMPUTE_PGM_RSRC2:USER_SGPR: 2
; COMPUTE_PGM_RSRC2:TRAP_HANDLER: 0
; COMPUTE_PGM_RSRC2:TGID_X_EN: 1
; COMPUTE_PGM_RSRC2:TGID_Y_EN: 0
; COMPUTE_PGM_RSRC2:TGID_Z_EN: 0
; COMPUTE_PGM_RSRC2:TIDIG_COMP_CNT: 0
	.text
	.protected	naive_conv_ab_nonpacked_fwd_ndhwc_half_double_half_0 ; -- Begin function naive_conv_ab_nonpacked_fwd_ndhwc_half_double_half_0
	.globl	naive_conv_ab_nonpacked_fwd_ndhwc_half_double_half_0
	.p2align	8
	.type	naive_conv_ab_nonpacked_fwd_ndhwc_half_double_half_0,@function
naive_conv_ab_nonpacked_fwd_ndhwc_half_double_half_0: ; @naive_conv_ab_nonpacked_fwd_ndhwc_half_double_half_0
; %bb.0:
	s_load_b512 s[4:19], s[0:1], 0xb8
	s_mov_b32 s24, exec_lo
	s_wait_kmcnt 0x0
	s_abs_i32 s3, s10
	s_mul_i32 s34, s12, s8
	s_cvt_f32_u32 s2, s3
	s_delay_alu instid0(SALU_CYCLE_3) | instskip(NEXT) | instid1(TRANS32_DEP_1)
	v_rcp_iflag_f32_e32 v1, s2
	v_readfirstlane_b32 s2, v1
	s_mul_f32 s2, s2, 0x4f7ffffe
	s_wait_alu 0xfffe
	s_delay_alu instid0(SALU_CYCLE_2) | instskip(SKIP_2) | instid1(SALU_CYCLE_1)
	s_cvt_u32_f32 s20, s2
	s_sub_co_i32 s2, 0, s3
	s_wait_alu 0xfffe
	s_mul_i32 s2, s2, s20
	s_wait_alu 0xfffe
	s_mul_hi_u32 s21, s20, s2
	s_abs_i32 s2, ttmp9
	s_add_co_i32 s20, s20, s21
	s_wait_alu 0xfffe
	s_mul_hi_u32 s20, s2, s20
	s_delay_alu instid0(SALU_CYCLE_1) | instskip(SKIP_2) | instid1(SALU_CYCLE_1)
	s_mul_i32 s21, s20, s3
	s_add_co_i32 s22, s20, 1
	s_sub_co_i32 s21, s2, s21
	s_sub_co_i32 s23, s21, s3
	s_cmp_ge_u32 s21, s3
	s_cselect_b32 s20, s22, s20
	s_cselect_b32 s21, s23, s21
	s_add_co_i32 s22, s20, 1
	s_cmp_ge_u32 s21, s3
	s_mul_i32 s21, s10, s7
	s_cselect_b32 s22, s22, s20
	s_abs_i32 s20, s7
	s_abs_i32 s33, s21
	s_cvt_f32_u32 s3, s20
	s_cvt_f32_u32 s7, s33
	s_wait_alu 0xfffe
	s_delay_alu instid0(SALU_CYCLE_1) | instskip(NEXT) | instid1(SALU_CYCLE_1)
	v_rcp_iflag_f32_e32 v1, s3
	v_rcp_iflag_f32_e32 v2, s7
	s_mul_i32 s7, s34, s11
	s_mov_b32 s3, 0
	s_delay_alu instid0(TRANS32_DEP_2) | instskip(NEXT) | instid1(TRANS32_DEP_1)
	v_readfirstlane_b32 s23, v1
	v_readfirstlane_b32 s11, v2
	s_wait_alu 0xfffe
	v_cmpx_gt_i32_e64 s7, v0
	s_cbranch_execz .LBB77_23
; %bb.1:
	s_mul_f32 s23, s23, 0x4f7ffffe
	s_ashr_i32 s26, ttmp9, 31
	s_ashr_i32 s24, s10, 31
	s_mul_f32 s11, s11, 0x4f7ffffe
	s_cvt_u32_f32 s23, s23
	s_sub_co_i32 s25, 0, s20
	s_xor_b32 s24, s26, s24
	s_cvt_u32_f32 s11, s11
	s_xor_b32 s22, s22, s24
	s_mul_i32 s25, s25, s23
	s_sub_co_i32 s27, s22, s24
	s_mul_hi_u32 s24, s23, s25
	s_sub_co_i32 s28, 0, s33
	s_abs_i32 s22, s27
	s_add_co_i32 s24, s23, s24
	s_mov_b32 s23, s3
	s_mov_b32 s25, s3
	s_mul_i32 s28, s28, s11
	s_mul_u64 s[24:25], s[22:23], s[24:25]
	s_mul_hi_u32 s24, s11, s28
	s_ashr_i32 s23, s27, 31
	s_add_co_i32 s24, s11, s24
	s_mul_i32 s11, s25, s20
	s_mul_i32 s27, s27, s10
	s_sub_co_i32 s11, s22, s11
	s_ashr_i32 s21, s21, 31
	s_sub_co_i32 s10, ttmp9, s27
	s_sub_co_i32 s22, s11, s20
	s_cmp_ge_u32 s11, s20
	s_mov_b32 s25, s3
	s_cselect_b32 s11, s22, s11
	s_mul_u64 s[56:57], s[2:3], s[24:25]
	s_sub_co_i32 s22, s11, s20
	s_cmp_ge_u32 s11, s20
	s_load_b512 s[36:51], s[0:1], 0x68
	s_cselect_b32 s11, s22, s11
	s_clause 0x1
	s_load_b128 s[28:31], s[0:1], 0xf8
	s_load_b128 s[52:55], s[0:1], 0xa8
	s_xor_b32 s11, s11, s23
	s_xor_b32 s35, s26, s21
	s_sub_co_i32 s68, s11, s23
	s_mul_i32 s11, s57, s33
	s_load_b256 s[20:27], s[0:1], 0x0
	s_sub_co_i32 s2, s2, s11
	s_add_co_i32 s11, s57, 1
	s_wait_alu 0xfffe
	s_sub_co_i32 s56, s2, s33
	s_cmp_ge_u32 s2, s33
	v_mov_b32_e32 v17, 0x7e00
	s_cselect_b32 s11, s11, s57
	s_cselect_b32 s2, s56, s2
	s_add_co_i32 s56, s11, 1
	s_wait_alu 0xfffe
	s_cmp_ge_u32 s2, s33
	s_load_b32 s33, s[0:1], 0x108
	s_cselect_b32 s2, s56, s11
	s_ashr_i32 s69, s68, 31
	s_wait_alu 0xfffe
	s_xor_b32 s2, s2, s35
	s_ashr_i32 s11, s10, 31
	s_wait_alu 0xfffe
	s_sub_co_i32 s70, s2, s35
	s_wait_kmcnt 0x0
	s_mul_u64 s[54:55], s[54:55], s[68:69]
	s_ashr_i32 s71, s70, 31
	s_mul_u64 s[52:53], s[52:53], s[10:11]
	s_mul_u64 s[46:47], s[46:47], s[70:71]
	s_lshl_b64 s[54:55], s[54:55], 1
	s_lshl_b64 s[80:81], s[52:53], 1
	s_lshl_b64 s[46:47], s[46:47], 1
	s_cmp_lt_i32 s30, 1
	v_cmp_neq_f64_e64 s2, s[24:25], 1.0
	v_cmp_neq_f64_e64 s35, s[26:27], 0
	s_mul_i32 s10, s10, s13
	s_cselect_b32 s72, -1, 0
	s_sub_co_i32 s19, s10, s19
	s_cmp_gt_i32 s31, 0
	s_clause 0x1
	s_load_b32 s13, s[0:1], 0x11c
	s_load_b64 s[10:11], s[0:1], 0x20
	s_cselect_b32 s73, -1, 0
	s_cmp_gt_i32 s33, 0
	s_cselect_b32 s74, -1, 0
	s_cmp_gt_i32 s9, 0
	s_cselect_b32 s75, -1, 0
	s_abs_i32 s76, s8
	s_abs_i32 s77, s12
	s_cvt_f32_u32 s52, s76
	s_cvt_f32_u32 s12, s77
	s_abs_i32 s78, s34
	s_ashr_i32 s84, s34, 31
	v_rcp_iflag_f32_e32 v1, s52
	v_rcp_iflag_f32_e32 v2, s12
	s_cvt_f32_u32 s12, s78
	s_lshl_b64 s[36:37], s[36:37], 1
	s_wait_kmcnt 0x0
	s_add_nc_u64 s[10:11], s[10:11], s[54:55]
	s_load_b512 s[52:67], s[0:1], 0x28
	s_add_nc_u64 s[0:1], s[10:11], s[80:81]
	s_and_b32 s80, s13, 0xffff
	s_delay_alu instid0(TRANS32_DEP_2)
	v_readfirstlane_b32 s79, v1
	v_rcp_iflag_f32_e32 v1, s12
	s_add_nc_u64 s[10:11], s[0:1], s[46:47]
	v_readfirstlane_b32 s1, v2
	s_sub_co_i32 s13, 0, s77
	s_mul_f32 s0, s79, 0x4f7ffffe
	s_ashr_i32 s81, s8, 31
	s_mul_f32 s1, s1, 0x4f7ffffe
	s_delay_alu instid0(SALU_CYCLE_1) | instskip(SKIP_1) | instid1(TRANS32_DEP_1)
	s_cvt_u32_f32 s0, s0
	s_or_b32 s79, s2, s35
	v_readfirstlane_b32 s12, v1
	s_sub_co_i32 s2, 0, s76
	s_cvt_u32_f32 s1, s1
	s_wait_alu 0xfffe
	s_mul_i32 s2, s2, s0
	s_lshl_b64 s[34:35], s[38:39], 1
	s_mul_f32 s12, s12, 0x4f7ffffe
	s_wait_alu 0xfffe
	s_mul_hi_u32 s2, s0, s2
	s_mul_i32 s13, s13, s1
	s_wait_alu 0xfffe
	s_add_co_i32 s82, s0, s2
	s_mul_hi_u32 s0, s1, s13
	s_cvt_u32_f32 s2, s12
	s_add_co_i32 s83, s1, s0
	s_sub_co_i32 s0, 0, s78
	s_wait_kmcnt 0x0
	s_mul_u64 s[38:39], s[62:63], s[68:69]
	s_wait_alu 0xfffe
	s_mul_i32 s12, s0, s2
	s_mul_u64 s[0:1], s[42:43], s[70:71]
	s_wait_alu 0xfffe
	s_mul_hi_u32 s12, s2, s12
	s_lshl_b64 s[0:1], s[0:1], 1
	s_wait_alu 0xfffe
	s_add_co_i32 s85, s2, s12
	s_add_nc_u64 s[12:13], s[22:23], s[0:1]
	s_mul_u64 s[0:1], s[54:55], s[70:71]
	s_lshl_b64 s[22:23], s[40:41], 1
	s_lshl_b64 s[0:1], s[0:1], 1
	;; [unrolled: 1-line block ×4, first 2 shown]
	s_add_nc_u64 s[0:1], s[0:1], s[40:41]
	s_lshl_b64 s[40:41], s[64:65], 1
	s_add_nc_u64 s[20:21], s[20:21], s[0:1]
	s_lshl_b64 s[42:43], s[60:61], 1
	s_lshl_b64 s[46:47], s[58:59], 1
	;; [unrolled: 1-line block ×4, first 2 shown]
	s_mov_b32 s58, 0
	s_branch .LBB77_3
.LBB77_2:                               ;   in Loop: Header=BB77_3 Depth=1
	v_add_nc_u32_e32 v0, s80, v0
	s_delay_alu instid0(VALU_DEP_1)
	v_cmp_le_i32_e32 vcc_lo, s7, v0
	s_or_b32 s58, vcc_lo, s58
	s_wait_alu 0xfffe
	s_and_not1_b32 exec_lo, exec_lo, s58
	s_cbranch_execz .LBB77_23
.LBB77_3:                               ; =>This Loop Header: Depth=1
                                        ;     Child Loop BB77_8 Depth 2
                                        ;       Child Loop BB77_11 Depth 3
                                        ;         Child Loop BB77_14 Depth 4
                                        ;           Child Loop BB77_17 Depth 5
	v_sub_nc_u32_e32 v1, 0, v0
	s_mov_b32 s56, -1
                                        ; implicit-def: $vgpr19
	s_delay_alu instid0(VALU_DEP_1) | instskip(NEXT) | instid1(VALU_DEP_1)
	v_max_i32_e32 v4, v0, v1
	v_mul_hi_u32 v1, v4, s82
	s_delay_alu instid0(VALU_DEP_1) | instskip(SKIP_1) | instid1(VALU_DEP_2)
	v_mul_lo_u32 v2, v1, s76
	v_add_nc_u32_e32 v3, 1, v1
	v_sub_nc_u32_e32 v2, v4, v2
	s_delay_alu instid0(VALU_DEP_1) | instskip(SKIP_2) | instid1(VALU_DEP_2)
	v_subrev_nc_u32_e32 v5, s76, v2
	v_cmp_le_u32_e32 vcc_lo, s76, v2
	s_wait_alu 0xfffd
	v_dual_cndmask_b32 v3, v1, v3 :: v_dual_cndmask_b32 v2, v2, v5
	v_ashrrev_i32_e32 v1, 31, v0
	s_delay_alu instid0(VALU_DEP_2) | instskip(NEXT) | instid1(VALU_DEP_3)
	v_add_nc_u32_e32 v5, 1, v3
	v_cmp_le_u32_e32 vcc_lo, s76, v2
	s_delay_alu instid0(VALU_DEP_3) | instskip(SKIP_1) | instid1(VALU_DEP_3)
	v_xor_b32_e32 v6, s81, v1
	s_wait_alu 0xfffd
	v_cndmask_b32_e32 v2, v3, v5, vcc_lo
	s_delay_alu instid0(VALU_DEP_1) | instskip(NEXT) | instid1(VALU_DEP_1)
	v_xor_b32_e32 v2, v2, v6
	v_sub_nc_u32_e32 v2, v2, v6
	s_delay_alu instid0(VALU_DEP_1) | instskip(SKIP_1) | instid1(VALU_DEP_2)
	v_sub_nc_u32_e32 v3, 0, v2
	v_mul_lo_u32 v8, v2, s8
	v_max_i32_e32 v5, v2, v3
	v_mul_hi_u32 v3, v4, s85
	s_delay_alu instid0(VALU_DEP_3) | instskip(NEXT) | instid1(VALU_DEP_3)
	v_sub_nc_u32_e32 v18, v0, v8
	v_mul_hi_u32 v6, v5, s83
	s_delay_alu instid0(VALU_DEP_3) | instskip(NEXT) | instid1(VALU_DEP_2)
	v_mul_lo_u32 v7, v3, s78
	v_mul_lo_u32 v6, v6, s77
	s_delay_alu instid0(VALU_DEP_1) | instskip(NEXT) | instid1(VALU_DEP_3)
	v_sub_nc_u32_e32 v5, v5, v6
	v_sub_nc_u32_e32 v6, v4, v7
	s_delay_alu instid0(VALU_DEP_2) | instskip(NEXT) | instid1(VALU_DEP_2)
	v_subrev_nc_u32_e32 v4, s77, v5
	v_subrev_nc_u32_e32 v7, s78, v6
	v_cmp_le_u32_e32 vcc_lo, s77, v5
	v_cmp_le_u32_e64 s0, s78, v6
	s_wait_alu 0xfffd
	v_cndmask_b32_e32 v4, v5, v4, vcc_lo
	s_wait_alu 0xf1ff
	s_delay_alu instid0(VALU_DEP_2) | instskip(SKIP_1) | instid1(VALU_DEP_2)
	v_cndmask_b32_e64 v5, v6, v7, s0
	s_and_not1_b32 vcc_lo, exec_lo, s72
	v_cmp_le_u32_e64 s2, s77, v4
	s_delay_alu instid0(VALU_DEP_2)
	v_cmp_le_u32_e64 s1, s78, v5
	s_wait_alu 0xfffe
	s_cbranch_vccnz .LBB77_5
; %bb.4:                                ;   in Loop: Header=BB77_3 Depth=1
	v_ashrrev_i32_e32 v19, 31, v18
	s_mov_b32 s56, 0
.LBB77_5:                               ;   in Loop: Header=BB77_3 Depth=1
	v_add_nc_u32_e32 v5, 1, v3
	v_ashrrev_i32_e32 v2, 31, v2
	s_wait_alu 0xfffe
	s_and_not1_b32 vcc_lo, exec_lo, s56
	s_delay_alu instid0(VALU_DEP_2) | instskip(SKIP_1) | instid1(VALU_DEP_2)
	v_cndmask_b32_e64 v3, v3, v5, s0
	v_subrev_nc_u32_e32 v5, s77, v4
	v_add_nc_u32_e32 v6, 1, v3
	s_delay_alu instid0(VALU_DEP_2) | instskip(SKIP_1) | instid1(VALU_DEP_3)
	v_cndmask_b32_e64 v4, v4, v5, s2
	v_xor_b32_e32 v5, s84, v1
	v_cndmask_b32_e64 v1, v3, v6, s1
	s_delay_alu instid0(VALU_DEP_3) | instskip(NEXT) | instid1(VALU_DEP_2)
	v_xor_b32_e32 v3, v4, v2
	v_xor_b32_e32 v4, v1, v5
	s_delay_alu instid0(VALU_DEP_2) | instskip(SKIP_2) | instid1(VALU_DEP_4)
	v_sub_nc_u32_e32 v21, v3, v2
	v_mov_b32_e32 v1, 0
	v_mov_b32_e32 v2, 0
	v_sub_nc_u32_e32 v20, v4, v5
	s_wait_alu 0xfffe
	s_cbranch_vccnz .LBB77_19
; %bb.6:                                ;   in Loop: Header=BB77_3 Depth=1
	v_ashrrev_i32_e32 v19, 31, v18
	s_delay_alu instid0(VALU_DEP_2)
	v_mul_lo_u32 v1, v20, s14
	v_mul_lo_u32 v2, v21, s15
	v_mad_co_u64_u32 v[3:4], null, s22, v18, s[12:13]
	v_mul_lo_u32 v7, s23, v18
	v_mul_lo_u32 v8, s22, v19
	s_mov_b32 s1, 0
	s_mov_b32 s2, s19
	v_subrev_nc_u32_e32 v5, s28, v1
	v_subrev_nc_u32_e32 v6, s29, v2
	v_mov_b32_e32 v1, 0
	v_mov_b32_e32 v2, 0
	v_add3_u32 v4, v7, v4, v8
	s_branch .LBB77_8
.LBB77_7:                               ;   in Loop: Header=BB77_8 Depth=2
	v_add_co_u32 v3, vcc_lo, v3, s34
	s_wait_alu 0xfffd
	v_add_co_ci_u32_e64 v4, null, s35, v4, vcc_lo
	s_add_co_i32 s1, s1, 1
	s_add_co_i32 s2, s2, s16
	s_wait_alu 0xfffe
	s_cmp_eq_u32 s1, s30
	s_cbranch_scc1 .LBB77_19
.LBB77_8:                               ;   Parent Loop BB77_3 Depth=1
                                        ; =>  This Loop Header: Depth=2
                                        ;       Child Loop BB77_11 Depth 3
                                        ;         Child Loop BB77_14 Depth 4
                                        ;           Child Loop BB77_17 Depth 5
	s_and_not1_b32 vcc_lo, exec_lo, s73
	s_wait_alu 0xfffe
	s_cbranch_vccnz .LBB77_7
; %bb.9:                                ;   in Loop: Header=BB77_8 Depth=2
	s_mul_i32 s0, s1, s16
	v_mov_b32_e32 v8, v4
	s_wait_alu 0xfffe
	s_add_co_i32 s0, s0, s19
	v_dual_mov_b32 v22, v5 :: v_dual_mov_b32 v7, v3
	s_wait_alu 0xfffe
	s_cmp_lt_i32 s0, 0
	s_mul_u64 s[56:57], s[42:43], s[2:3]
	s_cselect_b32 s60, -1, 0
	s_cmp_ge_i32 s0, s4
	s_mov_b32 s59, 0
	s_cselect_b32 s0, -1, 0
	s_wait_alu 0xfffe
	s_add_nc_u64 s[56:57], s[20:21], s[56:57]
	s_or_b32 s60, s60, s0
	s_branch .LBB77_11
.LBB77_10:                              ;   in Loop: Header=BB77_11 Depth=3
	v_add_co_u32 v7, vcc_lo, v7, s36
	s_wait_alu 0xfffd
	v_add_co_ci_u32_e64 v8, null, s37, v8, vcc_lo
	v_add_nc_u32_e32 v22, s17, v22
	s_add_co_i32 s59, s59, 1
	s_wait_alu 0xfffe
	s_cmp_eq_u32 s59, s31
	s_cbranch_scc1 .LBB77_7
.LBB77_11:                              ;   Parent Loop BB77_3 Depth=1
                                        ;     Parent Loop BB77_8 Depth=2
                                        ; =>    This Loop Header: Depth=3
                                        ;         Child Loop BB77_14 Depth 4
                                        ;           Child Loop BB77_17 Depth 5
	s_and_not1_b32 vcc_lo, exec_lo, s74
	s_wait_alu 0xfffe
	s_cbranch_vccnz .LBB77_10
; %bb.12:                               ;   in Loop: Header=BB77_11 Depth=3
	v_mad_co_u64_u32 v[9:10], null, s46, v22, s[56:57]
	v_mad_co_u64_u32 v[11:12], null, s59, s17, v[5:6]
	s_mov_b32 s61, 0
	v_mad_co_u64_u32 v[12:13], null, s47, v22, v[10:11]
	v_cmp_gt_i32_e32 vcc_lo, 0, v11
	v_cmp_le_i32_e64 s0, s5, v11
	s_delay_alu instid0(VALU_DEP_3)
	v_dual_mov_b32 v23, v6 :: v_dual_mov_b32 v10, v12
	v_dual_mov_b32 v12, v8 :: v_dual_mov_b32 v11, v7
	s_or_b32 s0, vcc_lo, s0
	s_wait_alu 0xfffe
	s_or_b32 s62, s60, s0
	s_branch .LBB77_14
.LBB77_13:                              ;   in Loop: Header=BB77_14 Depth=4
	v_add_co_u32 v11, vcc_lo, v11, s38
	s_wait_alu 0xfffd
	v_add_co_ci_u32_e64 v12, null, s39, v12, vcc_lo
	v_add_nc_u32_e32 v23, s18, v23
	s_add_co_i32 s61, s61, 1
	s_wait_alu 0xfffe
	s_cmp_eq_u32 s61, s33
	s_cbranch_scc1 .LBB77_10
.LBB77_14:                              ;   Parent Loop BB77_3 Depth=1
                                        ;     Parent Loop BB77_8 Depth=2
                                        ;       Parent Loop BB77_11 Depth=3
                                        ; =>      This Loop Header: Depth=4
                                        ;           Child Loop BB77_17 Depth 5
	s_and_not1_b32 vcc_lo, exec_lo, s75
	s_wait_alu 0xfffe
	s_cbranch_vccnz .LBB77_13
; %bb.15:                               ;   in Loop: Header=BB77_14 Depth=4
	v_mad_co_u64_u32 v[13:14], null, s54, v23, v[9:10]
	v_mad_co_u64_u32 v[15:16], null, s61, s18, v[6:7]
	s_mov_b32 s63, s9
	v_mad_co_u64_u32 v[24:25], null, s55, v23, v[14:15]
	v_cmp_gt_i32_e32 vcc_lo, 0, v15
	v_cmp_le_i32_e64 s0, s6, v15
	v_dual_mov_b32 v16, v12 :: v_dual_mov_b32 v15, v11
	s_delay_alu instid0(VALU_DEP_4)
	v_mov_b32_e32 v14, v24
	s_or_b32 s0, vcc_lo, s0
	s_wait_alu 0xfffe
	s_nor_b32 s0, s62, s0
	s_branch .LBB77_17
.LBB77_16:                              ;   in Loop: Header=BB77_17 Depth=5
	s_or_b32 exec_lo, exec_lo, s64
	v_add_co_u32 v15, vcc_lo, v15, s40
	s_wait_alu 0xfffd
	v_add_co_ci_u32_e64 v16, null, s41, v16, vcc_lo
	v_add_co_u32 v13, vcc_lo, v13, s52
	s_wait_alu 0xfffd
	v_add_co_ci_u32_e64 v14, null, s53, v14, vcc_lo
	s_add_co_i32 s63, s63, -1
	s_delay_alu instid0(SALU_CYCLE_1)
	s_cmp_eq_u32 s63, 0
	s_cbranch_scc1 .LBB77_13
.LBB77_17:                              ;   Parent Loop BB77_3 Depth=1
                                        ;     Parent Loop BB77_8 Depth=2
                                        ;       Parent Loop BB77_11 Depth=3
                                        ;         Parent Loop BB77_14 Depth=4
                                        ; =>        This Inner Loop Header: Depth=5
	s_wait_alu 0xfffe
	s_and_saveexec_b32 s64, s0
	s_cbranch_execz .LBB77_16
; %bb.18:                               ;   in Loop: Header=BB77_17 Depth=5
	global_load_u16 v24, v[13:14], off
	global_load_u16 v25, v[15:16], off
	s_wait_loadcnt 0x1
	v_cvt_f32_f16_e32 v24, v24
	s_wait_loadcnt 0x0
	v_cvt_f32_f16_e32 v26, v25
	s_delay_alu instid0(VALU_DEP_2) | instskip(NEXT) | instid1(VALU_DEP_2)
	v_cvt_f64_f32_e32 v[24:25], v24
	v_cvt_f64_f32_e32 v[26:27], v26
	s_delay_alu instid0(VALU_DEP_1)
	v_fma_f64 v[1:2], v[24:25], v[26:27], v[1:2]
	s_branch .LBB77_16
.LBB77_19:                              ;   in Loop: Header=BB77_3 Depth=1
	v_ashrrev_i32_e32 v5, 31, v21
	v_mul_lo_u32 v6, s49, v21
	v_mad_co_u64_u32 v[3:4], null, s48, v21, 0
	v_ashrrev_i32_e32 v7, 31, v20
	s_delay_alu instid0(VALU_DEP_4) | instskip(SKIP_2) | instid1(VALU_DEP_1)
	v_mul_lo_u32 v5, s48, v5
	s_and_b32 vcc_lo, exec_lo, s79
	s_mov_b32 s0, -1
	v_add3_u32 v4, v4, v5, v6
	v_mul_lo_u32 v5, s51, v20
	v_mul_lo_u32 v6, s50, v7
	s_delay_alu instid0(VALU_DEP_3) | instskip(NEXT) | instid1(VALU_DEP_1)
	v_mad_co_u64_u32 v[3:4], null, s50, v20, v[3:4]
	v_add3_u32 v4, v5, v4, v6
	v_mul_lo_u32 v5, v18, s45
	v_mul_lo_u32 v6, v19, s44
	s_delay_alu instid0(VALU_DEP_3) | instskip(NEXT) | instid1(VALU_DEP_1)
	v_mad_co_u64_u32 v[3:4], null, v18, s44, v[3:4]
	v_add3_u32 v4, v6, v4, v5
	s_wait_alu 0xfffe
	s_cbranch_vccz .LBB77_21
; %bb.20:                               ;   in Loop: Header=BB77_3 Depth=1
	s_delay_alu instid0(VALU_DEP_1) | instskip(SKIP_1) | instid1(VALU_DEP_1)
	v_lshlrev_b64_e32 v[5:6], 1, v[3:4]
	s_mov_b32 s0, 0
	v_add_co_u32 v5, vcc_lo, s10, v5
	s_wait_alu 0xfffd
	s_delay_alu instid0(VALU_DEP_2) | instskip(SKIP_3) | instid1(VALU_DEP_1)
	v_add_co_ci_u32_e64 v6, null, s11, v6, vcc_lo
	global_load_u16 v7, v[5:6], off
	s_wait_loadcnt 0x0
	v_cvt_f32_f16_e32 v7, v7
	v_cvt_f64_f32_e32 v[7:8], v7
	s_delay_alu instid0(VALU_DEP_1) | instskip(NEXT) | instid1(VALU_DEP_1)
	v_mul_f64_e32 v[7:8], s[26:27], v[7:8]
	v_fma_f64 v[7:8], s[24:25], v[1:2], v[7:8]
	s_delay_alu instid0(VALU_DEP_1) | instskip(SKIP_3) | instid1(VALU_DEP_4)
	v_and_or_b32 v7, 0x1ff, v8, v7
	v_lshrrev_b32_e32 v9, 8, v8
	v_bfe_u32 v10, v8, 20, 11
	v_lshrrev_b32_e32 v8, 16, v8
	v_cmp_ne_u32_e32 vcc_lo, 0, v7
	s_delay_alu instid0(VALU_DEP_3) | instskip(SKIP_2) | instid1(VALU_DEP_1)
	v_sub_nc_u32_e32 v11, 0x3f1, v10
	s_wait_alu 0xfffd
	v_cndmask_b32_e64 v7, 0, 1, vcc_lo
	v_and_or_b32 v7, 0xffe, v9, v7
	s_delay_alu instid0(VALU_DEP_3) | instskip(NEXT) | instid1(VALU_DEP_2)
	v_med3_i32 v9, v11, 0, 13
	v_or_b32_e32 v11, 0x1000, v7
	s_delay_alu instid0(VALU_DEP_1) | instskip(NEXT) | instid1(VALU_DEP_1)
	v_lshrrev_b32_e32 v12, v9, v11
	v_lshlrev_b32_e32 v9, v9, v12
	s_delay_alu instid0(VALU_DEP_1) | instskip(SKIP_2) | instid1(VALU_DEP_1)
	v_cmp_ne_u32_e32 vcc_lo, v9, v11
	s_wait_alu 0xfffd
	v_cndmask_b32_e64 v9, 0, 1, vcc_lo
	v_or_b32_e32 v9, v12, v9
	v_add_nc_u32_e32 v10, 0xfffffc10, v10
	s_delay_alu instid0(VALU_DEP_1) | instskip(SKIP_2) | instid1(VALU_DEP_2)
	v_lshl_or_b32 v11, v10, 12, v7
	v_cmp_gt_i32_e32 vcc_lo, 1, v10
	s_wait_alu 0xfffd
	v_cndmask_b32_e32 v9, v11, v9, vcc_lo
	s_delay_alu instid0(VALU_DEP_1) | instskip(SKIP_1) | instid1(VALU_DEP_2)
	v_and_b32_e32 v11, 7, v9
	v_lshrrev_b32_e32 v9, 2, v9
	v_cmp_lt_i32_e32 vcc_lo, 5, v11
	s_wait_alu 0xfffd
	v_cndmask_b32_e64 v12, 0, 1, vcc_lo
	v_cmp_eq_u32_e32 vcc_lo, 3, v11
	s_wait_alu 0xfffd
	v_cndmask_b32_e64 v11, 0, 1, vcc_lo
	v_cmp_ne_u32_e32 vcc_lo, 0, v7
	s_delay_alu instid0(VALU_DEP_2) | instskip(SKIP_3) | instid1(VALU_DEP_3)
	v_or_b32_e32 v11, v11, v12
	s_wait_alu 0xfffd
	v_cndmask_b32_e32 v7, 0x7c00, v17, vcc_lo
	v_cmp_gt_i32_e32 vcc_lo, 31, v10
	v_add_nc_u32_e32 v9, v9, v11
	s_wait_alu 0xfffd
	s_delay_alu instid0(VALU_DEP_1) | instskip(SKIP_2) | instid1(VALU_DEP_2)
	v_cndmask_b32_e32 v9, 0x7c00, v9, vcc_lo
	v_cmp_eq_u32_e32 vcc_lo, 0x40f, v10
	s_wait_alu 0xfffd
	v_cndmask_b32_e32 v7, v9, v7, vcc_lo
	s_delay_alu instid0(VALU_DEP_1)
	v_and_or_b32 v7, 0x8000, v8, v7
	global_store_b16 v[5:6], v7, off
.LBB77_21:                              ;   in Loop: Header=BB77_3 Depth=1
	s_wait_alu 0xfffe
	s_and_not1_b32 vcc_lo, exec_lo, s0
	s_wait_alu 0xfffe
	s_cbranch_vccnz .LBB77_2
; %bb.22:                               ;   in Loop: Header=BB77_3 Depth=1
	v_and_or_b32 v1, 0x1ff, v2, v1
	v_lshrrev_b32_e32 v5, 8, v2
	v_bfe_u32 v6, v2, 20, 11
	s_delay_alu instid0(VALU_DEP_3) | instskip(NEXT) | instid1(VALU_DEP_2)
	v_cmp_ne_u32_e32 vcc_lo, 0, v1
	v_sub_nc_u32_e32 v7, 0x3f1, v6
	s_wait_alu 0xfffd
	v_cndmask_b32_e64 v1, 0, 1, vcc_lo
	s_delay_alu instid0(VALU_DEP_1) | instskip(NEXT) | instid1(VALU_DEP_3)
	v_and_or_b32 v1, 0xffe, v5, v1
	v_med3_i32 v5, v7, 0, 13
	s_delay_alu instid0(VALU_DEP_2) | instskip(NEXT) | instid1(VALU_DEP_1)
	v_or_b32_e32 v7, 0x1000, v1
	v_lshrrev_b32_e32 v8, v5, v7
	s_delay_alu instid0(VALU_DEP_1) | instskip(NEXT) | instid1(VALU_DEP_1)
	v_lshlrev_b32_e32 v5, v5, v8
	v_cmp_ne_u32_e32 vcc_lo, v5, v7
	s_wait_alu 0xfffd
	v_cndmask_b32_e64 v5, 0, 1, vcc_lo
	s_delay_alu instid0(VALU_DEP_1) | instskip(SKIP_1) | instid1(VALU_DEP_1)
	v_or_b32_e32 v5, v8, v5
	v_add_nc_u32_e32 v6, 0xfffffc10, v6
	v_lshl_or_b32 v7, v6, 12, v1
	v_cmp_gt_i32_e32 vcc_lo, 1, v6
	s_wait_alu 0xfffd
	s_delay_alu instid0(VALU_DEP_2) | instskip(NEXT) | instid1(VALU_DEP_1)
	v_cndmask_b32_e32 v5, v7, v5, vcc_lo
	v_and_b32_e32 v7, 7, v5
	v_lshrrev_b32_e32 v5, 2, v5
	s_delay_alu instid0(VALU_DEP_2)
	v_cmp_lt_i32_e32 vcc_lo, 5, v7
	s_wait_alu 0xfffd
	v_cndmask_b32_e64 v8, 0, 1, vcc_lo
	v_cmp_eq_u32_e32 vcc_lo, 3, v7
	s_wait_alu 0xfffd
	v_cndmask_b32_e64 v7, 0, 1, vcc_lo
	v_cmp_ne_u32_e32 vcc_lo, 0, v1
	s_delay_alu instid0(VALU_DEP_2) | instskip(SKIP_3) | instid1(VALU_DEP_3)
	v_or_b32_e32 v7, v7, v8
	s_wait_alu 0xfffd
	v_cndmask_b32_e32 v1, 0x7c00, v17, vcc_lo
	v_cmp_gt_i32_e32 vcc_lo, 31, v6
	v_add_nc_u32_e32 v5, v5, v7
	v_lshrrev_b32_e32 v7, 16, v2
	s_wait_alu 0xfffd
	s_delay_alu instid0(VALU_DEP_2) | instskip(SKIP_2) | instid1(VALU_DEP_2)
	v_cndmask_b32_e32 v5, 0x7c00, v5, vcc_lo
	v_cmp_eq_u32_e32 vcc_lo, 0x40f, v6
	s_wait_alu 0xfffd
	v_cndmask_b32_e32 v5, v5, v1, vcc_lo
	v_lshlrev_b64_e32 v[1:2], 1, v[3:4]
	s_delay_alu instid0(VALU_DEP_2) | instskip(NEXT) | instid1(VALU_DEP_2)
	v_and_or_b32 v3, 0x8000, v7, v5
	v_add_co_u32 v1, vcc_lo, s10, v1
	s_wait_alu 0xfffd
	s_delay_alu instid0(VALU_DEP_3)
	v_add_co_ci_u32_e64 v2, null, s11, v2, vcc_lo
	global_store_b16 v[1:2], v3, off
	s_branch .LBB77_2
.LBB77_23:
	s_endpgm
	.section	.rodata,"a",@progbits
	.p2align	6, 0x0
	.amdhsa_kernel naive_conv_ab_nonpacked_fwd_ndhwc_half_double_half_0
		.amdhsa_group_segment_fixed_size 0
		.amdhsa_private_segment_fixed_size 0
		.amdhsa_kernarg_size 528
		.amdhsa_user_sgpr_count 2
		.amdhsa_user_sgpr_dispatch_ptr 0
		.amdhsa_user_sgpr_queue_ptr 0
		.amdhsa_user_sgpr_kernarg_segment_ptr 1
		.amdhsa_user_sgpr_dispatch_id 0
		.amdhsa_user_sgpr_private_segment_size 0
		.amdhsa_wavefront_size32 1
		.amdhsa_uses_dynamic_stack 0
		.amdhsa_enable_private_segment 0
		.amdhsa_system_sgpr_workgroup_id_x 1
		.amdhsa_system_sgpr_workgroup_id_y 0
		.amdhsa_system_sgpr_workgroup_id_z 0
		.amdhsa_system_sgpr_workgroup_info 0
		.amdhsa_system_vgpr_workitem_id 0
		.amdhsa_next_free_vgpr 28
		.amdhsa_next_free_sgpr 86
		.amdhsa_reserve_vcc 1
		.amdhsa_float_round_mode_32 0
		.amdhsa_float_round_mode_16_64 0
		.amdhsa_float_denorm_mode_32 3
		.amdhsa_float_denorm_mode_16_64 3
		.amdhsa_fp16_overflow 0
		.amdhsa_workgroup_processor_mode 1
		.amdhsa_memory_ordered 1
		.amdhsa_forward_progress 1
		.amdhsa_inst_pref_size 22
		.amdhsa_round_robin_scheduling 0
		.amdhsa_exception_fp_ieee_invalid_op 0
		.amdhsa_exception_fp_denorm_src 0
		.amdhsa_exception_fp_ieee_div_zero 0
		.amdhsa_exception_fp_ieee_overflow 0
		.amdhsa_exception_fp_ieee_underflow 0
		.amdhsa_exception_fp_ieee_inexact 0
		.amdhsa_exception_int_div_zero 0
	.end_amdhsa_kernel
	.text
.Lfunc_end77:
	.size	naive_conv_ab_nonpacked_fwd_ndhwc_half_double_half_0, .Lfunc_end77-naive_conv_ab_nonpacked_fwd_ndhwc_half_double_half_0
                                        ; -- End function
	.set naive_conv_ab_nonpacked_fwd_ndhwc_half_double_half_0.num_vgpr, 28
	.set naive_conv_ab_nonpacked_fwd_ndhwc_half_double_half_0.num_agpr, 0
	.set naive_conv_ab_nonpacked_fwd_ndhwc_half_double_half_0.numbered_sgpr, 86
	.set naive_conv_ab_nonpacked_fwd_ndhwc_half_double_half_0.num_named_barrier, 0
	.set naive_conv_ab_nonpacked_fwd_ndhwc_half_double_half_0.private_seg_size, 0
	.set naive_conv_ab_nonpacked_fwd_ndhwc_half_double_half_0.uses_vcc, 1
	.set naive_conv_ab_nonpacked_fwd_ndhwc_half_double_half_0.uses_flat_scratch, 0
	.set naive_conv_ab_nonpacked_fwd_ndhwc_half_double_half_0.has_dyn_sized_stack, 0
	.set naive_conv_ab_nonpacked_fwd_ndhwc_half_double_half_0.has_recursion, 0
	.set naive_conv_ab_nonpacked_fwd_ndhwc_half_double_half_0.has_indirect_call, 0
	.section	.AMDGPU.csdata,"",@progbits
; Kernel info:
; codeLenInByte = 2748
; TotalNumSgprs: 88
; NumVgprs: 28
; ScratchSize: 0
; MemoryBound: 0
; FloatMode: 240
; IeeeMode: 1
; LDSByteSize: 0 bytes/workgroup (compile time only)
; SGPRBlocks: 0
; VGPRBlocks: 3
; NumSGPRsForWavesPerEU: 88
; NumVGPRsForWavesPerEU: 28
; Occupancy: 16
; WaveLimiterHint : 1
; COMPUTE_PGM_RSRC2:SCRATCH_EN: 0
; COMPUTE_PGM_RSRC2:USER_SGPR: 2
; COMPUTE_PGM_RSRC2:TRAP_HANDLER: 0
; COMPUTE_PGM_RSRC2:TGID_X_EN: 1
; COMPUTE_PGM_RSRC2:TGID_Y_EN: 0
; COMPUTE_PGM_RSRC2:TGID_Z_EN: 0
; COMPUTE_PGM_RSRC2:TIDIG_COMP_CNT: 0
	.text
	.protected	naive_conv_ab_packed_fwd_ndhwc_ushort_double_ushort_0 ; -- Begin function naive_conv_ab_packed_fwd_ndhwc_ushort_double_ushort_0
	.globl	naive_conv_ab_packed_fwd_ndhwc_ushort_double_ushort_0
	.p2align	8
	.type	naive_conv_ab_packed_fwd_ndhwc_ushort_double_ushort_0,@function
naive_conv_ab_packed_fwd_ndhwc_ushort_double_ushort_0: ; @naive_conv_ab_packed_fwd_ndhwc_ushort_double_ushort_0
; %bb.0:
	s_load_b512 s[4:19], s[0:1], 0xb8
	s_mov_b32 s25, exec_lo
	s_wait_kmcnt 0x0
	s_abs_i32 s3, s10
	s_mul_i32 s52, s12, s8
	s_cvt_f32_u32 s2, s3
	s_mul_i32 s33, s52, s11
	s_delay_alu instid0(SALU_CYCLE_2) | instskip(NEXT) | instid1(TRANS32_DEP_1)
	v_rcp_iflag_f32_e32 v1, s2
	v_readfirstlane_b32 s2, v1
	s_mul_f32 s2, s2, 0x4f7ffffe
	s_wait_alu 0xfffe
	s_delay_alu instid0(SALU_CYCLE_2) | instskip(SKIP_2) | instid1(SALU_CYCLE_1)
	s_cvt_u32_f32 s20, s2
	s_sub_co_i32 s2, 0, s3
	s_wait_alu 0xfffe
	s_mul_i32 s2, s2, s20
	s_wait_alu 0xfffe
	s_mul_hi_u32 s21, s20, s2
	s_abs_i32 s2, ttmp9
	s_add_co_i32 s20, s20, s21
	s_wait_alu 0xfffe
	s_mul_hi_u32 s20, s2, s20
	s_delay_alu instid0(SALU_CYCLE_1) | instskip(SKIP_2) | instid1(SALU_CYCLE_1)
	s_mul_i32 s21, s20, s3
	s_add_co_i32 s22, s20, 1
	s_sub_co_i32 s21, s2, s21
	s_sub_co_i32 s23, s21, s3
	s_cmp_ge_u32 s21, s3
	s_cselect_b32 s20, s22, s20
	s_cselect_b32 s21, s23, s21
	s_add_co_i32 s22, s20, 1
	s_cmp_ge_u32 s21, s3
	s_mul_i32 s21, s10, s7
	s_cselect_b32 s22, s22, s20
	s_abs_i32 s20, s7
	s_abs_i32 s7, s21
	s_cvt_f32_u32 s3, s20
	s_cvt_f32_u32 s23, s7
	s_wait_alu 0xfffe
	s_delay_alu instid0(SALU_CYCLE_1) | instskip(NEXT) | instid1(SALU_CYCLE_1)
	v_rcp_iflag_f32_e32 v1, s3
	v_rcp_iflag_f32_e32 v2, s23
	s_mov_b32 s3, 0
	s_delay_alu instid0(TRANS32_DEP_2) | instskip(NEXT) | instid1(TRANS32_DEP_1)
	v_readfirstlane_b32 s24, v1
	v_readfirstlane_b32 s23, v2
	v_cmpx_gt_i32_e64 s33, v0
	s_cbranch_execz .LBB78_23
; %bb.1:
	s_mul_f32 s24, s24, 0x4f7ffffe
	s_ashr_i32 s26, ttmp9, 31
	s_ashr_i32 s45, s10, 31
	s_sub_co_i32 s25, 0, s20
	s_cvt_u32_f32 s24, s24
	s_xor_b32 s27, s26, s45
	s_mul_f32 s28, s23, 0x4f7ffffe
	s_xor_b32 s22, s22, s27
	s_mul_i32 s25, s25, s24
	s_wait_alu 0xfffe
	s_sub_co_i32 s27, s22, s27
	s_mul_hi_u32 s23, s24, s25
	s_abs_i32 s22, s27
	s_wait_alu 0xfffe
	s_add_co_i32 s24, s24, s23
	s_mov_b32 s23, s3
	s_cvt_u32_f32 s28, s28
	s_mov_b32 s25, s3
	s_sub_co_i32 s29, 0, s7
	s_wait_alu 0xfffe
	s_mul_u64 s[24:25], s[22:23], s[24:25]
	s_mul_i32 s29, s29, s28
	s_mul_i32 s25, s25, s20
	s_ashr_i32 s23, s27, 31
	s_mul_hi_u32 s24, s28, s29
	s_mul_i32 s27, s27, s10
	s_sub_co_i32 s22, s22, s25
	s_ashr_i32 s21, s21, 31
	s_add_co_i32 s24, s28, s24
	s_sub_co_i32 s46, ttmp9, s27
	s_wait_alu 0xfffe
	s_sub_co_i32 s27, s22, s20
	s_cmp_ge_u32 s22, s20
	s_mov_b32 s25, s3
	s_cselect_b32 s22, s27, s22
	s_mul_u64 s[28:29], s[2:3], s[24:25]
	s_wait_alu 0xfffe
	s_sub_co_i32 s24, s22, s20
	s_cmp_ge_u32 s22, s20
	s_load_b64 s[34:35], s[0:1], 0x108
	s_cselect_b32 s20, s24, s22
	s_xor_b32 s37, s26, s21
	s_xor_b32 s20, s20, s23
	s_add_co_i32 s28, s29, 1
	s_sub_co_i32 s50, s20, s23
	s_mul_i32 s20, s29, s7
	s_mov_b32 s44, s10
	s_sub_co_i32 s2, s2, s20
	s_load_b256 s[20:27], s[0:1], 0x0
	s_sub_co_i32 s30, s2, s7
	s_cmp_ge_u32 s2, s7
	s_mov_b32 s60, s11
	s_cselect_b32 s36, s28, s29
	s_cselect_b32 s2, s30, s2
	s_load_b128 s[28:31], s[0:1], 0xf8
	s_add_co_i32 s38, s36, 1
	s_cmp_ge_u32 s2, s7
	s_mov_b32 s10, s12
	s_cselect_b32 s2, s38, s36
	s_wait_kmcnt 0x0
	s_mul_i32 s36, s35, s8
	s_wait_alu 0xfffe
	s_xor_b32 s2, s2, s37
	s_ashr_i32 s51, s50, 31
	s_ashr_i32 s61, s11, 31
	;; [unrolled: 1-line block ×3, first 2 shown]
	s_wait_alu 0xfffe
	s_sub_co_i32 s56, s2, s37
	s_mul_u64 s[62:63], s[50:51], s[44:45]
	s_mul_u64 s[60:61], s[10:11], s[60:61]
	s_ashr_i32 s47, s46, 31
	s_ashr_i32 s37, s36, 31
	;; [unrolled: 1-line block ×4, first 2 shown]
	s_mov_b32 s42, s8
	s_add_nc_u64 s[62:63], s[62:63], s[46:47]
	s_mul_u64 s[60:61], s[60:61], s[36:37]
	s_mul_i32 s58, s35, s9
	s_mul_u64 s[48:49], s[56:57], s[42:43]
	s_mul_u64 s[60:61], s[60:61], s[62:63]
	s_ashr_i32 s39, s4, 31
	s_ashr_i32 s41, s5, 31
	s_ashr_i32 s7, s6, 31
	s_ashr_i32 s59, s58, 31
	s_ashr_i32 s55, s9, 31
	s_ashr_i32 s45, s30, 31
	s_ashr_i32 s47, s31, 31
	s_ashr_i32 s35, s34, 31
	s_lshl_b64 s[66:67], s[60:61], 1
	s_lshl_b64 s[48:49], s[48:49], 1
	s_cmp_lt_i32 s30, 1
	s_mul_i32 s2, s46, s13
	s_cselect_b32 s11, -1, 0
	s_wait_alu 0xfffe
	s_sub_co_i32 s19, s2, s19
	v_cmp_neq_f64_e64 s2, s[24:25], 1.0
	v_cmp_neq_f64_e64 s13, s[26:27], 0
	s_cmp_gt_i32 s31, 0
	s_load_b32 s53, s[0:1], 0x11c
	s_cselect_b32 s42, -1, 0
	s_cmp_gt_i32 s34, 0
	s_load_b64 s[0:1], s[0:1], 0x20
	s_cselect_b32 s60, -1, 0
	s_cmp_gt_i32 s9, 0
	s_mov_b32 s40, s5
	s_cselect_b32 s61, -1, 0
	s_abs_i32 s62, s8
	s_abs_i32 s63, s12
	s_cvt_f32_u32 s38, s62
	s_abs_i32 s64, s52
	s_mov_b32 s54, s9
	s_cvt_f32_u32 s44, s64
	v_rcp_iflag_f32_e32 v1, s38
	s_mov_b32 s38, s4
	s_cvt_f32_u32 s4, s63
	v_rcp_iflag_f32_e32 v2, s44
	s_mov_b32 s44, s30
	s_mov_b32 s46, s31
	s_ashr_i32 s69, s52, 31
	s_wait_kmcnt 0x0
	s_add_nc_u64 s[0:1], s[0:1], s[66:67]
	s_delay_alu instid0(TRANS32_DEP_2) | instskip(SKIP_4) | instid1(SALU_CYCLE_3)
	v_readfirstlane_b32 s12, v1
	v_rcp_iflag_f32_e32 v1, s4
	s_add_nc_u64 s[4:5], s[0:1], s[48:49]
	s_and_b32 s66, s53, 0xffff
	s_mul_f32 s12, s12, 0x4f7ffffe
	s_cvt_u32_f32 s0, s12
	v_readfirstlane_b32 s12, v2
	s_delay_alu instid0(TRANS32_DEP_1)
	v_readfirstlane_b32 s1, v1
	s_or_b32 s65, s2, s13
	s_sub_co_i32 s2, 0, s62
	s_wait_alu 0xfffe
	s_mul_i32 s2, s2, s0
	s_mul_f32 s1, s1, 0x4f7ffffe
	s_mul_f32 s12, s12, 0x4f7ffffe
	s_wait_alu 0xfffe
	s_mul_hi_u32 s2, s0, s2
	s_cvt_u32_f32 s1, s1
	s_wait_alu 0xfffe
	s_add_co_i32 s67, s0, s2
	s_sub_co_i32 s0, 0, s63
	s_cvt_u32_f32 s2, s12
	s_mul_i32 s0, s0, s1
	s_sub_co_i32 s12, 0, s64
	s_mul_hi_u32 s0, s1, s0
	s_wait_alu 0xfffe
	s_mul_i32 s12, s12, s2
	s_add_co_i32 s68, s1, s0
	s_mul_hi_u32 s30, s2, s12
	s_mul_u64 s[0:1], s[54:55], s[56:57]
	s_mul_u64 s[12:13], s[6:7], s[40:41]
	s_lshl_b64 s[0:1], s[0:1], 1
	s_mul_u64 s[52:53], s[12:13], s[38:39]
	s_add_co_i32 s70, s2, s30
	s_mul_u64 s[30:31], s[34:35], s[46:47]
	s_add_nc_u64 s[12:13], s[20:21], s[0:1]
	s_mul_u64 s[0:1], s[52:53], s[50:51]
	s_mul_u64 s[50:51], s[30:31], s[54:55]
	s_lshl_b64 s[20:21], s[0:1], 1
	s_mul_u64 s[0:1], s[34:35], s[54:55]
	s_mul_u64 s[30:31], s[50:51], s[44:45]
	s_lshl_b64 s[50:51], s[50:51], 1
	s_lshl_b64 s[52:53], s[0:1], 1
	;; [unrolled: 1-line block ×3, first 2 shown]
	s_mov_b32 s35, 0
	s_branch .LBB78_3
.LBB78_2:                               ;   in Loop: Header=BB78_3 Depth=1
	v_add_nc_u32_e32 v0, s66, v0
	s_delay_alu instid0(VALU_DEP_1) | instskip(SKIP_1) | instid1(SALU_CYCLE_1)
	v_cmp_le_i32_e32 vcc_lo, s33, v0
	s_or_b32 s35, vcc_lo, s35
	s_and_not1_b32 exec_lo, exec_lo, s35
	s_cbranch_execz .LBB78_23
.LBB78_3:                               ; =>This Loop Header: Depth=1
                                        ;     Child Loop BB78_8 Depth 2
                                        ;       Child Loop BB78_11 Depth 3
                                        ;         Child Loop BB78_14 Depth 4
                                        ;           Child Loop BB78_17 Depth 5
	v_sub_nc_u32_e32 v1, 0, v0
	s_mov_b32 s39, -1
	s_delay_alu instid0(VALU_DEP_1) | instskip(NEXT) | instid1(VALU_DEP_1)
	v_max_i32_e32 v1, v0, v1
	v_mul_hi_u32 v2, v1, s67
	s_delay_alu instid0(VALU_DEP_1) | instskip(NEXT) | instid1(VALU_DEP_1)
	v_mul_lo_u32 v3, v2, s62
	v_sub_nc_u32_e32 v4, v1, v3
	s_delay_alu instid0(VALU_DEP_1) | instskip(SKIP_2) | instid1(VALU_DEP_2)
	v_subrev_nc_u32_e32 v5, s62, v4
	v_cmp_le_u32_e32 vcc_lo, s62, v4
	s_wait_alu 0xfffd
	v_dual_cndmask_b32 v4, v4, v5 :: v_dual_add_nc_u32 v3, 1, v2
	s_delay_alu instid0(VALU_DEP_1) | instskip(SKIP_1) | instid1(VALU_DEP_3)
	v_cndmask_b32_e32 v2, v2, v3, vcc_lo
	v_ashrrev_i32_e32 v3, 31, v0
	v_cmp_le_u32_e32 vcc_lo, s62, v4
	s_delay_alu instid0(VALU_DEP_3) | instskip(NEXT) | instid1(VALU_DEP_3)
	v_add_nc_u32_e32 v5, 1, v2
	v_xor_b32_e32 v6, s43, v3
	s_wait_alu 0xfffd
	s_delay_alu instid0(VALU_DEP_2) | instskip(SKIP_1) | instid1(VALU_DEP_2)
	v_cndmask_b32_e32 v2, v2, v5, vcc_lo
	v_mul_hi_u32 v5, v1, s70
	v_xor_b32_e32 v2, v2, v6
	s_delay_alu instid0(VALU_DEP_2) | instskip(NEXT) | instid1(VALU_DEP_2)
	v_mul_lo_u32 v7, v5, s64
	v_sub_nc_u32_e32 v4, v2, v6
	s_delay_alu instid0(VALU_DEP_1) | instskip(SKIP_1) | instid1(VALU_DEP_4)
	v_sub_nc_u32_e32 v2, 0, v4
	v_mul_lo_u32 v8, v4, s8
	v_sub_nc_u32_e32 v1, v1, v7
	s_delay_alu instid0(VALU_DEP_3) | instskip(NEXT) | instid1(VALU_DEP_2)
	v_max_i32_e32 v2, v4, v2
	v_subrev_nc_u32_e32 v7, s64, v1
	v_cmp_le_u32_e64 s0, s64, v1
	s_delay_alu instid0(VALU_DEP_3) | instskip(NEXT) | instid1(VALU_DEP_1)
	v_mul_hi_u32 v6, v2, s68
	v_mul_lo_u32 v6, v6, s63
	s_delay_alu instid0(VALU_DEP_1) | instskip(NEXT) | instid1(VALU_DEP_1)
	v_sub_nc_u32_e32 v2, v2, v6
	v_subrev_nc_u32_e32 v6, s63, v2
	v_cmp_le_u32_e32 vcc_lo, s63, v2
	s_wait_alu 0xfffd
	s_delay_alu instid0(VALU_DEP_2)
	v_cndmask_b32_e32 v6, v2, v6, vcc_lo
	s_wait_alu 0xf1ff
	v_cndmask_b32_e64 v2, v1, v7, s0
	v_sub_nc_u32_e32 v1, v0, v8
	s_and_not1_b32 vcc_lo, exec_lo, s11
	v_cmp_le_u32_e64 s2, s63, v6
	s_delay_alu instid0(VALU_DEP_3)
	v_cmp_le_u32_e64 s1, s64, v2
	s_wait_alu 0xfffe
	s_cbranch_vccnz .LBB78_5
; %bb.4:                                ;   in Loop: Header=BB78_3 Depth=1
	v_ashrrev_i32_e32 v2, 31, v1
	s_mov_b32 s39, 0
.LBB78_5:                               ;   in Loop: Header=BB78_3 Depth=1
	v_add_nc_u32_e32 v7, 1, v5
	v_ashrrev_i32_e32 v4, 31, v4
	s_wait_alu 0xfffe
	s_and_not1_b32 vcc_lo, exec_lo, s39
	s_delay_alu instid0(VALU_DEP_2) | instskip(SKIP_1) | instid1(VALU_DEP_2)
	v_cndmask_b32_e64 v5, v5, v7, s0
	v_subrev_nc_u32_e32 v7, s63, v6
	v_add_nc_u32_e32 v8, 1, v5
	s_delay_alu instid0(VALU_DEP_2) | instskip(SKIP_1) | instid1(VALU_DEP_3)
	v_cndmask_b32_e64 v6, v6, v7, s2
	v_xor_b32_e32 v7, s69, v3
	v_cndmask_b32_e64 v3, v5, v8, s1
	s_delay_alu instid0(VALU_DEP_3) | instskip(NEXT) | instid1(VALU_DEP_2)
	v_xor_b32_e32 v5, v6, v4
	v_xor_b32_e32 v6, v3, v7
	s_delay_alu instid0(VALU_DEP_2) | instskip(SKIP_2) | instid1(VALU_DEP_4)
	v_sub_nc_u32_e32 v5, v5, v4
	v_mov_b32_e32 v3, 0
	v_mov_b32_e32 v4, 0
	v_sub_nc_u32_e32 v20, v6, v7
	s_wait_alu 0xfffe
	s_cbranch_vccnz .LBB78_19
; %bb.6:                                ;   in Loop: Header=BB78_3 Depth=1
	v_ashrrev_i32_e32 v2, 31, v1
	s_delay_alu instid0(VALU_DEP_2) | instskip(SKIP_4) | instid1(VALU_DEP_3)
	v_mul_lo_u32 v8, v20, s14
	v_mul_lo_u32 v9, v5, s15
	s_mov_b32 s1, 0
	s_mov_b32 s2, s19
	v_lshlrev_b64_e32 v[3:4], 1, v[1:2]
	v_subrev_nc_u32_e32 v8, s28, v8
	s_delay_alu instid0(VALU_DEP_3) | instskip(NEXT) | instid1(VALU_DEP_3)
	v_subrev_nc_u32_e32 v9, s29, v9
	v_add_co_u32 v3, vcc_lo, s48, v3
	s_wait_alu 0xfffd
	s_delay_alu instid0(VALU_DEP_4) | instskip(NEXT) | instid1(VALU_DEP_2)
	v_add_co_ci_u32_e64 v4, null, s49, v4, vcc_lo
	v_mul_lo_u32 v11, s31, v3
	v_mad_co_u64_u32 v[6:7], null, s30, v3, s[22:23]
	s_delay_alu instid0(VALU_DEP_3) | instskip(SKIP_2) | instid1(VALU_DEP_3)
	v_mul_lo_u32 v10, s30, v4
	v_mov_b32_e32 v3, 0
	v_mov_b32_e32 v4, 0
	v_add3_u32 v7, v11, v7, v10
	s_branch .LBB78_8
.LBB78_7:                               ;   in Loop: Header=BB78_8 Depth=2
	v_add_co_u32 v6, vcc_lo, v6, s50
	s_wait_alu 0xfffd
	v_add_co_ci_u32_e64 v7, null, s51, v7, vcc_lo
	s_add_co_i32 s1, s1, 1
	s_add_co_i32 s2, s2, s16
	s_wait_alu 0xfffe
	s_cmp_eq_u32 s1, s44
	s_cbranch_scc1 .LBB78_19
.LBB78_8:                               ;   Parent Loop BB78_3 Depth=1
                                        ; =>  This Loop Header: Depth=2
                                        ;       Child Loop BB78_11 Depth 3
                                        ;         Child Loop BB78_14 Depth 4
                                        ;           Child Loop BB78_17 Depth 5
	s_and_not1_b32 vcc_lo, exec_lo, s42
	s_wait_alu 0xfffe
	s_cbranch_vccnz .LBB78_7
; %bb.9:                                ;   in Loop: Header=BB78_8 Depth=2
	s_mul_i32 s0, s1, s16
	v_dual_mov_b32 v11, v7 :: v_dual_mov_b32 v10, v6
	s_wait_alu 0xfffe
	s_add_co_i32 s0, s0, s19
	v_mov_b32_e32 v21, v8
	s_wait_alu 0xfffe
	s_cmp_lt_i32 s0, 0
	s_mul_u64 s[56:57], s[40:41], s[2:3]
	s_cselect_b32 s45, -1, 0
	s_cmp_ge_i32 s0, s38
	s_mov_b32 s39, 0
	s_cselect_b32 s0, -1, 0
	s_wait_alu 0xfffe
	s_or_b32 s45, s45, s0
	s_branch .LBB78_11
.LBB78_10:                              ;   in Loop: Header=BB78_11 Depth=3
	v_add_co_u32 v10, vcc_lo, v10, s52
	v_add_nc_u32_e32 v21, s17, v21
	s_wait_alu 0xfffd
	v_add_co_ci_u32_e64 v11, null, s53, v11, vcc_lo
	s_add_co_i32 s39, s39, 1
	s_wait_alu 0xfffe
	s_cmp_eq_u32 s39, s46
	s_cbranch_scc1 .LBB78_7
.LBB78_11:                              ;   Parent Loop BB78_3 Depth=1
                                        ;     Parent Loop BB78_8 Depth=2
                                        ; =>    This Loop Header: Depth=3
                                        ;         Child Loop BB78_14 Depth 4
                                        ;           Child Loop BB78_17 Depth 5
	s_and_not1_b32 vcc_lo, exec_lo, s60
	s_wait_alu 0xfffe
	s_cbranch_vccnz .LBB78_10
; %bb.12:                               ;   in Loop: Header=BB78_11 Depth=3
	v_add_co_u32 v12, s0, s56, v21
	s_wait_alu 0xf1ff
	v_add_co_ci_u32_e64 v13, null, s57, 0, s0
	v_mad_co_u64_u32 v[14:15], null, s39, s17, v[8:9]
	s_delay_alu instid0(VALU_DEP_3) | instskip(NEXT) | instid1(VALU_DEP_3)
	v_mul_lo_u32 v16, s7, v12
	v_mul_lo_u32 v17, s6, v13
	v_mad_co_u64_u32 v[12:13], null, s6, v12, 0
	v_mov_b32_e32 v22, v9
	s_mov_b32 s47, 0
	v_cmp_gt_i32_e32 vcc_lo, 0, v14
	v_cmp_le_i32_e64 s0, s40, v14
	v_dual_mov_b32 v15, v11 :: v_dual_mov_b32 v14, v10
	v_add3_u32 v13, v13, v17, v16
	s_or_b32 s0, vcc_lo, s0
	s_wait_alu 0xfffe
	s_or_b32 s71, s45, s0
	s_branch .LBB78_14
.LBB78_13:                              ;   in Loop: Header=BB78_14 Depth=4
	v_add_co_u32 v14, vcc_lo, v14, s54
	v_add_nc_u32_e32 v22, s18, v22
	s_wait_alu 0xfffd
	v_add_co_ci_u32_e64 v15, null, s55, v15, vcc_lo
	s_add_co_i32 s47, s47, 1
	s_wait_alu 0xfffe
	s_cmp_eq_u32 s47, s34
	s_cbranch_scc1 .LBB78_10
.LBB78_14:                              ;   Parent Loop BB78_3 Depth=1
                                        ;     Parent Loop BB78_8 Depth=2
                                        ;       Parent Loop BB78_11 Depth=3
                                        ; =>      This Loop Header: Depth=4
                                        ;           Child Loop BB78_17 Depth 5
	s_and_not1_b32 vcc_lo, exec_lo, s61
	s_wait_alu 0xfffe
	s_cbranch_vccnz .LBB78_13
; %bb.15:                               ;   in Loop: Header=BB78_14 Depth=4
	v_add_co_u32 v16, vcc_lo, v12, v22
	s_wait_alu 0xfffd
	v_add_co_ci_u32_e64 v17, null, 0, v13, vcc_lo
	v_mad_co_u64_u32 v[18:19], null, s47, s18, v[9:10]
	s_mov_b32 s72, s9
	v_lshlrev_b64_e32 v[16:17], 1, v[16:17]
	v_cmp_le_i32_e64 s0, s6, v18
	s_delay_alu instid0(VALU_DEP_2) | instskip(SKIP_1) | instid1(VALU_DEP_3)
	v_add_co_u32 v16, vcc_lo, s20, v16
	s_wait_alu 0xfffd
	v_add_co_ci_u32_e64 v17, null, s21, v17, vcc_lo
	v_cmp_gt_i32_e32 vcc_lo, 0, v18
	s_delay_alu instid0(VALU_DEP_3) | instskip(NEXT) | instid1(VALU_DEP_3)
	v_mul_lo_u32 v23, s59, v16
	v_mul_lo_u32 v19, s58, v17
	v_mad_co_u64_u32 v[16:17], null, s58, v16, s[12:13]
	s_or_b32 s0, vcc_lo, s0
	s_wait_alu 0xfffe
	s_nor_b32 s0, s71, s0
	v_add3_u32 v17, v23, v17, v19
	v_dual_mov_b32 v19, v15 :: v_dual_mov_b32 v18, v14
	s_branch .LBB78_17
.LBB78_16:                              ;   in Loop: Header=BB78_17 Depth=5
	s_or_b32 exec_lo, exec_lo, s73
	v_add_co_u32 v16, vcc_lo, v16, 2
	s_wait_alu 0xfffd
	v_add_co_ci_u32_e64 v17, null, 0, v17, vcc_lo
	v_add_co_u32 v18, vcc_lo, v18, 2
	s_wait_alu 0xfffd
	v_add_co_ci_u32_e64 v19, null, 0, v19, vcc_lo
	s_add_co_i32 s72, s72, -1
	s_delay_alu instid0(SALU_CYCLE_1)
	s_cmp_eq_u32 s72, 0
	s_cbranch_scc1 .LBB78_13
.LBB78_17:                              ;   Parent Loop BB78_3 Depth=1
                                        ;     Parent Loop BB78_8 Depth=2
                                        ;       Parent Loop BB78_11 Depth=3
                                        ;         Parent Loop BB78_14 Depth=4
                                        ; =>        This Inner Loop Header: Depth=5
	s_wait_alu 0xfffe
	s_and_saveexec_b32 s73, s0
	s_cbranch_execz .LBB78_16
; %bb.18:                               ;   in Loop: Header=BB78_17 Depth=5
	global_load_u16 v23, v[18:19], off
	global_load_u16 v24, v[16:17], off
	s_wait_loadcnt 0x1
	v_lshlrev_b32_e32 v23, 16, v23
	s_wait_loadcnt 0x0
	v_lshlrev_b32_e32 v25, 16, v24
	s_delay_alu instid0(VALU_DEP_2) | instskip(NEXT) | instid1(VALU_DEP_2)
	v_cvt_f64_f32_e32 v[23:24], v23
	v_cvt_f64_f32_e32 v[25:26], v25
	s_delay_alu instid0(VALU_DEP_1)
	v_fma_f64 v[3:4], v[25:26], v[23:24], v[3:4]
	s_branch .LBB78_16
.LBB78_19:                              ;   in Loop: Header=BB78_3 Depth=1
	v_ashrrev_i32_e32 v6, 31, v5
	s_and_b32 vcc_lo, exec_lo, s65
	s_mov_b32 s0, -1
	s_delay_alu instid0(VALU_DEP_1) | instskip(NEXT) | instid1(VALU_DEP_1)
	v_mad_co_i64_i32 v[5:6], null, v20, s10, v[5:6]
	v_mul_lo_u32 v7, v5, s37
	s_delay_alu instid0(VALU_DEP_2) | instskip(SKIP_1) | instid1(VALU_DEP_1)
	v_mul_lo_u32 v6, v6, s36
	v_mad_co_u64_u32 v[1:2], null, v5, s36, v[1:2]
	v_add3_u32 v2, v6, v2, v7
	s_wait_alu 0xfffe
	s_cbranch_vccz .LBB78_21
; %bb.20:                               ;   in Loop: Header=BB78_3 Depth=1
	s_delay_alu instid0(VALU_DEP_1) | instskip(NEXT) | instid1(VALU_DEP_1)
	v_lshlrev_b64_e32 v[5:6], 1, v[1:2]
	v_add_co_u32 v5, vcc_lo, s4, v5
	s_wait_alu 0xfffd
	s_delay_alu instid0(VALU_DEP_2) | instskip(SKIP_3) | instid1(VALU_DEP_1)
	v_add_co_ci_u32_e64 v6, null, s5, v6, vcc_lo
	global_load_u16 v7, v[5:6], off
	s_wait_loadcnt 0x0
	v_lshlrev_b32_e32 v7, 16, v7
	v_cvt_f64_f32_e32 v[7:8], v7
	s_delay_alu instid0(VALU_DEP_1) | instskip(NEXT) | instid1(VALU_DEP_1)
	v_mul_f64_e32 v[7:8], s[26:27], v[7:8]
	v_fma_f64 v[7:8], s[24:25], v[3:4], v[7:8]
	s_delay_alu instid0(VALU_DEP_1) | instskip(NEXT) | instid1(VALU_DEP_1)
	v_cvt_f32_f64_e32 v7, v[7:8]
	v_and_b32_e32 v8, 0x7f800000, v7
	v_and_b32_e32 v9, 0xffff, v7
	v_lshrrev_b32_e32 v7, 16, v7
	s_delay_alu instid0(VALU_DEP_3) | instskip(NEXT) | instid1(VALU_DEP_3)
	v_cmp_eq_u32_e32 vcc_lo, 0x7f800000, v8
	v_cmp_ne_u32_e64 s0, 0, v9
	s_and_b32 s0, vcc_lo, s0
	s_wait_alu 0xfffe
	v_cndmask_b32_e64 v8, 0, 1, s0
	s_mov_b32 s0, 0
	s_delay_alu instid0(VALU_DEP_1)
	v_or_b32_e32 v7, v7, v8
	global_store_b16 v[5:6], v7, off
.LBB78_21:                              ;   in Loop: Header=BB78_3 Depth=1
	s_wait_alu 0xfffe
	s_and_not1_b32 vcc_lo, exec_lo, s0
	s_wait_alu 0xfffe
	s_cbranch_vccnz .LBB78_2
; %bb.22:                               ;   in Loop: Header=BB78_3 Depth=1
	v_cvt_f32_f64_e32 v3, v[3:4]
	v_lshlrev_b64_e32 v[1:2], 1, v[1:2]
	s_delay_alu instid0(VALU_DEP_2) | instskip(SKIP_2) | instid1(VALU_DEP_3)
	v_and_b32_e32 v4, 0x7f800000, v3
	v_and_b32_e32 v5, 0xffff, v3
	v_lshrrev_b32_e32 v3, 16, v3
	v_cmp_eq_u32_e32 vcc_lo, 0x7f800000, v4
	s_delay_alu instid0(VALU_DEP_3)
	v_cmp_ne_u32_e64 s0, 0, v5
	s_and_b32 s0, vcc_lo, s0
	v_add_co_u32 v1, vcc_lo, s4, v1
	s_wait_alu 0xfffe
	v_cndmask_b32_e64 v4, 0, 1, s0
	s_wait_alu 0xfffd
	v_add_co_ci_u32_e64 v2, null, s5, v2, vcc_lo
	s_delay_alu instid0(VALU_DEP_2)
	v_or_b32_e32 v3, v3, v4
	global_store_b16 v[1:2], v3, off
	s_branch .LBB78_2
.LBB78_23:
	s_endpgm
	.section	.rodata,"a",@progbits
	.p2align	6, 0x0
	.amdhsa_kernel naive_conv_ab_packed_fwd_ndhwc_ushort_double_ushort_0
		.amdhsa_group_segment_fixed_size 0
		.amdhsa_private_segment_fixed_size 0
		.amdhsa_kernarg_size 528
		.amdhsa_user_sgpr_count 2
		.amdhsa_user_sgpr_dispatch_ptr 0
		.amdhsa_user_sgpr_queue_ptr 0
		.amdhsa_user_sgpr_kernarg_segment_ptr 1
		.amdhsa_user_sgpr_dispatch_id 0
		.amdhsa_user_sgpr_private_segment_size 0
		.amdhsa_wavefront_size32 1
		.amdhsa_uses_dynamic_stack 0
		.amdhsa_enable_private_segment 0
		.amdhsa_system_sgpr_workgroup_id_x 1
		.amdhsa_system_sgpr_workgroup_id_y 0
		.amdhsa_system_sgpr_workgroup_id_z 0
		.amdhsa_system_sgpr_workgroup_info 0
		.amdhsa_system_vgpr_workitem_id 0
		.amdhsa_next_free_vgpr 27
		.amdhsa_next_free_sgpr 74
		.amdhsa_reserve_vcc 1
		.amdhsa_float_round_mode_32 0
		.amdhsa_float_round_mode_16_64 0
		.amdhsa_float_denorm_mode_32 3
		.amdhsa_float_denorm_mode_16_64 3
		.amdhsa_fp16_overflow 0
		.amdhsa_workgroup_processor_mode 1
		.amdhsa_memory_ordered 1
		.amdhsa_forward_progress 1
		.amdhsa_inst_pref_size 19
		.amdhsa_round_robin_scheduling 0
		.amdhsa_exception_fp_ieee_invalid_op 0
		.amdhsa_exception_fp_denorm_src 0
		.amdhsa_exception_fp_ieee_div_zero 0
		.amdhsa_exception_fp_ieee_overflow 0
		.amdhsa_exception_fp_ieee_underflow 0
		.amdhsa_exception_fp_ieee_inexact 0
		.amdhsa_exception_int_div_zero 0
	.end_amdhsa_kernel
	.text
.Lfunc_end78:
	.size	naive_conv_ab_packed_fwd_ndhwc_ushort_double_ushort_0, .Lfunc_end78-naive_conv_ab_packed_fwd_ndhwc_ushort_double_ushort_0
                                        ; -- End function
	.set naive_conv_ab_packed_fwd_ndhwc_ushort_double_ushort_0.num_vgpr, 27
	.set naive_conv_ab_packed_fwd_ndhwc_ushort_double_ushort_0.num_agpr, 0
	.set naive_conv_ab_packed_fwd_ndhwc_ushort_double_ushort_0.numbered_sgpr, 74
	.set naive_conv_ab_packed_fwd_ndhwc_ushort_double_ushort_0.num_named_barrier, 0
	.set naive_conv_ab_packed_fwd_ndhwc_ushort_double_ushort_0.private_seg_size, 0
	.set naive_conv_ab_packed_fwd_ndhwc_ushort_double_ushort_0.uses_vcc, 1
	.set naive_conv_ab_packed_fwd_ndhwc_ushort_double_ushort_0.uses_flat_scratch, 0
	.set naive_conv_ab_packed_fwd_ndhwc_ushort_double_ushort_0.has_dyn_sized_stack, 0
	.set naive_conv_ab_packed_fwd_ndhwc_ushort_double_ushort_0.has_recursion, 0
	.set naive_conv_ab_packed_fwd_ndhwc_ushort_double_ushort_0.has_indirect_call, 0
	.section	.AMDGPU.csdata,"",@progbits
; Kernel info:
; codeLenInByte = 2412
; TotalNumSgprs: 76
; NumVgprs: 27
; ScratchSize: 0
; MemoryBound: 0
; FloatMode: 240
; IeeeMode: 1
; LDSByteSize: 0 bytes/workgroup (compile time only)
; SGPRBlocks: 0
; VGPRBlocks: 3
; NumSGPRsForWavesPerEU: 76
; NumVGPRsForWavesPerEU: 27
; Occupancy: 16
; WaveLimiterHint : 1
; COMPUTE_PGM_RSRC2:SCRATCH_EN: 0
; COMPUTE_PGM_RSRC2:USER_SGPR: 2
; COMPUTE_PGM_RSRC2:TRAP_HANDLER: 0
; COMPUTE_PGM_RSRC2:TGID_X_EN: 1
; COMPUTE_PGM_RSRC2:TGID_Y_EN: 0
; COMPUTE_PGM_RSRC2:TGID_Z_EN: 0
; COMPUTE_PGM_RSRC2:TIDIG_COMP_CNT: 0
	.text
	.protected	naive_conv_ab_nonpacked_fwd_ndhwc_ushort_double_ushort_0 ; -- Begin function naive_conv_ab_nonpacked_fwd_ndhwc_ushort_double_ushort_0
	.globl	naive_conv_ab_nonpacked_fwd_ndhwc_ushort_double_ushort_0
	.p2align	8
	.type	naive_conv_ab_nonpacked_fwd_ndhwc_ushort_double_ushort_0,@function
naive_conv_ab_nonpacked_fwd_ndhwc_ushort_double_ushort_0: ; @naive_conv_ab_nonpacked_fwd_ndhwc_ushort_double_ushort_0
; %bb.0:
	s_load_b512 s[4:19], s[0:1], 0xb8
	s_mov_b32 s24, exec_lo
	s_wait_kmcnt 0x0
	s_abs_i32 s3, s10
	s_mul_i32 s34, s12, s8
	s_cvt_f32_u32 s2, s3
	s_delay_alu instid0(SALU_CYCLE_3) | instskip(NEXT) | instid1(TRANS32_DEP_1)
	v_rcp_iflag_f32_e32 v1, s2
	v_readfirstlane_b32 s2, v1
	s_mul_f32 s2, s2, 0x4f7ffffe
	s_wait_alu 0xfffe
	s_delay_alu instid0(SALU_CYCLE_2) | instskip(SKIP_2) | instid1(SALU_CYCLE_1)
	s_cvt_u32_f32 s20, s2
	s_sub_co_i32 s2, 0, s3
	s_wait_alu 0xfffe
	s_mul_i32 s2, s2, s20
	s_wait_alu 0xfffe
	s_mul_hi_u32 s21, s20, s2
	s_abs_i32 s2, ttmp9
	s_add_co_i32 s20, s20, s21
	s_wait_alu 0xfffe
	s_mul_hi_u32 s20, s2, s20
	s_delay_alu instid0(SALU_CYCLE_1) | instskip(SKIP_2) | instid1(SALU_CYCLE_1)
	s_mul_i32 s21, s20, s3
	s_add_co_i32 s22, s20, 1
	s_sub_co_i32 s21, s2, s21
	s_sub_co_i32 s23, s21, s3
	s_cmp_ge_u32 s21, s3
	s_cselect_b32 s20, s22, s20
	s_cselect_b32 s21, s23, s21
	s_add_co_i32 s22, s20, 1
	s_cmp_ge_u32 s21, s3
	s_mul_i32 s21, s10, s7
	s_cselect_b32 s22, s22, s20
	s_abs_i32 s20, s7
	s_abs_i32 s33, s21
	s_cvt_f32_u32 s3, s20
	s_cvt_f32_u32 s7, s33
	s_wait_alu 0xfffe
	s_delay_alu instid0(SALU_CYCLE_1) | instskip(NEXT) | instid1(SALU_CYCLE_1)
	v_rcp_iflag_f32_e32 v1, s3
	v_rcp_iflag_f32_e32 v2, s7
	s_mul_i32 s7, s34, s11
	s_mov_b32 s3, 0
	s_delay_alu instid0(TRANS32_DEP_2) | instskip(NEXT) | instid1(TRANS32_DEP_1)
	v_readfirstlane_b32 s23, v1
	v_readfirstlane_b32 s11, v2
	s_wait_alu 0xfffe
	v_cmpx_gt_i32_e64 s7, v0
	s_cbranch_execz .LBB79_23
; %bb.1:
	s_mul_f32 s23, s23, 0x4f7ffffe
	s_ashr_i32 s26, ttmp9, 31
	s_ashr_i32 s24, s10, 31
	s_mul_f32 s11, s11, 0x4f7ffffe
	s_cvt_u32_f32 s23, s23
	s_sub_co_i32 s25, 0, s20
	s_xor_b32 s24, s26, s24
	s_cvt_u32_f32 s11, s11
	s_xor_b32 s22, s22, s24
	s_mul_i32 s25, s25, s23
	s_sub_co_i32 s27, s22, s24
	s_mul_hi_u32 s24, s23, s25
	s_sub_co_i32 s28, 0, s33
	s_abs_i32 s22, s27
	s_add_co_i32 s24, s23, s24
	s_mov_b32 s23, s3
	s_mov_b32 s25, s3
	s_mul_i32 s28, s28, s11
	s_mul_u64 s[24:25], s[22:23], s[24:25]
	s_mul_hi_u32 s24, s11, s28
	s_ashr_i32 s23, s27, 31
	s_add_co_i32 s24, s11, s24
	s_mul_i32 s11, s25, s20
	s_mul_i32 s27, s27, s10
	s_sub_co_i32 s11, s22, s11
	s_ashr_i32 s21, s21, 31
	s_sub_co_i32 s10, ttmp9, s27
	s_sub_co_i32 s22, s11, s20
	s_cmp_ge_u32 s11, s20
	s_mov_b32 s25, s3
	s_cselect_b32 s11, s22, s11
	s_mul_u64 s[56:57], s[2:3], s[24:25]
	s_sub_co_i32 s22, s11, s20
	s_cmp_ge_u32 s11, s20
	s_load_b512 s[36:51], s[0:1], 0x68
	s_cselect_b32 s11, s22, s11
	s_clause 0x1
	s_load_b128 s[28:31], s[0:1], 0xf8
	s_load_b128 s[52:55], s[0:1], 0xa8
	s_xor_b32 s11, s11, s23
	s_xor_b32 s35, s26, s21
	s_sub_co_i32 s68, s11, s23
	s_mul_i32 s11, s57, s33
	s_load_b256 s[20:27], s[0:1], 0x0
	s_sub_co_i32 s2, s2, s11
	s_add_co_i32 s11, s57, 1
	s_wait_alu 0xfffe
	s_sub_co_i32 s56, s2, s33
	s_cmp_ge_u32 s2, s33
	s_cselect_b32 s11, s11, s57
	s_cselect_b32 s2, s56, s2
	s_add_co_i32 s56, s11, 1
	s_wait_alu 0xfffe
	s_cmp_ge_u32 s2, s33
	s_load_b32 s33, s[0:1], 0x108
	s_cselect_b32 s2, s56, s11
	s_ashr_i32 s69, s68, 31
	s_wait_alu 0xfffe
	s_xor_b32 s2, s2, s35
	s_ashr_i32 s11, s10, 31
	s_wait_alu 0xfffe
	s_sub_co_i32 s70, s2, s35
	s_wait_kmcnt 0x0
	s_mul_u64 s[54:55], s[54:55], s[68:69]
	s_ashr_i32 s71, s70, 31
	s_mul_u64 s[52:53], s[52:53], s[10:11]
	s_mul_u64 s[46:47], s[46:47], s[70:71]
	s_lshl_b64 s[54:55], s[54:55], 1
	s_lshl_b64 s[80:81], s[52:53], 1
	;; [unrolled: 1-line block ×3, first 2 shown]
	s_cmp_lt_i32 s30, 1
	v_cmp_neq_f64_e64 s2, s[24:25], 1.0
	v_cmp_neq_f64_e64 s35, s[26:27], 0
	s_mul_i32 s10, s10, s13
	s_cselect_b32 s72, -1, 0
	s_sub_co_i32 s19, s10, s19
	s_cmp_gt_i32 s31, 0
	s_clause 0x1
	s_load_b32 s13, s[0:1], 0x11c
	s_load_b64 s[10:11], s[0:1], 0x20
	s_cselect_b32 s73, -1, 0
	s_cmp_gt_i32 s33, 0
	s_cselect_b32 s74, -1, 0
	s_cmp_gt_i32 s9, 0
	s_cselect_b32 s75, -1, 0
	s_abs_i32 s76, s8
	s_abs_i32 s77, s12
	s_cvt_f32_u32 s52, s76
	s_cvt_f32_u32 s12, s77
	s_abs_i32 s78, s34
	s_ashr_i32 s84, s34, 31
	v_rcp_iflag_f32_e32 v1, s52
	v_rcp_iflag_f32_e32 v2, s12
	s_cvt_f32_u32 s12, s78
	s_lshl_b64 s[36:37], s[36:37], 1
	s_wait_kmcnt 0x0
	s_add_nc_u64 s[10:11], s[10:11], s[54:55]
	s_load_b512 s[52:67], s[0:1], 0x28
	s_add_nc_u64 s[0:1], s[10:11], s[80:81]
	s_and_b32 s80, s13, 0xffff
	s_delay_alu instid0(TRANS32_DEP_2)
	v_readfirstlane_b32 s79, v1
	v_rcp_iflag_f32_e32 v1, s12
	s_add_nc_u64 s[10:11], s[0:1], s[46:47]
	v_readfirstlane_b32 s1, v2
	s_sub_co_i32 s13, 0, s77
	s_mul_f32 s0, s79, 0x4f7ffffe
	s_ashr_i32 s81, s8, 31
	s_mul_f32 s1, s1, 0x4f7ffffe
	s_delay_alu instid0(SALU_CYCLE_1) | instskip(SKIP_1) | instid1(TRANS32_DEP_1)
	s_cvt_u32_f32 s0, s0
	s_or_b32 s79, s2, s35
	v_readfirstlane_b32 s12, v1
	s_sub_co_i32 s2, 0, s76
	s_cvt_u32_f32 s1, s1
	s_wait_alu 0xfffe
	s_mul_i32 s2, s2, s0
	s_lshl_b64 s[34:35], s[38:39], 1
	s_mul_f32 s12, s12, 0x4f7ffffe
	s_wait_alu 0xfffe
	s_mul_hi_u32 s2, s0, s2
	s_mul_i32 s13, s13, s1
	s_wait_alu 0xfffe
	s_add_co_i32 s82, s0, s2
	s_mul_hi_u32 s0, s1, s13
	s_cvt_u32_f32 s2, s12
	s_add_co_i32 s83, s1, s0
	s_sub_co_i32 s0, 0, s78
	s_wait_kmcnt 0x0
	s_mul_u64 s[38:39], s[62:63], s[68:69]
	s_wait_alu 0xfffe
	s_mul_i32 s12, s0, s2
	s_mul_u64 s[0:1], s[42:43], s[70:71]
	s_wait_alu 0xfffe
	s_mul_hi_u32 s12, s2, s12
	s_lshl_b64 s[0:1], s[0:1], 1
	s_wait_alu 0xfffe
	s_add_co_i32 s85, s2, s12
	s_add_nc_u64 s[12:13], s[22:23], s[0:1]
	s_mul_u64 s[0:1], s[54:55], s[70:71]
	s_lshl_b64 s[22:23], s[40:41], 1
	s_lshl_b64 s[0:1], s[0:1], 1
	;; [unrolled: 1-line block ×4, first 2 shown]
	s_add_nc_u64 s[0:1], s[0:1], s[40:41]
	s_lshl_b64 s[40:41], s[64:65], 1
	s_add_nc_u64 s[20:21], s[20:21], s[0:1]
	s_lshl_b64 s[42:43], s[60:61], 1
	s_lshl_b64 s[46:47], s[58:59], 1
	;; [unrolled: 1-line block ×4, first 2 shown]
	s_mov_b32 s58, 0
	s_branch .LBB79_3
.LBB79_2:                               ;   in Loop: Header=BB79_3 Depth=1
	v_add_nc_u32_e32 v0, s80, v0
	s_delay_alu instid0(VALU_DEP_1)
	v_cmp_le_i32_e32 vcc_lo, s7, v0
	s_or_b32 s58, vcc_lo, s58
	s_wait_alu 0xfffe
	s_and_not1_b32 exec_lo, exec_lo, s58
	s_cbranch_execz .LBB79_23
.LBB79_3:                               ; =>This Loop Header: Depth=1
                                        ;     Child Loop BB79_8 Depth 2
                                        ;       Child Loop BB79_11 Depth 3
                                        ;         Child Loop BB79_14 Depth 4
                                        ;           Child Loop BB79_17 Depth 5
	v_sub_nc_u32_e32 v1, 0, v0
	s_mov_b32 s56, -1
                                        ; implicit-def: $vgpr18
	s_delay_alu instid0(VALU_DEP_1) | instskip(NEXT) | instid1(VALU_DEP_1)
	v_max_i32_e32 v4, v0, v1
	v_mul_hi_u32 v1, v4, s82
	s_delay_alu instid0(VALU_DEP_1) | instskip(SKIP_1) | instid1(VALU_DEP_2)
	v_mul_lo_u32 v2, v1, s76
	v_add_nc_u32_e32 v3, 1, v1
	v_sub_nc_u32_e32 v2, v4, v2
	s_delay_alu instid0(VALU_DEP_1) | instskip(SKIP_2) | instid1(VALU_DEP_2)
	v_subrev_nc_u32_e32 v5, s76, v2
	v_cmp_le_u32_e32 vcc_lo, s76, v2
	s_wait_alu 0xfffd
	v_dual_cndmask_b32 v3, v1, v3 :: v_dual_cndmask_b32 v2, v2, v5
	v_ashrrev_i32_e32 v1, 31, v0
	s_delay_alu instid0(VALU_DEP_2) | instskip(NEXT) | instid1(VALU_DEP_3)
	v_add_nc_u32_e32 v5, 1, v3
	v_cmp_le_u32_e32 vcc_lo, s76, v2
	s_delay_alu instid0(VALU_DEP_3) | instskip(SKIP_1) | instid1(VALU_DEP_3)
	v_xor_b32_e32 v6, s81, v1
	s_wait_alu 0xfffd
	v_cndmask_b32_e32 v2, v3, v5, vcc_lo
	s_delay_alu instid0(VALU_DEP_1) | instskip(NEXT) | instid1(VALU_DEP_1)
	v_xor_b32_e32 v2, v2, v6
	v_sub_nc_u32_e32 v2, v2, v6
	s_delay_alu instid0(VALU_DEP_1) | instskip(SKIP_1) | instid1(VALU_DEP_2)
	v_sub_nc_u32_e32 v3, 0, v2
	v_mul_lo_u32 v8, v2, s8
	v_max_i32_e32 v5, v2, v3
	v_mul_hi_u32 v3, v4, s85
	s_delay_alu instid0(VALU_DEP_3) | instskip(NEXT) | instid1(VALU_DEP_3)
	v_sub_nc_u32_e32 v17, v0, v8
	v_mul_hi_u32 v6, v5, s83
	s_delay_alu instid0(VALU_DEP_3) | instskip(NEXT) | instid1(VALU_DEP_2)
	v_mul_lo_u32 v7, v3, s78
	v_mul_lo_u32 v6, v6, s77
	s_delay_alu instid0(VALU_DEP_1) | instskip(NEXT) | instid1(VALU_DEP_3)
	v_sub_nc_u32_e32 v5, v5, v6
	v_sub_nc_u32_e32 v6, v4, v7
	s_delay_alu instid0(VALU_DEP_2) | instskip(NEXT) | instid1(VALU_DEP_2)
	v_subrev_nc_u32_e32 v4, s77, v5
	v_subrev_nc_u32_e32 v7, s78, v6
	v_cmp_le_u32_e32 vcc_lo, s77, v5
	v_cmp_le_u32_e64 s0, s78, v6
	s_wait_alu 0xfffd
	v_cndmask_b32_e32 v4, v5, v4, vcc_lo
	s_wait_alu 0xf1ff
	s_delay_alu instid0(VALU_DEP_2) | instskip(SKIP_1) | instid1(VALU_DEP_2)
	v_cndmask_b32_e64 v5, v6, v7, s0
	s_and_not1_b32 vcc_lo, exec_lo, s72
	v_cmp_le_u32_e64 s2, s77, v4
	s_delay_alu instid0(VALU_DEP_2)
	v_cmp_le_u32_e64 s1, s78, v5
	s_wait_alu 0xfffe
	s_cbranch_vccnz .LBB79_5
; %bb.4:                                ;   in Loop: Header=BB79_3 Depth=1
	v_ashrrev_i32_e32 v18, 31, v17
	s_mov_b32 s56, 0
.LBB79_5:                               ;   in Loop: Header=BB79_3 Depth=1
	v_add_nc_u32_e32 v5, 1, v3
	v_ashrrev_i32_e32 v2, 31, v2
	s_wait_alu 0xfffe
	s_and_not1_b32 vcc_lo, exec_lo, s56
	s_delay_alu instid0(VALU_DEP_2) | instskip(SKIP_1) | instid1(VALU_DEP_2)
	v_cndmask_b32_e64 v3, v3, v5, s0
	v_subrev_nc_u32_e32 v5, s77, v4
	v_add_nc_u32_e32 v6, 1, v3
	s_delay_alu instid0(VALU_DEP_2) | instskip(SKIP_1) | instid1(VALU_DEP_3)
	v_cndmask_b32_e64 v4, v4, v5, s2
	v_xor_b32_e32 v5, s84, v1
	v_cndmask_b32_e64 v1, v3, v6, s1
	s_delay_alu instid0(VALU_DEP_3) | instskip(NEXT) | instid1(VALU_DEP_2)
	v_xor_b32_e32 v3, v4, v2
	v_xor_b32_e32 v4, v1, v5
	s_delay_alu instid0(VALU_DEP_2) | instskip(SKIP_2) | instid1(VALU_DEP_4)
	v_sub_nc_u32_e32 v20, v3, v2
	v_mov_b32_e32 v1, 0
	v_mov_b32_e32 v2, 0
	v_sub_nc_u32_e32 v19, v4, v5
	s_wait_alu 0xfffe
	s_cbranch_vccnz .LBB79_19
; %bb.6:                                ;   in Loop: Header=BB79_3 Depth=1
	v_ashrrev_i32_e32 v18, 31, v17
	s_delay_alu instid0(VALU_DEP_2)
	v_mul_lo_u32 v1, v19, s14
	v_mul_lo_u32 v2, v20, s15
	v_mad_co_u64_u32 v[3:4], null, s22, v17, s[12:13]
	v_mul_lo_u32 v7, s23, v17
	v_mul_lo_u32 v8, s22, v18
	s_mov_b32 s1, 0
	s_mov_b32 s2, s19
	v_subrev_nc_u32_e32 v5, s28, v1
	v_subrev_nc_u32_e32 v6, s29, v2
	v_mov_b32_e32 v1, 0
	v_mov_b32_e32 v2, 0
	v_add3_u32 v4, v7, v4, v8
	s_branch .LBB79_8
.LBB79_7:                               ;   in Loop: Header=BB79_8 Depth=2
	v_add_co_u32 v3, vcc_lo, v3, s34
	s_wait_alu 0xfffd
	v_add_co_ci_u32_e64 v4, null, s35, v4, vcc_lo
	s_add_co_i32 s1, s1, 1
	s_add_co_i32 s2, s2, s16
	s_wait_alu 0xfffe
	s_cmp_eq_u32 s1, s30
	s_cbranch_scc1 .LBB79_19
.LBB79_8:                               ;   Parent Loop BB79_3 Depth=1
                                        ; =>  This Loop Header: Depth=2
                                        ;       Child Loop BB79_11 Depth 3
                                        ;         Child Loop BB79_14 Depth 4
                                        ;           Child Loop BB79_17 Depth 5
	s_and_not1_b32 vcc_lo, exec_lo, s73
	s_wait_alu 0xfffe
	s_cbranch_vccnz .LBB79_7
; %bb.9:                                ;   in Loop: Header=BB79_8 Depth=2
	s_mul_i32 s0, s1, s16
	v_dual_mov_b32 v21, v5 :: v_dual_mov_b32 v8, v4
	s_wait_alu 0xfffe
	s_add_co_i32 s0, s0, s19
	v_mov_b32_e32 v7, v3
	s_wait_alu 0xfffe
	s_cmp_lt_i32 s0, 0
	s_mul_u64 s[56:57], s[42:43], s[2:3]
	s_cselect_b32 s60, -1, 0
	s_cmp_ge_i32 s0, s4
	s_mov_b32 s59, 0
	s_cselect_b32 s0, -1, 0
	s_wait_alu 0xfffe
	s_add_nc_u64 s[56:57], s[20:21], s[56:57]
	s_or_b32 s60, s60, s0
	s_branch .LBB79_11
.LBB79_10:                              ;   in Loop: Header=BB79_11 Depth=3
	v_add_co_u32 v7, vcc_lo, v7, s36
	s_wait_alu 0xfffd
	v_add_co_ci_u32_e64 v8, null, s37, v8, vcc_lo
	v_add_nc_u32_e32 v21, s17, v21
	s_add_co_i32 s59, s59, 1
	s_wait_alu 0xfffe
	s_cmp_eq_u32 s59, s31
	s_cbranch_scc1 .LBB79_7
.LBB79_11:                              ;   Parent Loop BB79_3 Depth=1
                                        ;     Parent Loop BB79_8 Depth=2
                                        ; =>    This Loop Header: Depth=3
                                        ;         Child Loop BB79_14 Depth 4
                                        ;           Child Loop BB79_17 Depth 5
	s_and_not1_b32 vcc_lo, exec_lo, s74
	s_wait_alu 0xfffe
	s_cbranch_vccnz .LBB79_10
; %bb.12:                               ;   in Loop: Header=BB79_11 Depth=3
	v_mad_co_u64_u32 v[9:10], null, s46, v21, s[56:57]
	v_mad_co_u64_u32 v[11:12], null, s59, s17, v[5:6]
	v_mov_b32_e32 v22, v6
	s_mov_b32 s61, 0
	s_delay_alu instid0(VALU_DEP_2)
	v_mad_co_u64_u32 v[12:13], null, s47, v21, v[10:11]
	v_cmp_gt_i32_e32 vcc_lo, 0, v11
	v_cmp_le_i32_e64 s0, s5, v11
	s_or_b32 s0, vcc_lo, s0
	v_mov_b32_e32 v10, v12
	v_dual_mov_b32 v12, v8 :: v_dual_mov_b32 v11, v7
	s_wait_alu 0xfffe
	s_or_b32 s62, s60, s0
	s_branch .LBB79_14
.LBB79_13:                              ;   in Loop: Header=BB79_14 Depth=4
	v_add_co_u32 v11, vcc_lo, v11, s38
	s_wait_alu 0xfffd
	v_add_co_ci_u32_e64 v12, null, s39, v12, vcc_lo
	v_add_nc_u32_e32 v22, s18, v22
	s_add_co_i32 s61, s61, 1
	s_wait_alu 0xfffe
	s_cmp_eq_u32 s61, s33
	s_cbranch_scc1 .LBB79_10
.LBB79_14:                              ;   Parent Loop BB79_3 Depth=1
                                        ;     Parent Loop BB79_8 Depth=2
                                        ;       Parent Loop BB79_11 Depth=3
                                        ; =>      This Loop Header: Depth=4
                                        ;           Child Loop BB79_17 Depth 5
	s_and_not1_b32 vcc_lo, exec_lo, s75
	s_wait_alu 0xfffe
	s_cbranch_vccnz .LBB79_13
; %bb.15:                               ;   in Loop: Header=BB79_14 Depth=4
	v_mad_co_u64_u32 v[13:14], null, s54, v22, v[9:10]
	v_mad_co_u64_u32 v[15:16], null, s61, s18, v[6:7]
	s_mov_b32 s63, s9
	v_mad_co_u64_u32 v[23:24], null, s55, v22, v[14:15]
	v_cmp_gt_i32_e32 vcc_lo, 0, v15
	v_cmp_le_i32_e64 s0, s6, v15
	v_dual_mov_b32 v16, v12 :: v_dual_mov_b32 v15, v11
	s_delay_alu instid0(VALU_DEP_4)
	v_mov_b32_e32 v14, v23
	s_or_b32 s0, vcc_lo, s0
	s_wait_alu 0xfffe
	s_nor_b32 s0, s62, s0
	s_branch .LBB79_17
.LBB79_16:                              ;   in Loop: Header=BB79_17 Depth=5
	s_or_b32 exec_lo, exec_lo, s64
	v_add_co_u32 v15, vcc_lo, v15, s40
	s_wait_alu 0xfffd
	v_add_co_ci_u32_e64 v16, null, s41, v16, vcc_lo
	v_add_co_u32 v13, vcc_lo, v13, s52
	s_wait_alu 0xfffd
	v_add_co_ci_u32_e64 v14, null, s53, v14, vcc_lo
	s_add_co_i32 s63, s63, -1
	s_delay_alu instid0(SALU_CYCLE_1)
	s_cmp_eq_u32 s63, 0
	s_cbranch_scc1 .LBB79_13
.LBB79_17:                              ;   Parent Loop BB79_3 Depth=1
                                        ;     Parent Loop BB79_8 Depth=2
                                        ;       Parent Loop BB79_11 Depth=3
                                        ;         Parent Loop BB79_14 Depth=4
                                        ; =>        This Inner Loop Header: Depth=5
	s_wait_alu 0xfffe
	s_and_saveexec_b32 s64, s0
	s_cbranch_execz .LBB79_16
; %bb.18:                               ;   in Loop: Header=BB79_17 Depth=5
	global_load_u16 v23, v[15:16], off
	global_load_u16 v24, v[13:14], off
	s_wait_loadcnt 0x1
	v_lshlrev_b32_e32 v23, 16, v23
	s_wait_loadcnt 0x0
	v_lshlrev_b32_e32 v25, 16, v24
	s_delay_alu instid0(VALU_DEP_2) | instskip(NEXT) | instid1(VALU_DEP_2)
	v_cvt_f64_f32_e32 v[23:24], v23
	v_cvt_f64_f32_e32 v[25:26], v25
	s_delay_alu instid0(VALU_DEP_1)
	v_fma_f64 v[1:2], v[25:26], v[23:24], v[1:2]
	s_branch .LBB79_16
.LBB79_19:                              ;   in Loop: Header=BB79_3 Depth=1
	v_ashrrev_i32_e32 v5, 31, v20
	v_mul_lo_u32 v6, s49, v20
	v_mad_co_u64_u32 v[3:4], null, s48, v20, 0
	v_ashrrev_i32_e32 v7, 31, v19
	s_delay_alu instid0(VALU_DEP_4) | instskip(SKIP_2) | instid1(VALU_DEP_1)
	v_mul_lo_u32 v5, s48, v5
	s_and_b32 vcc_lo, exec_lo, s79
	s_mov_b32 s0, -1
	v_add3_u32 v4, v4, v5, v6
	v_mul_lo_u32 v5, s51, v19
	v_mul_lo_u32 v6, s50, v7
	s_delay_alu instid0(VALU_DEP_3) | instskip(NEXT) | instid1(VALU_DEP_1)
	v_mad_co_u64_u32 v[3:4], null, s50, v19, v[3:4]
	v_add3_u32 v4, v5, v4, v6
	v_mul_lo_u32 v5, v17, s45
	v_mul_lo_u32 v6, v18, s44
	s_delay_alu instid0(VALU_DEP_3) | instskip(NEXT) | instid1(VALU_DEP_1)
	v_mad_co_u64_u32 v[3:4], null, v17, s44, v[3:4]
	v_add3_u32 v4, v6, v4, v5
	s_wait_alu 0xfffe
	s_cbranch_vccz .LBB79_21
; %bb.20:                               ;   in Loop: Header=BB79_3 Depth=1
	s_delay_alu instid0(VALU_DEP_1) | instskip(NEXT) | instid1(VALU_DEP_1)
	v_lshlrev_b64_e32 v[5:6], 1, v[3:4]
	v_add_co_u32 v5, vcc_lo, s10, v5
	s_wait_alu 0xfffd
	s_delay_alu instid0(VALU_DEP_2) | instskip(SKIP_3) | instid1(VALU_DEP_1)
	v_add_co_ci_u32_e64 v6, null, s11, v6, vcc_lo
	global_load_u16 v7, v[5:6], off
	s_wait_loadcnt 0x0
	v_lshlrev_b32_e32 v7, 16, v7
	v_cvt_f64_f32_e32 v[7:8], v7
	s_delay_alu instid0(VALU_DEP_1) | instskip(NEXT) | instid1(VALU_DEP_1)
	v_mul_f64_e32 v[7:8], s[26:27], v[7:8]
	v_fma_f64 v[7:8], s[24:25], v[1:2], v[7:8]
	s_delay_alu instid0(VALU_DEP_1) | instskip(NEXT) | instid1(VALU_DEP_1)
	v_cvt_f32_f64_e32 v7, v[7:8]
	v_and_b32_e32 v8, 0x7f800000, v7
	v_and_b32_e32 v9, 0xffff, v7
	v_lshrrev_b32_e32 v7, 16, v7
	s_delay_alu instid0(VALU_DEP_3) | instskip(NEXT) | instid1(VALU_DEP_3)
	v_cmp_eq_u32_e32 vcc_lo, 0x7f800000, v8
	v_cmp_ne_u32_e64 s0, 0, v9
	s_and_b32 s0, vcc_lo, s0
	s_wait_alu 0xfffe
	v_cndmask_b32_e64 v8, 0, 1, s0
	s_mov_b32 s0, 0
	s_delay_alu instid0(VALU_DEP_1)
	v_or_b32_e32 v7, v7, v8
	global_store_b16 v[5:6], v7, off
.LBB79_21:                              ;   in Loop: Header=BB79_3 Depth=1
	s_wait_alu 0xfffe
	s_and_not1_b32 vcc_lo, exec_lo, s0
	s_wait_alu 0xfffe
	s_cbranch_vccnz .LBB79_2
; %bb.22:                               ;   in Loop: Header=BB79_3 Depth=1
	v_cvt_f32_f64_e32 v1, v[1:2]
	s_delay_alu instid0(VALU_DEP_1) | instskip(SKIP_1) | instid1(VALU_DEP_2)
	v_and_b32_e32 v2, 0x7f800000, v1
	v_and_b32_e32 v5, 0xffff, v1
	v_cmp_eq_u32_e32 vcc_lo, 0x7f800000, v2
	s_delay_alu instid0(VALU_DEP_2)
	v_cmp_ne_u32_e64 s0, 0, v5
	v_lshrrev_b32_e32 v5, 16, v1
	v_lshlrev_b64_e32 v[1:2], 1, v[3:4]
	s_and_b32 s0, vcc_lo, s0
	s_wait_alu 0xfffe
	v_cndmask_b32_e64 v6, 0, 1, s0
	s_delay_alu instid0(VALU_DEP_2) | instskip(SKIP_2) | instid1(VALU_DEP_3)
	v_add_co_u32 v1, vcc_lo, s10, v1
	s_wait_alu 0xfffd
	v_add_co_ci_u32_e64 v2, null, s11, v2, vcc_lo
	v_or_b32_e32 v3, v5, v6
	global_store_b16 v[1:2], v3, off
	s_branch .LBB79_2
.LBB79_23:
	s_endpgm
	.section	.rodata,"a",@progbits
	.p2align	6, 0x0
	.amdhsa_kernel naive_conv_ab_nonpacked_fwd_ndhwc_ushort_double_ushort_0
		.amdhsa_group_segment_fixed_size 0
		.amdhsa_private_segment_fixed_size 0
		.amdhsa_kernarg_size 528
		.amdhsa_user_sgpr_count 2
		.amdhsa_user_sgpr_dispatch_ptr 0
		.amdhsa_user_sgpr_queue_ptr 0
		.amdhsa_user_sgpr_kernarg_segment_ptr 1
		.amdhsa_user_sgpr_dispatch_id 0
		.amdhsa_user_sgpr_private_segment_size 0
		.amdhsa_wavefront_size32 1
		.amdhsa_uses_dynamic_stack 0
		.amdhsa_enable_private_segment 0
		.amdhsa_system_sgpr_workgroup_id_x 1
		.amdhsa_system_sgpr_workgroup_id_y 0
		.amdhsa_system_sgpr_workgroup_id_z 0
		.amdhsa_system_sgpr_workgroup_info 0
		.amdhsa_system_vgpr_workitem_id 0
		.amdhsa_next_free_vgpr 27
		.amdhsa_next_free_sgpr 86
		.amdhsa_reserve_vcc 1
		.amdhsa_float_round_mode_32 0
		.amdhsa_float_round_mode_16_64 0
		.amdhsa_float_denorm_mode_32 3
		.amdhsa_float_denorm_mode_16_64 3
		.amdhsa_fp16_overflow 0
		.amdhsa_workgroup_processor_mode 1
		.amdhsa_memory_ordered 1
		.amdhsa_forward_progress 1
		.amdhsa_inst_pref_size 19
		.amdhsa_round_robin_scheduling 0
		.amdhsa_exception_fp_ieee_invalid_op 0
		.amdhsa_exception_fp_denorm_src 0
		.amdhsa_exception_fp_ieee_div_zero 0
		.amdhsa_exception_fp_ieee_overflow 0
		.amdhsa_exception_fp_ieee_underflow 0
		.amdhsa_exception_fp_ieee_inexact 0
		.amdhsa_exception_int_div_zero 0
	.end_amdhsa_kernel
	.text
.Lfunc_end79:
	.size	naive_conv_ab_nonpacked_fwd_ndhwc_ushort_double_ushort_0, .Lfunc_end79-naive_conv_ab_nonpacked_fwd_ndhwc_ushort_double_ushort_0
                                        ; -- End function
	.set naive_conv_ab_nonpacked_fwd_ndhwc_ushort_double_ushort_0.num_vgpr, 27
	.set naive_conv_ab_nonpacked_fwd_ndhwc_ushort_double_ushort_0.num_agpr, 0
	.set naive_conv_ab_nonpacked_fwd_ndhwc_ushort_double_ushort_0.numbered_sgpr, 86
	.set naive_conv_ab_nonpacked_fwd_ndhwc_ushort_double_ushort_0.num_named_barrier, 0
	.set naive_conv_ab_nonpacked_fwd_ndhwc_ushort_double_ushort_0.private_seg_size, 0
	.set naive_conv_ab_nonpacked_fwd_ndhwc_ushort_double_ushort_0.uses_vcc, 1
	.set naive_conv_ab_nonpacked_fwd_ndhwc_ushort_double_ushort_0.uses_flat_scratch, 0
	.set naive_conv_ab_nonpacked_fwd_ndhwc_ushort_double_ushort_0.has_dyn_sized_stack, 0
	.set naive_conv_ab_nonpacked_fwd_ndhwc_ushort_double_ushort_0.has_recursion, 0
	.set naive_conv_ab_nonpacked_fwd_ndhwc_ushort_double_ushort_0.has_indirect_call, 0
	.section	.AMDGPU.csdata,"",@progbits
; Kernel info:
; codeLenInByte = 2312
; TotalNumSgprs: 88
; NumVgprs: 27
; ScratchSize: 0
; MemoryBound: 0
; FloatMode: 240
; IeeeMode: 1
; LDSByteSize: 0 bytes/workgroup (compile time only)
; SGPRBlocks: 0
; VGPRBlocks: 3
; NumSGPRsForWavesPerEU: 88
; NumVGPRsForWavesPerEU: 27
; Occupancy: 16
; WaveLimiterHint : 1
; COMPUTE_PGM_RSRC2:SCRATCH_EN: 0
; COMPUTE_PGM_RSRC2:USER_SGPR: 2
; COMPUTE_PGM_RSRC2:TRAP_HANDLER: 0
; COMPUTE_PGM_RSRC2:TGID_X_EN: 1
; COMPUTE_PGM_RSRC2:TGID_Y_EN: 0
; COMPUTE_PGM_RSRC2:TGID_Z_EN: 0
; COMPUTE_PGM_RSRC2:TIDIG_COMP_CNT: 0
	.text
	.protected	naive_conv_ab_packed_fwd_ndhwc_int8_t_int32_t_int32_t_0 ; -- Begin function naive_conv_ab_packed_fwd_ndhwc_int8_t_int32_t_int32_t_0
	.globl	naive_conv_ab_packed_fwd_ndhwc_int8_t_int32_t_int32_t_0
	.p2align	8
	.type	naive_conv_ab_packed_fwd_ndhwc_int8_t_int32_t_int32_t_0,@function
naive_conv_ab_packed_fwd_ndhwc_int8_t_int32_t_int32_t_0: ; @naive_conv_ab_packed_fwd_ndhwc_int8_t_int32_t_int32_t_0
; %bb.0:
	s_load_b512 s[4:19], s[0:1], 0xb8
	s_mov_b32 s25, exec_lo
	s_wait_kmcnt 0x0
	s_abs_i32 s3, s10
	s_mul_i32 s65, s12, s8
	s_cvt_f32_u32 s2, s3
	s_delay_alu instid0(SALU_CYCLE_3) | instskip(NEXT) | instid1(TRANS32_DEP_1)
	v_rcp_iflag_f32_e32 v1, s2
	v_readfirstlane_b32 s2, v1
	s_mul_f32 s2, s2, 0x4f7ffffe
	s_wait_alu 0xfffe
	s_delay_alu instid0(SALU_CYCLE_2) | instskip(SKIP_2) | instid1(SALU_CYCLE_1)
	s_cvt_u32_f32 s20, s2
	s_sub_co_i32 s2, 0, s3
	s_wait_alu 0xfffe
	s_mul_i32 s2, s2, s20
	s_wait_alu 0xfffe
	s_mul_hi_u32 s21, s20, s2
	s_abs_i32 s2, ttmp9
	s_add_co_i32 s20, s20, s21
	s_wait_alu 0xfffe
	s_mul_hi_u32 s20, s2, s20
	s_delay_alu instid0(SALU_CYCLE_1) | instskip(SKIP_2) | instid1(SALU_CYCLE_1)
	s_mul_i32 s21, s20, s3
	s_add_co_i32 s22, s20, 1
	s_sub_co_i32 s21, s2, s21
	s_sub_co_i32 s23, s21, s3
	s_cmp_ge_u32 s21, s3
	s_cselect_b32 s20, s22, s20
	s_cselect_b32 s21, s23, s21
	s_add_co_i32 s22, s20, 1
	s_cmp_ge_u32 s21, s3
	s_mul_i32 s21, s10, s7
	s_cselect_b32 s22, s22, s20
	s_abs_i32 s20, s7
	s_abs_i32 s28, s21
	s_cvt_f32_u32 s3, s20
	s_cvt_f32_u32 s7, s28
	s_wait_alu 0xfffe
	s_delay_alu instid0(SALU_CYCLE_1) | instskip(NEXT) | instid1(SALU_CYCLE_1)
	v_rcp_iflag_f32_e32 v1, s3
	v_rcp_iflag_f32_e32 v2, s7
	s_mul_i32 s7, s65, s11
	s_mov_b32 s3, 0
	s_delay_alu instid0(TRANS32_DEP_2) | instskip(NEXT) | instid1(TRANS32_DEP_1)
	v_readfirstlane_b32 s24, v1
	v_readfirstlane_b32 s23, v2
	s_wait_alu 0xfffe
	v_cmpx_gt_i32_e64 s7, v0
	s_cbranch_execz .LBB80_23
; %bb.1:
	s_mul_f32 s24, s24, 0x4f7ffffe
	s_ashr_i32 s26, ttmp9, 31
	s_ashr_i32 s49, s10, 31
	s_sub_co_i32 s25, 0, s20
	s_cvt_u32_f32 s24, s24
	s_xor_b32 s27, s26, s49
	s_mul_f32 s29, s23, 0x4f7ffffe
	s_xor_b32 s22, s22, s27
	s_mul_i32 s25, s25, s24
	s_sub_co_i32 s27, s22, s27
	s_mul_hi_u32 s23, s24, s25
	s_abs_i32 s22, s27
	s_add_co_i32 s24, s24, s23
	s_mov_b32 s23, s3
	s_cvt_u32_f32 s29, s29
	s_mov_b32 s25, s3
	s_sub_co_i32 s30, 0, s28
	s_mul_u64 s[24:25], s[22:23], s[24:25]
	s_mul_i32 s30, s30, s29
	s_mul_i32 s25, s25, s20
	s_ashr_i32 s23, s27, 31
	s_mul_hi_u32 s24, s29, s30
	s_mul_i32 s27, s27, s10
	s_sub_co_i32 s22, s22, s25
	s_ashr_i32 s21, s21, 31
	s_add_co_i32 s24, s29, s24
	s_sub_co_i32 s50, ttmp9, s27
	s_sub_co_i32 s27, s22, s20
	s_cmp_ge_u32 s22, s20
	s_mov_b32 s25, s3
	s_cselect_b32 s22, s27, s22
	s_mul_u64 s[30:31], s[2:3], s[24:25]
	s_sub_co_i32 s24, s22, s20
	s_cmp_ge_u32 s22, s20
	s_load_b64 s[34:35], s[0:1], 0x108
	s_cselect_b32 s20, s24, s22
	s_xor_b32 s37, s26, s21
	s_xor_b32 s20, s20, s23
	s_add_co_i32 s29, s31, 1
	s_sub_co_i32 s52, s20, s23
	s_mul_i32 s20, s31, s28
	s_mov_b32 s48, s10
	s_sub_co_i32 s2, s2, s20
	s_load_b256 s[20:27], s[0:1], 0x0
	s_sub_co_i32 s30, s2, s28
	s_cmp_ge_u32 s2, s28
	s_mov_b32 s56, s11
	s_cselect_b32 s33, s29, s31
	s_cselect_b32 s2, s30, s2
	s_add_co_i32 s36, s33, 1
	s_wait_alu 0xfffe
	s_cmp_ge_u32 s2, s28
	s_load_b128 s[28:31], s[0:1], 0xf8
	s_cselect_b32 s2, s36, s33
	s_ashr_i32 s53, s52, 31
	s_wait_kmcnt 0x0
	s_mul_i32 s36, s35, s8
	s_wait_alu 0xfffe
	s_xor_b32 s2, s2, s37
	s_ashr_i32 s57, s11, 31
	s_ashr_i32 s11, s12, 31
	s_mov_b32 s10, s12
	s_wait_alu 0xfffe
	s_sub_co_i32 s60, s2, s37
	s_mul_u64 s[58:59], s[52:53], s[48:49]
	s_mul_u64 s[56:57], s[10:11], s[56:57]
	s_ashr_i32 s51, s50, 31
	s_ashr_i32 s37, s36, 31
	;; [unrolled: 1-line block ×4, first 2 shown]
	s_mov_b32 s42, s8
	s_add_nc_u64 s[58:59], s[58:59], s[50:51]
	s_mul_u64 s[56:57], s[56:57], s[36:37]
	s_mul_i32 s33, s35, s9
	s_mul_u64 s[46:47], s[60:61], s[42:43]
	s_mul_u64 s[56:57], s[56:57], s[58:59]
	v_cmp_neq_f64_e64 s2, s[24:25], 1.0
	v_cmp_neq_f64_e64 s70, s[26:27], 0
	s_ashr_i32 s39, s4, 31
	s_ashr_i32 s41, s5, 31
	;; [unrolled: 1-line block ×8, first 2 shown]
	s_lshl_b64 s[62:63], s[56:57], 2
	s_lshl_b64 s[66:67], s[46:47], 2
	s_cmp_lt_i32 s30, 1
	s_mul_i32 s13, s50, s13
	s_cselect_b32 s11, -1, 0
	s_sub_co_i32 s19, s13, s19
	s_cmp_gt_i32 s31, 0
	s_load_b32 s64, s[0:1], 0x11c
	s_cselect_b32 s42, -1, 0
	s_cmp_gt_i32 s34, 0
	s_load_b64 s[0:1], s[0:1], 0x20
	s_cselect_b32 s56, -1, 0
	s_cmp_gt_i32 s9, 0
	v_cvt_i32_f64_e32 v18, s[24:25]
	s_cselect_b32 s57, -1, 0
	s_abs_i32 s58, s8
	s_abs_i32 s59, s12
	s_cvt_f32_u32 s13, s58
	v_cvt_i32_f64_e32 v19, s[26:27]
	s_mov_b32 s38, s4
	s_cvt_f32_u32 s4, s59
	v_rcp_iflag_f32_e32 v1, s13
	s_mov_b32 s44, s9
	s_mov_b32 s40, s5
	s_mul_u64 s[68:69], s[60:61], s[44:45]
	s_abs_i32 s60, s65
	v_rcp_iflag_f32_e32 v2, s4
	s_cvt_f32_u32 s4, s60
	s_mov_b32 s50, s31
	s_or_b32 s61, s2, s70
	s_wait_kmcnt 0x0
	s_add_nc_u64 s[0:1], s[0:1], s[62:63]
	v_readfirstlane_b32 s5, v1
	s_wait_alu 0xfffe
	v_rcp_iflag_f32_e32 v1, s4
	s_and_b32 s62, s64, 0xffff
	s_mov_b32 s48, s30
	s_mul_u64 s[26:27], s[34:35], s[44:45]
	s_mul_f32 s12, s5, 0x4f7ffffe
	v_readfirstlane_b32 s13, v2
	s_add_nc_u64 s[4:5], s[0:1], s[66:67]
	s_sub_co_i32 s1, 0, s58
	s_wait_alu 0xfffe
	s_cvt_u32_f32 s0, s12
	s_add_nc_u64 s[20:21], s[20:21], s[68:69]
	v_readfirstlane_b32 s12, v1
	s_mul_f32 s2, s13, 0x4f7ffffe
	s_mul_i32 s1, s1, s0
	s_sub_co_i32 s13, 0, s59
	s_mul_hi_u32 s1, s0, s1
	s_wait_alu 0xfffe
	s_cvt_u32_f32 s2, s2
	s_mul_f32 s12, s12, 0x4f7ffffe
	s_add_co_i32 s63, s0, s1
	s_sub_co_i32 s1, 0, s60
	s_wait_alu 0xfffe
	s_mul_i32 s13, s13, s2
	s_cvt_u32_f32 s12, s12
	s_wait_alu 0xfffe
	s_mul_hi_u32 s0, s2, s13
	s_delay_alu instid0(SALU_CYCLE_1)
	s_add_co_i32 s64, s2, s0
	s_mul_i32 s2, s1, s12
	s_mul_u64 s[0:1], s[34:35], s[50:51]
	s_wait_alu 0xfffe
	s_mul_hi_u32 s2, s12, s2
	s_mul_u64 s[24:25], s[0:1], s[44:45]
	s_ashr_i32 s51, s65, 31
	s_wait_alu 0xfffe
	s_add_co_i32 s65, s12, s2
	s_mul_u64 s[12:13], s[38:39], s[52:53]
	s_mul_u64 s[30:31], s[24:25], s[48:49]
	s_mov_b32 s35, 0
	s_branch .LBB80_3
.LBB80_2:                               ;   in Loop: Header=BB80_3 Depth=1
	v_add_nc_u32_e32 v0, s62, v0
	s_delay_alu instid0(VALU_DEP_1) | instskip(SKIP_1) | instid1(SALU_CYCLE_1)
	v_cmp_le_i32_e32 vcc_lo, s7, v0
	s_or_b32 s35, vcc_lo, s35
	s_and_not1_b32 exec_lo, exec_lo, s35
	s_cbranch_execz .LBB80_23
.LBB80_3:                               ; =>This Loop Header: Depth=1
                                        ;     Child Loop BB80_8 Depth 2
                                        ;       Child Loop BB80_11 Depth 3
                                        ;         Child Loop BB80_14 Depth 4
                                        ;           Child Loop BB80_17 Depth 5
	v_sub_nc_u32_e32 v1, 0, v0
	s_mov_b32 s39, -1
	s_delay_alu instid0(VALU_DEP_1) | instskip(NEXT) | instid1(VALU_DEP_1)
	v_max_i32_e32 v1, v0, v1
	v_mul_hi_u32 v2, v1, s63
	s_delay_alu instid0(VALU_DEP_1) | instskip(NEXT) | instid1(VALU_DEP_1)
	v_mul_lo_u32 v3, v2, s58
	v_sub_nc_u32_e32 v4, v1, v3
	s_delay_alu instid0(VALU_DEP_1) | instskip(SKIP_2) | instid1(VALU_DEP_2)
	v_subrev_nc_u32_e32 v5, s58, v4
	v_cmp_le_u32_e32 vcc_lo, s58, v4
	s_wait_alu 0xfffd
	v_dual_cndmask_b32 v4, v4, v5 :: v_dual_add_nc_u32 v3, 1, v2
	s_delay_alu instid0(VALU_DEP_1) | instskip(SKIP_1) | instid1(VALU_DEP_3)
	v_cndmask_b32_e32 v2, v2, v3, vcc_lo
	v_ashrrev_i32_e32 v3, 31, v0
	v_cmp_le_u32_e32 vcc_lo, s58, v4
	s_delay_alu instid0(VALU_DEP_3) | instskip(NEXT) | instid1(VALU_DEP_3)
	v_add_nc_u32_e32 v5, 1, v2
	v_xor_b32_e32 v6, s43, v3
	s_wait_alu 0xfffd
	s_delay_alu instid0(VALU_DEP_2) | instskip(SKIP_1) | instid1(VALU_DEP_2)
	v_cndmask_b32_e32 v2, v2, v5, vcc_lo
	v_mul_hi_u32 v5, v1, s65
	v_xor_b32_e32 v2, v2, v6
	s_delay_alu instid0(VALU_DEP_2) | instskip(NEXT) | instid1(VALU_DEP_2)
	v_mul_lo_u32 v7, v5, s60
	v_sub_nc_u32_e32 v4, v2, v6
	s_delay_alu instid0(VALU_DEP_1) | instskip(SKIP_1) | instid1(VALU_DEP_4)
	v_sub_nc_u32_e32 v2, 0, v4
	v_mul_lo_u32 v8, v4, s8
	v_sub_nc_u32_e32 v1, v1, v7
	s_delay_alu instid0(VALU_DEP_3) | instskip(NEXT) | instid1(VALU_DEP_2)
	v_max_i32_e32 v2, v4, v2
	v_subrev_nc_u32_e32 v7, s60, v1
	v_cmp_le_u32_e64 s1, s60, v1
	s_delay_alu instid0(VALU_DEP_3) | instskip(NEXT) | instid1(VALU_DEP_1)
	v_mul_hi_u32 v6, v2, s64
	v_mul_lo_u32 v6, v6, s59
	s_delay_alu instid0(VALU_DEP_1) | instskip(NEXT) | instid1(VALU_DEP_1)
	v_sub_nc_u32_e32 v2, v2, v6
	v_subrev_nc_u32_e32 v6, s59, v2
	v_cmp_le_u32_e32 vcc_lo, s59, v2
	s_wait_alu 0xfffd
	s_delay_alu instid0(VALU_DEP_2)
	v_cndmask_b32_e32 v6, v2, v6, vcc_lo
	s_wait_alu 0xf1ff
	v_cndmask_b32_e64 v2, v1, v7, s1
	v_sub_nc_u32_e32 v1, v0, v8
	s_and_not1_b32 vcc_lo, exec_lo, s11
	v_cmp_le_u32_e64 s0, s59, v6
	s_delay_alu instid0(VALU_DEP_3)
	v_cmp_le_u32_e64 s2, s60, v2
	s_wait_alu 0xfffe
	s_cbranch_vccnz .LBB80_5
; %bb.4:                                ;   in Loop: Header=BB80_3 Depth=1
	v_ashrrev_i32_e32 v2, 31, v1
	s_mov_b32 s39, 0
.LBB80_5:                               ;   in Loop: Header=BB80_3 Depth=1
	v_dual_mov_b32 v20, 0 :: v_dual_add_nc_u32 v7, 1, v5
	v_ashrrev_i32_e32 v4, 31, v4
	v_xor_b32_e32 v9, s51, v3
	s_wait_alu 0xfffe
	s_and_not1_b32 vcc_lo, exec_lo, s39
	v_cndmask_b32_e64 v5, v5, v7, s1
	v_subrev_nc_u32_e32 v7, s59, v6
	s_delay_alu instid0(VALU_DEP_2) | instskip(NEXT) | instid1(VALU_DEP_2)
	v_add_nc_u32_e32 v8, 1, v5
	v_cndmask_b32_e64 v3, v6, v7, s0
	s_delay_alu instid0(VALU_DEP_2) | instskip(NEXT) | instid1(VALU_DEP_2)
	v_cndmask_b32_e64 v5, v5, v8, s2
	v_xor_b32_e32 v3, v3, v4
	s_delay_alu instid0(VALU_DEP_2) | instskip(NEXT) | instid1(VALU_DEP_2)
	v_xor_b32_e32 v5, v5, v9
	v_sub_nc_u32_e32 v3, v3, v4
	s_delay_alu instid0(VALU_DEP_2)
	v_sub_nc_u32_e32 v21, v5, v9
	s_wait_alu 0xfffe
	s_cbranch_vccnz .LBB80_19
; %bb.6:                                ;   in Loop: Header=BB80_3 Depth=1
	v_ashrrev_i32_e32 v2, 31, v1
	v_add_co_u32 v4, vcc_lo, s46, v1
	v_mul_lo_u32 v6, v21, s14
	v_mul_lo_u32 v8, v3, s15
	s_wait_alu 0xfffd
	v_add_co_ci_u32_e64 v7, null, s47, v2, vcc_lo
	v_mul_lo_u32 v9, s31, v4
	v_mad_co_u64_u32 v[4:5], null, s30, v4, s[22:23]
	s_delay_alu instid0(VALU_DEP_3)
	v_mul_lo_u32 v10, s30, v7
	v_subrev_nc_u32_e32 v6, s28, v6
	v_subrev_nc_u32_e32 v7, s29, v8
	v_mov_b32_e32 v20, 0
	s_mov_b32 s1, 0
	s_mov_b32 s2, s19
	s_delay_alu instid0(VALU_DEP_4)
	v_add3_u32 v5, v9, v5, v10
	s_branch .LBB80_8
.LBB80_7:                               ;   in Loop: Header=BB80_8 Depth=2
	v_add_co_u32 v4, vcc_lo, v4, s24
	s_wait_alu 0xfffd
	v_add_co_ci_u32_e64 v5, null, s25, v5, vcc_lo
	s_add_co_i32 s1, s1, 1
	s_add_co_i32 s2, s2, s16
	s_wait_alu 0xfffe
	s_cmp_eq_u32 s1, s48
	s_cbranch_scc1 .LBB80_19
.LBB80_8:                               ;   Parent Loop BB80_3 Depth=1
                                        ; =>  This Loop Header: Depth=2
                                        ;       Child Loop BB80_11 Depth 3
                                        ;         Child Loop BB80_14 Depth 4
                                        ;           Child Loop BB80_17 Depth 5
	s_and_not1_b32 vcc_lo, exec_lo, s42
	s_wait_alu 0xfffe
	s_cbranch_vccnz .LBB80_7
; %bb.9:                                ;   in Loop: Header=BB80_8 Depth=2
	s_mul_i32 s0, s1, s16
	v_dual_mov_b32 v9, v5 :: v_dual_mov_b32 v8, v4
	s_wait_alu 0xfffe
	s_add_co_i32 s0, s0, s19
	v_mov_b32_e32 v22, v6
	s_wait_alu 0xfffe
	s_cmp_lt_i32 s0, 0
	s_add_nc_u64 s[52:53], s[12:13], s[2:3]
	s_cselect_b32 s49, -1, 0
	s_cmp_ge_i32 s0, s38
	s_wait_alu 0xfffe
	s_mul_u64 s[52:53], s[40:41], s[52:53]
	s_cselect_b32 s0, -1, 0
	s_mov_b32 s39, 0
	s_wait_alu 0xfffe
	s_or_b32 s49, s49, s0
	s_branch .LBB80_11
.LBB80_10:                              ;   in Loop: Header=BB80_11 Depth=3
	v_add_co_u32 v8, vcc_lo, v8, s26
	v_add_nc_u32_e32 v22, s17, v22
	s_wait_alu 0xfffd
	v_add_co_ci_u32_e64 v9, null, s27, v9, vcc_lo
	s_add_co_i32 s39, s39, 1
	s_wait_alu 0xfffe
	s_cmp_eq_u32 s39, s50
	s_cbranch_scc1 .LBB80_7
.LBB80_11:                              ;   Parent Loop BB80_3 Depth=1
                                        ;     Parent Loop BB80_8 Depth=2
                                        ; =>    This Loop Header: Depth=3
                                        ;         Child Loop BB80_14 Depth 4
                                        ;           Child Loop BB80_17 Depth 5
	s_and_not1_b32 vcc_lo, exec_lo, s56
	s_wait_alu 0xfffe
	s_cbranch_vccnz .LBB80_10
; %bb.12:                               ;   in Loop: Header=BB80_11 Depth=3
	v_add_co_u32 v10, s0, s52, v22
	s_wait_alu 0xf1ff
	v_add_co_ci_u32_e64 v11, null, s53, 0, s0
	v_mad_co_u64_u32 v[12:13], null, s39, s17, v[6:7]
	s_delay_alu instid0(VALU_DEP_3) | instskip(NEXT) | instid1(VALU_DEP_3)
	v_mul_lo_u32 v14, s54, v10
	v_mul_lo_u32 v15, s6, v11
	v_mad_co_u64_u32 v[10:11], null, s6, v10, 0
	v_mov_b32_e32 v23, v7
	s_mov_b32 s66, 0
	v_cmp_gt_i32_e32 vcc_lo, 0, v12
	v_cmp_le_i32_e64 s0, s40, v12
	v_dual_mov_b32 v13, v9 :: v_dual_mov_b32 v12, v8
	v_add3_u32 v11, v11, v15, v14
	s_or_b32 s0, vcc_lo, s0
	s_wait_alu 0xfffe
	s_or_b32 s67, s49, s0
	s_branch .LBB80_14
.LBB80_13:                              ;   in Loop: Header=BB80_14 Depth=4
	v_add_co_u32 v12, vcc_lo, v12, s44
	v_add_nc_u32_e32 v23, s18, v23
	s_wait_alu 0xfffd
	v_add_co_ci_u32_e64 v13, null, s45, v13, vcc_lo
	s_add_co_i32 s66, s66, 1
	s_wait_alu 0xfffe
	s_cmp_eq_u32 s66, s34
	s_cbranch_scc1 .LBB80_10
.LBB80_14:                              ;   Parent Loop BB80_3 Depth=1
                                        ;     Parent Loop BB80_8 Depth=2
                                        ;       Parent Loop BB80_11 Depth=3
                                        ; =>      This Loop Header: Depth=4
                                        ;           Child Loop BB80_17 Depth 5
	s_and_not1_b32 vcc_lo, exec_lo, s57
	s_wait_alu 0xfffe
	s_cbranch_vccnz .LBB80_13
; %bb.15:                               ;   in Loop: Header=BB80_14 Depth=4
	v_add_co_u32 v14, vcc_lo, v10, v23
	s_wait_alu 0xfffd
	v_add_co_ci_u32_e64 v15, null, 0, v11, vcc_lo
	v_mad_co_u64_u32 v[16:17], null, s66, s18, v[7:8]
	s_delay_alu instid0(VALU_DEP_3) | instskip(NEXT) | instid1(VALU_DEP_3)
	v_mul_lo_u32 v24, s55, v14
	v_mul_lo_u32 v17, s33, v15
	v_mad_co_u64_u32 v[14:15], null, s33, v14, s[20:21]
	s_mov_b32 s68, s9
	v_cmp_gt_i32_e32 vcc_lo, 0, v16
	v_cmp_le_i32_e64 s0, s6, v16
	v_add3_u32 v15, v24, v15, v17
	v_dual_mov_b32 v17, v13 :: v_dual_mov_b32 v16, v12
	s_or_b32 s0, vcc_lo, s0
	s_wait_alu 0xfffe
	s_nor_b32 s0, s67, s0
	s_branch .LBB80_17
.LBB80_16:                              ;   in Loop: Header=BB80_17 Depth=5
	s_or_b32 exec_lo, exec_lo, s69
	v_add_co_u32 v14, vcc_lo, v14, 1
	s_wait_alu 0xfffd
	v_add_co_ci_u32_e64 v15, null, 0, v15, vcc_lo
	v_add_co_u32 v16, vcc_lo, v16, 1
	s_wait_alu 0xfffd
	v_add_co_ci_u32_e64 v17, null, 0, v17, vcc_lo
	s_add_co_i32 s68, s68, -1
	s_delay_alu instid0(SALU_CYCLE_1)
	s_cmp_eq_u32 s68, 0
	s_cbranch_scc1 .LBB80_13
.LBB80_17:                              ;   Parent Loop BB80_3 Depth=1
                                        ;     Parent Loop BB80_8 Depth=2
                                        ;       Parent Loop BB80_11 Depth=3
                                        ;         Parent Loop BB80_14 Depth=4
                                        ; =>        This Inner Loop Header: Depth=5
	s_wait_alu 0xfffe
	s_and_saveexec_b32 s69, s0
	s_cbranch_execz .LBB80_16
; %bb.18:                               ;   in Loop: Header=BB80_17 Depth=5
	global_load_i8 v24, v[14:15], off
	global_load_i8 v25, v[16:17], off
	s_wait_loadcnt 0x0
	v_mad_i32_i24 v20, v25, v24, v20
	s_branch .LBB80_16
.LBB80_19:                              ;   in Loop: Header=BB80_3 Depth=1
	s_delay_alu instid0(VALU_DEP_2) | instskip(SKIP_2) | instid1(VALU_DEP_1)
	v_ashrrev_i32_e32 v4, 31, v3
	s_and_b32 vcc_lo, exec_lo, s61
	s_mov_b32 s0, -1
	v_mad_co_i64_i32 v[3:4], null, v21, s10, v[3:4]
	s_delay_alu instid0(VALU_DEP_1) | instskip(NEXT) | instid1(VALU_DEP_2)
	v_mul_lo_u32 v5, v3, s37
	v_mul_lo_u32 v4, v4, s36
	v_mad_co_u64_u32 v[1:2], null, v3, s36, v[1:2]
	s_delay_alu instid0(VALU_DEP_1)
	v_add3_u32 v2, v4, v2, v5
	s_wait_alu 0xfffe
	s_cbranch_vccz .LBB80_21
; %bb.20:                               ;   in Loop: Header=BB80_3 Depth=1
	s_delay_alu instid0(VALU_DEP_1) | instskip(SKIP_2) | instid1(VALU_DEP_2)
	v_lshlrev_b64_e32 v[3:4], 2, v[1:2]
	v_mul_lo_u32 v5, v20, v18
	s_mov_b32 s0, 0
	v_add_co_u32 v3, vcc_lo, s4, v3
	s_wait_alu 0xfffd
	s_delay_alu instid0(VALU_DEP_3)
	v_add_co_ci_u32_e64 v4, null, s5, v4, vcc_lo
	global_load_b32 v6, v[3:4], off
	s_wait_loadcnt 0x0
	v_mad_co_u64_u32 v[5:6], null, v6, v19, v[5:6]
	global_store_b32 v[3:4], v5, off
.LBB80_21:                              ;   in Loop: Header=BB80_3 Depth=1
	s_wait_alu 0xfffe
	s_and_not1_b32 vcc_lo, exec_lo, s0
	s_wait_alu 0xfffe
	s_cbranch_vccnz .LBB80_2
; %bb.22:                               ;   in Loop: Header=BB80_3 Depth=1
	v_lshlrev_b64_e32 v[1:2], 2, v[1:2]
	s_delay_alu instid0(VALU_DEP_1) | instskip(SKIP_1) | instid1(VALU_DEP_2)
	v_add_co_u32 v1, vcc_lo, s4, v1
	s_wait_alu 0xfffd
	v_add_co_ci_u32_e64 v2, null, s5, v2, vcc_lo
	global_store_b32 v[1:2], v20, off
	s_branch .LBB80_2
.LBB80_23:
	s_endpgm
	.section	.rodata,"a",@progbits
	.p2align	6, 0x0
	.amdhsa_kernel naive_conv_ab_packed_fwd_ndhwc_int8_t_int32_t_int32_t_0
		.amdhsa_group_segment_fixed_size 0
		.amdhsa_private_segment_fixed_size 0
		.amdhsa_kernarg_size 528
		.amdhsa_user_sgpr_count 2
		.amdhsa_user_sgpr_dispatch_ptr 0
		.amdhsa_user_sgpr_queue_ptr 0
		.amdhsa_user_sgpr_kernarg_segment_ptr 1
		.amdhsa_user_sgpr_dispatch_id 0
		.amdhsa_user_sgpr_private_segment_size 0
		.amdhsa_wavefront_size32 1
		.amdhsa_uses_dynamic_stack 0
		.amdhsa_enable_private_segment 0
		.amdhsa_system_sgpr_workgroup_id_x 1
		.amdhsa_system_sgpr_workgroup_id_y 0
		.amdhsa_system_sgpr_workgroup_id_z 0
		.amdhsa_system_sgpr_workgroup_info 0
		.amdhsa_system_vgpr_workitem_id 0
		.amdhsa_next_free_vgpr 26
		.amdhsa_next_free_sgpr 71
		.amdhsa_reserve_vcc 1
		.amdhsa_float_round_mode_32 0
		.amdhsa_float_round_mode_16_64 0
		.amdhsa_float_denorm_mode_32 3
		.amdhsa_float_denorm_mode_16_64 3
		.amdhsa_fp16_overflow 0
		.amdhsa_workgroup_processor_mode 1
		.amdhsa_memory_ordered 1
		.amdhsa_forward_progress 1
		.amdhsa_inst_pref_size 17
		.amdhsa_round_robin_scheduling 0
		.amdhsa_exception_fp_ieee_invalid_op 0
		.amdhsa_exception_fp_denorm_src 0
		.amdhsa_exception_fp_ieee_div_zero 0
		.amdhsa_exception_fp_ieee_overflow 0
		.amdhsa_exception_fp_ieee_underflow 0
		.amdhsa_exception_fp_ieee_inexact 0
		.amdhsa_exception_int_div_zero 0
	.end_amdhsa_kernel
	.text
.Lfunc_end80:
	.size	naive_conv_ab_packed_fwd_ndhwc_int8_t_int32_t_int32_t_0, .Lfunc_end80-naive_conv_ab_packed_fwd_ndhwc_int8_t_int32_t_int32_t_0
                                        ; -- End function
	.set naive_conv_ab_packed_fwd_ndhwc_int8_t_int32_t_int32_t_0.num_vgpr, 26
	.set naive_conv_ab_packed_fwd_ndhwc_int8_t_int32_t_int32_t_0.num_agpr, 0
	.set naive_conv_ab_packed_fwd_ndhwc_int8_t_int32_t_int32_t_0.numbered_sgpr, 71
	.set naive_conv_ab_packed_fwd_ndhwc_int8_t_int32_t_int32_t_0.num_named_barrier, 0
	.set naive_conv_ab_packed_fwd_ndhwc_int8_t_int32_t_int32_t_0.private_seg_size, 0
	.set naive_conv_ab_packed_fwd_ndhwc_int8_t_int32_t_int32_t_0.uses_vcc, 1
	.set naive_conv_ab_packed_fwd_ndhwc_int8_t_int32_t_int32_t_0.uses_flat_scratch, 0
	.set naive_conv_ab_packed_fwd_ndhwc_int8_t_int32_t_int32_t_0.has_dyn_sized_stack, 0
	.set naive_conv_ab_packed_fwd_ndhwc_int8_t_int32_t_int32_t_0.has_recursion, 0
	.set naive_conv_ab_packed_fwd_ndhwc_int8_t_int32_t_int32_t_0.has_indirect_call, 0
	.section	.AMDGPU.csdata,"",@progbits
; Kernel info:
; codeLenInByte = 2172
; TotalNumSgprs: 73
; NumVgprs: 26
; ScratchSize: 0
; MemoryBound: 0
; FloatMode: 240
; IeeeMode: 1
; LDSByteSize: 0 bytes/workgroup (compile time only)
; SGPRBlocks: 0
; VGPRBlocks: 3
; NumSGPRsForWavesPerEU: 73
; NumVGPRsForWavesPerEU: 26
; Occupancy: 16
; WaveLimiterHint : 1
; COMPUTE_PGM_RSRC2:SCRATCH_EN: 0
; COMPUTE_PGM_RSRC2:USER_SGPR: 2
; COMPUTE_PGM_RSRC2:TRAP_HANDLER: 0
; COMPUTE_PGM_RSRC2:TGID_X_EN: 1
; COMPUTE_PGM_RSRC2:TGID_Y_EN: 0
; COMPUTE_PGM_RSRC2:TGID_Z_EN: 0
; COMPUTE_PGM_RSRC2:TIDIG_COMP_CNT: 0
	.text
	.protected	naive_conv_ab_nonpacked_fwd_ndhwc_int8_t_int32_t_int32_t_0 ; -- Begin function naive_conv_ab_nonpacked_fwd_ndhwc_int8_t_int32_t_int32_t_0
	.globl	naive_conv_ab_nonpacked_fwd_ndhwc_int8_t_int32_t_int32_t_0
	.p2align	8
	.type	naive_conv_ab_nonpacked_fwd_ndhwc_int8_t_int32_t_int32_t_0,@function
naive_conv_ab_nonpacked_fwd_ndhwc_int8_t_int32_t_int32_t_0: ; @naive_conv_ab_nonpacked_fwd_ndhwc_int8_t_int32_t_int32_t_0
; %bb.0:
	s_load_b512 s[4:19], s[0:1], 0xb8
	s_mov_b32 s24, exec_lo
	s_wait_kmcnt 0x0
	s_abs_i32 s3, s10
	s_mul_i32 s69, s12, s8
	s_cvt_f32_u32 s2, s3
	s_delay_alu instid0(SALU_CYCLE_3) | instskip(NEXT) | instid1(TRANS32_DEP_1)
	v_rcp_iflag_f32_e32 v1, s2
	v_readfirstlane_b32 s2, v1
	s_mul_f32 s2, s2, 0x4f7ffffe
	s_wait_alu 0xfffe
	s_delay_alu instid0(SALU_CYCLE_2) | instskip(SKIP_2) | instid1(SALU_CYCLE_1)
	s_cvt_u32_f32 s20, s2
	s_sub_co_i32 s2, 0, s3
	s_wait_alu 0xfffe
	s_mul_i32 s2, s2, s20
	s_wait_alu 0xfffe
	s_mul_hi_u32 s21, s20, s2
	s_abs_i32 s2, ttmp9
	s_add_co_i32 s20, s20, s21
	s_wait_alu 0xfffe
	s_mul_hi_u32 s20, s2, s20
	s_delay_alu instid0(SALU_CYCLE_1) | instskip(SKIP_2) | instid1(SALU_CYCLE_1)
	s_mul_i32 s21, s20, s3
	s_add_co_i32 s22, s20, 1
	s_sub_co_i32 s21, s2, s21
	s_sub_co_i32 s23, s21, s3
	s_cmp_ge_u32 s21, s3
	s_cselect_b32 s20, s22, s20
	s_cselect_b32 s21, s23, s21
	s_add_co_i32 s22, s20, 1
	s_cmp_ge_u32 s21, s3
	s_mul_i32 s21, s10, s7
	s_cselect_b32 s22, s22, s20
	s_abs_i32 s20, s7
	s_abs_i32 s33, s21
	s_cvt_f32_u32 s3, s20
	s_cvt_f32_u32 s7, s33
	s_wait_alu 0xfffe
	s_delay_alu instid0(SALU_CYCLE_1) | instskip(NEXT) | instid1(SALU_CYCLE_1)
	v_rcp_iflag_f32_e32 v1, s3
	v_rcp_iflag_f32_e32 v2, s7
	s_mul_i32 s7, s69, s11
	s_mov_b32 s3, 0
	s_delay_alu instid0(TRANS32_DEP_2) | instskip(NEXT) | instid1(TRANS32_DEP_1)
	v_readfirstlane_b32 s23, v1
	v_readfirstlane_b32 s11, v2
	s_wait_alu 0xfffe
	v_cmpx_gt_i32_e64 s7, v0
	s_cbranch_execz .LBB81_23
; %bb.1:
	s_mul_f32 s23, s23, 0x4f7ffffe
	s_ashr_i32 s26, ttmp9, 31
	s_ashr_i32 s24, s10, 31
	s_mul_f32 s11, s11, 0x4f7ffffe
	s_cvt_u32_f32 s23, s23
	s_sub_co_i32 s25, 0, s20
	s_xor_b32 s24, s26, s24
	s_cvt_u32_f32 s11, s11
	s_xor_b32 s22, s22, s24
	s_mul_i32 s25, s25, s23
	s_sub_co_i32 s27, s22, s24
	s_mul_hi_u32 s24, s23, s25
	s_sub_co_i32 s28, 0, s33
	s_abs_i32 s22, s27
	s_add_co_i32 s24, s23, s24
	s_mov_b32 s23, s3
	s_mov_b32 s25, s3
	s_mul_i32 s28, s28, s11
	s_mul_u64 s[24:25], s[22:23], s[24:25]
	s_mul_hi_u32 s24, s11, s28
	s_ashr_i32 s23, s27, 31
	s_add_co_i32 s24, s11, s24
	s_mul_i32 s11, s25, s20
	s_mul_i32 s27, s27, s10
	s_sub_co_i32 s11, s22, s11
	s_ashr_i32 s21, s21, 31
	s_sub_co_i32 s10, ttmp9, s27
	s_sub_co_i32 s22, s11, s20
	s_cmp_ge_u32 s11, s20
	s_mov_b32 s25, s3
	s_cselect_b32 s11, s22, s11
	s_mul_u64 s[34:35], s[2:3], s[24:25]
	s_sub_co_i32 s22, s11, s20
	s_cmp_ge_u32 s11, s20
	s_load_b512 s[36:51], s[0:1], 0x68
	s_cselect_b32 s11, s22, s11
	s_clause 0x1
	s_load_b128 s[28:31], s[0:1], 0xf8
	s_load_b128 s[52:55], s[0:1], 0xa8
	s_xor_b32 s11, s11, s23
	s_xor_b32 s34, s26, s21
	s_sub_co_i32 s70, s11, s23
	s_mul_i32 s11, s35, s33
	s_load_b256 s[20:27], s[0:1], 0x0
	s_sub_co_i32 s2, s2, s11
	s_add_co_i32 s11, s35, 1
	s_wait_alu 0xfffe
	s_sub_co_i32 s56, s2, s33
	s_cmp_ge_u32 s2, s33
	s_cselect_b32 s11, s11, s35
	s_cselect_b32 s2, s56, s2
	s_add_co_i32 s35, s11, 1
	s_wait_alu 0xfffe
	s_cmp_ge_u32 s2, s33
	s_load_b32 s33, s[0:1], 0x108
	s_cselect_b32 s2, s35, s11
	s_ashr_i32 s71, s70, 31
	s_wait_alu 0xfffe
	s_xor_b32 s2, s2, s34
	s_ashr_i32 s11, s10, 31
	s_wait_alu 0xfffe
	s_sub_co_i32 s72, s2, s34
	s_wait_kmcnt 0x0
	s_mul_u64 s[34:35], s[54:55], s[70:71]
	s_ashr_i32 s73, s72, 31
	s_mul_u64 s[52:53], s[52:53], s[10:11]
	s_mul_u64 s[46:47], s[46:47], s[72:73]
	s_lshl_b64 s[74:75], s[34:35], 2
	s_lshl_b64 s[76:77], s[52:53], 2
	;; [unrolled: 1-line block ×3, first 2 shown]
	s_load_b512 s[52:67], s[0:1], 0x28
	s_cmp_lt_i32 s30, 1
	s_mul_i32 s2, s10, s13
	s_cselect_b32 s34, -1, 0
	s_wait_alu 0xfffe
	s_sub_co_i32 s19, s2, s19
	s_cmp_gt_i32 s31, 0
	s_load_b32 s2, s[0:1], 0x11c
	s_cselect_b32 s35, -1, 0
	s_cmp_gt_i32 s33, 0
	s_load_b64 s[10:11], s[0:1], 0x20
	s_cselect_b32 s46, -1, 0
	s_cmp_gt_i32 s9, 0
	v_cmp_neq_f64_e64 s80, s[24:25], 1.0
	s_cselect_b32 s47, -1, 0
	s_abs_i32 s68, s8
	v_cmp_neq_f64_e64 s81, s[26:27], 0
	s_cvt_f32_u32 s0, s68
	v_cvt_i32_f64_e32 v15, s[24:25]
	v_cvt_i32_f64_e32 v16, s[26:27]
	s_delay_alu instid0(SALU_CYCLE_1)
	v_rcp_iflag_f32_e32 v1, s0
	s_wait_kmcnt 0x0
	s_mul_u64 s[0:1], s[62:63], s[70:71]
	s_mul_u64 s[70:71], s[54:55], s[72:73]
	s_abs_i32 s54, s12
	s_abs_i32 s55, s69
	s_cvt_f32_u32 s12, s54
	s_cvt_f32_u32 s62, s55
	s_wait_alu 0xfffe
	s_add_nc_u64 s[0:1], s[70:71], s[0:1]
	s_add_nc_u64 s[10:11], s[10:11], s[74:75]
	v_readfirstlane_b32 s13, v1
	v_rcp_iflag_f32_e32 v1, s12
	v_rcp_iflag_f32_e32 v2, s62
	s_add_nc_u64 s[10:11], s[10:11], s[76:77]
	s_wait_alu 0xfffe
	s_add_nc_u64 s[20:21], s[20:21], s[0:1]
	s_mul_f32 s25, s13, 0x4f7ffffe
	s_mul_u64 s[12:13], s[42:43], s[72:73]
	s_add_nc_u64 s[10:11], s[10:11], s[78:79]
	s_wait_alu 0xfffe
	s_add_nc_u64 s[12:13], s[22:23], s[12:13]
	s_cvt_u32_f32 s27, s25
	s_and_b32 s25, s2, 0xffff
	v_readfirstlane_b32 s26, v1
	v_readfirstlane_b32 s42, v2
	s_sub_co_i32 s2, 0, s68
	s_wait_alu 0xfffe
	s_mul_i32 s2, s2, s27
	s_mul_f32 s43, s26, 0x4f7ffffe
	s_mul_f32 s42, s42, 0x4f7ffffe
	s_wait_alu 0xfffe
	s_mul_hi_u32 s2, s27, s2
	s_ashr_i32 s26, s8, 31
	s_cvt_u32_f32 s43, s43
	s_wait_alu 0xfffe
	s_add_co_i32 s27, s27, s2
	s_sub_co_i32 s2, 0, s54
	s_cvt_u32_f32 s62, s42
	s_wait_alu 0xfffe
	s_mul_i32 s2, s2, s43
	s_sub_co_i32 s42, 0, s55
	s_wait_alu 0xfffe
	s_mul_hi_u32 s2, s43, s2
	s_mul_i32 s63, s42, s62
	s_wait_alu 0xfffe
	s_add_co_i32 s42, s43, s2
	s_mul_hi_u32 s2, s62, s63
	s_or_b32 s24, s80, s81
	s_ashr_i32 s43, s69, 31
	s_wait_alu 0xfffe
	s_add_co_i32 s62, s62, s2
	s_mov_b32 s63, 0
	s_branch .LBB81_3
.LBB81_2:                               ;   in Loop: Header=BB81_3 Depth=1
	v_add_nc_u32_e32 v0, s25, v0
	s_delay_alu instid0(VALU_DEP_1)
	v_cmp_le_i32_e32 vcc_lo, s7, v0
	s_or_b32 s63, vcc_lo, s63
	s_wait_alu 0xfffe
	s_and_not1_b32 exec_lo, exec_lo, s63
	s_cbranch_execz .LBB81_23
.LBB81_3:                               ; =>This Loop Header: Depth=1
                                        ;     Child Loop BB81_8 Depth 2
                                        ;       Child Loop BB81_11 Depth 3
                                        ;         Child Loop BB81_14 Depth 4
                                        ;           Child Loop BB81_17 Depth 5
	v_sub_nc_u32_e32 v1, 0, v0
	s_mov_b32 s22, -1
                                        ; implicit-def: $vgpr18
	s_delay_alu instid0(VALU_DEP_1) | instskip(NEXT) | instid1(VALU_DEP_1)
	v_max_i32_e32 v4, v0, v1
	v_mul_hi_u32 v1, v4, s27
	s_delay_alu instid0(VALU_DEP_1) | instskip(SKIP_1) | instid1(VALU_DEP_2)
	v_mul_lo_u32 v2, v1, s68
	v_add_nc_u32_e32 v3, 1, v1
	v_sub_nc_u32_e32 v2, v4, v2
	s_delay_alu instid0(VALU_DEP_1) | instskip(SKIP_2) | instid1(VALU_DEP_2)
	v_subrev_nc_u32_e32 v5, s68, v2
	v_cmp_le_u32_e32 vcc_lo, s68, v2
	s_wait_alu 0xfffd
	v_dual_cndmask_b32 v3, v1, v3 :: v_dual_cndmask_b32 v2, v2, v5
	v_ashrrev_i32_e32 v1, 31, v0
	s_delay_alu instid0(VALU_DEP_2) | instskip(NEXT) | instid1(VALU_DEP_3)
	v_add_nc_u32_e32 v5, 1, v3
	v_cmp_le_u32_e32 vcc_lo, s68, v2
	s_delay_alu instid0(VALU_DEP_3) | instskip(SKIP_1) | instid1(VALU_DEP_3)
	v_xor_b32_e32 v6, s26, v1
	s_wait_alu 0xfffd
	v_cndmask_b32_e32 v2, v3, v5, vcc_lo
	s_delay_alu instid0(VALU_DEP_1) | instskip(NEXT) | instid1(VALU_DEP_1)
	v_xor_b32_e32 v2, v2, v6
	v_sub_nc_u32_e32 v2, v2, v6
	s_delay_alu instid0(VALU_DEP_1) | instskip(SKIP_1) | instid1(VALU_DEP_2)
	v_sub_nc_u32_e32 v3, 0, v2
	v_mul_lo_u32 v8, v2, s8
	v_max_i32_e32 v5, v2, v3
	s_wait_alu 0xfffe
	v_mul_hi_u32 v3, v4, s62
	s_delay_alu instid0(VALU_DEP_3) | instskip(NEXT) | instid1(VALU_DEP_3)
	v_sub_nc_u32_e32 v17, v0, v8
	v_mul_hi_u32 v6, v5, s42
	s_delay_alu instid0(VALU_DEP_3) | instskip(NEXT) | instid1(VALU_DEP_2)
	v_mul_lo_u32 v7, v3, s55
	v_mul_lo_u32 v6, v6, s54
	s_delay_alu instid0(VALU_DEP_1) | instskip(NEXT) | instid1(VALU_DEP_3)
	v_sub_nc_u32_e32 v5, v5, v6
	v_sub_nc_u32_e32 v6, v4, v7
	s_delay_alu instid0(VALU_DEP_2) | instskip(NEXT) | instid1(VALU_DEP_2)
	v_subrev_nc_u32_e32 v4, s54, v5
	v_subrev_nc_u32_e32 v7, s55, v6
	v_cmp_le_u32_e32 vcc_lo, s54, v5
	v_cmp_le_u32_e64 s1, s55, v6
	s_wait_alu 0xfffd
	v_cndmask_b32_e32 v4, v5, v4, vcc_lo
	s_wait_alu 0xf1ff
	s_delay_alu instid0(VALU_DEP_2) | instskip(SKIP_1) | instid1(VALU_DEP_2)
	v_cndmask_b32_e64 v5, v6, v7, s1
	s_and_not1_b32 vcc_lo, exec_lo, s34
	v_cmp_le_u32_e64 s0, s54, v4
	s_delay_alu instid0(VALU_DEP_2)
	v_cmp_le_u32_e64 s2, s55, v5
	s_wait_alu 0xfffe
	s_cbranch_vccnz .LBB81_5
; %bb.4:                                ;   in Loop: Header=BB81_3 Depth=1
	v_ashrrev_i32_e32 v18, 31, v17
	s_mov_b32 s22, 0
.LBB81_5:                               ;   in Loop: Header=BB81_3 Depth=1
	v_add_nc_u32_e32 v5, 1, v3
	v_ashrrev_i32_e32 v2, 31, v2
	v_xor_b32_e32 v1, s43, v1
	s_wait_alu 0xfffe
	s_and_not1_b32 vcc_lo, exec_lo, s22
	v_mov_b32_e32 v19, 0
	v_cndmask_b32_e64 v3, v3, v5, s1
	v_subrev_nc_u32_e32 v5, s54, v4
	s_delay_alu instid0(VALU_DEP_2) | instskip(NEXT) | instid1(VALU_DEP_2)
	v_add_nc_u32_e32 v6, 1, v3
	v_cndmask_b32_e64 v4, v4, v5, s0
	s_delay_alu instid0(VALU_DEP_2) | instskip(NEXT) | instid1(VALU_DEP_2)
	v_cndmask_b32_e64 v3, v3, v6, s2
	v_xor_b32_e32 v4, v4, v2
	s_delay_alu instid0(VALU_DEP_2) | instskip(NEXT) | instid1(VALU_DEP_2)
	v_xor_b32_e32 v3, v3, v1
	v_sub_nc_u32_e32 v21, v4, v2
	s_delay_alu instid0(VALU_DEP_2)
	v_sub_nc_u32_e32 v20, v3, v1
	s_wait_alu 0xfffe
	s_cbranch_vccnz .LBB81_19
; %bb.6:                                ;   in Loop: Header=BB81_3 Depth=1
	v_ashrrev_i32_e32 v18, 31, v17
	s_delay_alu instid0(VALU_DEP_2)
	v_mul_lo_u32 v3, v20, s14
	v_mul_lo_u32 v4, v21, s15
	v_mad_co_u64_u32 v[1:2], null, s40, v17, s[12:13]
	v_mul_lo_u32 v5, s41, v17
	v_mul_lo_u32 v6, s40, v18
	v_mov_b32_e32 v19, 0
	s_mov_b32 s1, 0
	v_subrev_nc_u32_e32 v3, s28, v3
	v_subrev_nc_u32_e32 v4, s29, v4
	s_mov_b32 s2, s19
	s_delay_alu instid0(VALU_DEP_4)
	v_add3_u32 v2, v5, v2, v6
	s_branch .LBB81_8
.LBB81_7:                               ;   in Loop: Header=BB81_8 Depth=2
	v_add_co_u32 v1, vcc_lo, v1, s38
	s_wait_alu 0xfffd
	v_add_co_ci_u32_e64 v2, null, s39, v2, vcc_lo
	s_add_co_i32 s1, s1, 1
	s_add_co_i32 s2, s2, s16
	s_wait_alu 0xfffe
	s_cmp_eq_u32 s1, s30
	s_cbranch_scc1 .LBB81_19
.LBB81_8:                               ;   Parent Loop BB81_3 Depth=1
                                        ; =>  This Loop Header: Depth=2
                                        ;       Child Loop BB81_11 Depth 3
                                        ;         Child Loop BB81_14 Depth 4
                                        ;           Child Loop BB81_17 Depth 5
	s_and_not1_b32 vcc_lo, exec_lo, s35
	s_wait_alu 0xfffe
	s_cbranch_vccnz .LBB81_7
; %bb.9:                                ;   in Loop: Header=BB81_8 Depth=2
	s_mul_i32 s0, s1, s16
	v_mov_b32_e32 v6, v2
	s_wait_alu 0xfffe
	s_add_co_i32 s0, s0, s19
	v_dual_mov_b32 v22, v3 :: v_dual_mov_b32 v5, v1
	s_wait_alu 0xfffe
	s_cmp_lt_i32 s0, 0
	s_mul_u64 s[22:23], s[60:61], s[2:3]
	s_cselect_b32 s70, -1, 0
	s_cmp_ge_i32 s0, s4
	s_mov_b32 s69, 0
	s_cselect_b32 s0, -1, 0
	s_wait_alu 0xfffe
	s_add_nc_u64 s[22:23], s[20:21], s[22:23]
	s_or_b32 s70, s70, s0
	s_branch .LBB81_11
.LBB81_10:                              ;   in Loop: Header=BB81_11 Depth=3
	v_add_co_u32 v5, vcc_lo, v5, s36
	s_wait_alu 0xfffd
	v_add_co_ci_u32_e64 v6, null, s37, v6, vcc_lo
	v_add_nc_u32_e32 v22, s17, v22
	s_add_co_i32 s69, s69, 1
	s_wait_alu 0xfffe
	s_cmp_eq_u32 s69, s31
	s_cbranch_scc1 .LBB81_7
.LBB81_11:                              ;   Parent Loop BB81_3 Depth=1
                                        ;     Parent Loop BB81_8 Depth=2
                                        ; =>    This Loop Header: Depth=3
                                        ;         Child Loop BB81_14 Depth 4
                                        ;           Child Loop BB81_17 Depth 5
	s_and_not1_b32 vcc_lo, exec_lo, s46
	s_wait_alu 0xfffe
	s_cbranch_vccnz .LBB81_10
; %bb.12:                               ;   in Loop: Header=BB81_11 Depth=3
	v_mad_co_u64_u32 v[7:8], null, s58, v22, s[22:23]
	v_mad_co_u64_u32 v[9:10], null, s69, s17, v[3:4]
	s_mov_b32 s71, 0
	v_mad_co_u64_u32 v[10:11], null, s59, v22, v[8:9]
	v_cmp_gt_i32_e32 vcc_lo, 0, v9
	v_cmp_le_i32_e64 s0, s5, v9
	s_delay_alu instid0(VALU_DEP_3)
	v_dual_mov_b32 v23, v4 :: v_dual_mov_b32 v8, v10
	v_dual_mov_b32 v10, v6 :: v_dual_mov_b32 v9, v5
	s_or_b32 s0, vcc_lo, s0
	s_wait_alu 0xfffe
	s_or_b32 s72, s70, s0
	s_branch .LBB81_14
.LBB81_13:                              ;   in Loop: Header=BB81_14 Depth=4
	v_add_co_u32 v9, vcc_lo, v9, s66
	s_wait_alu 0xfffd
	v_add_co_ci_u32_e64 v10, null, s67, v10, vcc_lo
	v_add_nc_u32_e32 v23, s18, v23
	s_add_co_i32 s71, s71, 1
	s_wait_alu 0xfffe
	s_cmp_eq_u32 s71, s33
	s_cbranch_scc1 .LBB81_10
.LBB81_14:                              ;   Parent Loop BB81_3 Depth=1
                                        ;     Parent Loop BB81_8 Depth=2
                                        ;       Parent Loop BB81_11 Depth=3
                                        ; =>      This Loop Header: Depth=4
                                        ;           Child Loop BB81_17 Depth 5
	s_and_not1_b32 vcc_lo, exec_lo, s47
	s_wait_alu 0xfffe
	s_cbranch_vccnz .LBB81_13
; %bb.15:                               ;   in Loop: Header=BB81_14 Depth=4
	v_mad_co_u64_u32 v[11:12], null, s56, v23, v[7:8]
	v_mad_co_u64_u32 v[13:14], null, s71, s18, v[4:5]
	s_mov_b32 s73, s9
	v_mad_co_u64_u32 v[24:25], null, s57, v23, v[12:13]
	v_cmp_gt_i32_e32 vcc_lo, 0, v13
	v_cmp_le_i32_e64 s0, s6, v13
	v_dual_mov_b32 v14, v10 :: v_dual_mov_b32 v13, v9
	s_delay_alu instid0(VALU_DEP_4)
	v_mov_b32_e32 v12, v24
	s_or_b32 s0, vcc_lo, s0
	s_wait_alu 0xfffe
	s_nor_b32 s0, s72, s0
	s_branch .LBB81_17
.LBB81_16:                              ;   in Loop: Header=BB81_17 Depth=5
	s_or_b32 exec_lo, exec_lo, s74
	v_add_co_u32 v13, vcc_lo, v13, s64
	s_wait_alu 0xfffd
	v_add_co_ci_u32_e64 v14, null, s65, v14, vcc_lo
	v_add_co_u32 v11, vcc_lo, v11, s52
	s_wait_alu 0xfffd
	v_add_co_ci_u32_e64 v12, null, s53, v12, vcc_lo
	s_add_co_i32 s73, s73, -1
	s_delay_alu instid0(SALU_CYCLE_1)
	s_cmp_eq_u32 s73, 0
	s_cbranch_scc1 .LBB81_13
.LBB81_17:                              ;   Parent Loop BB81_3 Depth=1
                                        ;     Parent Loop BB81_8 Depth=2
                                        ;       Parent Loop BB81_11 Depth=3
                                        ;         Parent Loop BB81_14 Depth=4
                                        ; =>        This Inner Loop Header: Depth=5
	s_wait_alu 0xfffe
	s_and_saveexec_b32 s74, s0
	s_cbranch_execz .LBB81_16
; %bb.18:                               ;   in Loop: Header=BB81_17 Depth=5
	global_load_i8 v24, v[11:12], off
	global_load_i8 v25, v[13:14], off
	s_wait_loadcnt 0x0
	v_mad_i32_i24 v19, v25, v24, v19
	s_branch .LBB81_16
.LBB81_19:                              ;   in Loop: Header=BB81_3 Depth=1
	s_delay_alu instid0(VALU_DEP_2) | instskip(SKIP_3) | instid1(VALU_DEP_4)
	v_ashrrev_i32_e32 v3, 31, v21
	v_mul_lo_u32 v4, s49, v21
	v_mad_co_u64_u32 v[1:2], null, s48, v21, 0
	v_ashrrev_i32_e32 v5, 31, v20
	v_mul_lo_u32 v3, s48, v3
	s_and_b32 vcc_lo, exec_lo, s24
	s_mov_b32 s0, -1
	s_delay_alu instid0(VALU_DEP_1) | instskip(SKIP_2) | instid1(VALU_DEP_3)
	v_add3_u32 v2, v2, v3, v4
	v_mul_lo_u32 v3, s51, v20
	v_mul_lo_u32 v4, s50, v5
	v_mad_co_u64_u32 v[1:2], null, s50, v20, v[1:2]
	s_delay_alu instid0(VALU_DEP_1) | instskip(SKIP_2) | instid1(VALU_DEP_3)
	v_add3_u32 v2, v3, v2, v4
	v_mul_lo_u32 v3, v17, s45
	v_mul_lo_u32 v4, v18, s44
	v_mad_co_u64_u32 v[1:2], null, v17, s44, v[1:2]
	s_delay_alu instid0(VALU_DEP_1)
	v_add3_u32 v2, v4, v2, v3
	s_wait_alu 0xfffe
	s_cbranch_vccz .LBB81_21
; %bb.20:                               ;   in Loop: Header=BB81_3 Depth=1
	s_delay_alu instid0(VALU_DEP_1) | instskip(SKIP_2) | instid1(VALU_DEP_2)
	v_lshlrev_b64_e32 v[3:4], 2, v[1:2]
	v_mul_lo_u32 v5, v19, v15
	s_mov_b32 s0, 0
	v_add_co_u32 v3, vcc_lo, s10, v3
	s_wait_alu 0xfffd
	s_delay_alu instid0(VALU_DEP_3)
	v_add_co_ci_u32_e64 v4, null, s11, v4, vcc_lo
	global_load_b32 v6, v[3:4], off
	s_wait_loadcnt 0x0
	v_mad_co_u64_u32 v[5:6], null, v6, v16, v[5:6]
	global_store_b32 v[3:4], v5, off
.LBB81_21:                              ;   in Loop: Header=BB81_3 Depth=1
	s_wait_alu 0xfffe
	s_and_not1_b32 vcc_lo, exec_lo, s0
	s_wait_alu 0xfffe
	s_cbranch_vccnz .LBB81_2
; %bb.22:                               ;   in Loop: Header=BB81_3 Depth=1
	v_lshlrev_b64_e32 v[1:2], 2, v[1:2]
	s_delay_alu instid0(VALU_DEP_1) | instskip(SKIP_1) | instid1(VALU_DEP_2)
	v_add_co_u32 v1, vcc_lo, s10, v1
	s_wait_alu 0xfffd
	v_add_co_ci_u32_e64 v2, null, s11, v2, vcc_lo
	global_store_b32 v[1:2], v19, off
	s_branch .LBB81_2
.LBB81_23:
	s_endpgm
	.section	.rodata,"a",@progbits
	.p2align	6, 0x0
	.amdhsa_kernel naive_conv_ab_nonpacked_fwd_ndhwc_int8_t_int32_t_int32_t_0
		.amdhsa_group_segment_fixed_size 0
		.amdhsa_private_segment_fixed_size 0
		.amdhsa_kernarg_size 528
		.amdhsa_user_sgpr_count 2
		.amdhsa_user_sgpr_dispatch_ptr 0
		.amdhsa_user_sgpr_queue_ptr 0
		.amdhsa_user_sgpr_kernarg_segment_ptr 1
		.amdhsa_user_sgpr_dispatch_id 0
		.amdhsa_user_sgpr_private_segment_size 0
		.amdhsa_wavefront_size32 1
		.amdhsa_uses_dynamic_stack 0
		.amdhsa_enable_private_segment 0
		.amdhsa_system_sgpr_workgroup_id_x 1
		.amdhsa_system_sgpr_workgroup_id_y 0
		.amdhsa_system_sgpr_workgroup_id_z 0
		.amdhsa_system_sgpr_workgroup_info 0
		.amdhsa_system_vgpr_workitem_id 0
		.amdhsa_next_free_vgpr 26
		.amdhsa_next_free_sgpr 82
		.amdhsa_reserve_vcc 1
		.amdhsa_float_round_mode_32 0
		.amdhsa_float_round_mode_16_64 0
		.amdhsa_float_denorm_mode_32 3
		.amdhsa_float_denorm_mode_16_64 3
		.amdhsa_fp16_overflow 0
		.amdhsa_workgroup_processor_mode 1
		.amdhsa_memory_ordered 1
		.amdhsa_forward_progress 1
		.amdhsa_inst_pref_size 17
		.amdhsa_round_robin_scheduling 0
		.amdhsa_exception_fp_ieee_invalid_op 0
		.amdhsa_exception_fp_denorm_src 0
		.amdhsa_exception_fp_ieee_div_zero 0
		.amdhsa_exception_fp_ieee_overflow 0
		.amdhsa_exception_fp_ieee_underflow 0
		.amdhsa_exception_fp_ieee_inexact 0
		.amdhsa_exception_int_div_zero 0
	.end_amdhsa_kernel
	.text
.Lfunc_end81:
	.size	naive_conv_ab_nonpacked_fwd_ndhwc_int8_t_int32_t_int32_t_0, .Lfunc_end81-naive_conv_ab_nonpacked_fwd_ndhwc_int8_t_int32_t_int32_t_0
                                        ; -- End function
	.set naive_conv_ab_nonpacked_fwd_ndhwc_int8_t_int32_t_int32_t_0.num_vgpr, 26
	.set naive_conv_ab_nonpacked_fwd_ndhwc_int8_t_int32_t_int32_t_0.num_agpr, 0
	.set naive_conv_ab_nonpacked_fwd_ndhwc_int8_t_int32_t_int32_t_0.numbered_sgpr, 82
	.set naive_conv_ab_nonpacked_fwd_ndhwc_int8_t_int32_t_int32_t_0.num_named_barrier, 0
	.set naive_conv_ab_nonpacked_fwd_ndhwc_int8_t_int32_t_int32_t_0.private_seg_size, 0
	.set naive_conv_ab_nonpacked_fwd_ndhwc_int8_t_int32_t_int32_t_0.uses_vcc, 1
	.set naive_conv_ab_nonpacked_fwd_ndhwc_int8_t_int32_t_int32_t_0.uses_flat_scratch, 0
	.set naive_conv_ab_nonpacked_fwd_ndhwc_int8_t_int32_t_int32_t_0.has_dyn_sized_stack, 0
	.set naive_conv_ab_nonpacked_fwd_ndhwc_int8_t_int32_t_int32_t_0.has_recursion, 0
	.set naive_conv_ab_nonpacked_fwd_ndhwc_int8_t_int32_t_int32_t_0.has_indirect_call, 0
	.section	.AMDGPU.csdata,"",@progbits
; Kernel info:
; codeLenInByte = 2108
; TotalNumSgprs: 84
; NumVgprs: 26
; ScratchSize: 0
; MemoryBound: 0
; FloatMode: 240
; IeeeMode: 1
; LDSByteSize: 0 bytes/workgroup (compile time only)
; SGPRBlocks: 0
; VGPRBlocks: 3
; NumSGPRsForWavesPerEU: 84
; NumVGPRsForWavesPerEU: 26
; Occupancy: 16
; WaveLimiterHint : 1
; COMPUTE_PGM_RSRC2:SCRATCH_EN: 0
; COMPUTE_PGM_RSRC2:USER_SGPR: 2
; COMPUTE_PGM_RSRC2:TRAP_HANDLER: 0
; COMPUTE_PGM_RSRC2:TGID_X_EN: 1
; COMPUTE_PGM_RSRC2:TGID_Y_EN: 0
; COMPUTE_PGM_RSRC2:TGID_Z_EN: 0
; COMPUTE_PGM_RSRC2:TIDIG_COMP_CNT: 0
	.text
	.protected	naive_conv_ab_packed_fwd_ndhwc_int8_t_int32_t_float_0 ; -- Begin function naive_conv_ab_packed_fwd_ndhwc_int8_t_int32_t_float_0
	.globl	naive_conv_ab_packed_fwd_ndhwc_int8_t_int32_t_float_0
	.p2align	8
	.type	naive_conv_ab_packed_fwd_ndhwc_int8_t_int32_t_float_0,@function
naive_conv_ab_packed_fwd_ndhwc_int8_t_int32_t_float_0: ; @naive_conv_ab_packed_fwd_ndhwc_int8_t_int32_t_float_0
; %bb.0:
	s_load_b512 s[4:19], s[0:1], 0xb8
	s_mov_b32 s25, exec_lo
	s_wait_kmcnt 0x0
	s_abs_i32 s3, s10
	s_mul_i32 s65, s12, s8
	s_cvt_f32_u32 s2, s3
	s_delay_alu instid0(SALU_CYCLE_3) | instskip(NEXT) | instid1(TRANS32_DEP_1)
	v_rcp_iflag_f32_e32 v1, s2
	v_readfirstlane_b32 s2, v1
	s_mul_f32 s2, s2, 0x4f7ffffe
	s_wait_alu 0xfffe
	s_delay_alu instid0(SALU_CYCLE_2) | instskip(SKIP_2) | instid1(SALU_CYCLE_1)
	s_cvt_u32_f32 s20, s2
	s_sub_co_i32 s2, 0, s3
	s_wait_alu 0xfffe
	s_mul_i32 s2, s2, s20
	s_wait_alu 0xfffe
	s_mul_hi_u32 s21, s20, s2
	s_abs_i32 s2, ttmp9
	s_add_co_i32 s20, s20, s21
	s_wait_alu 0xfffe
	s_mul_hi_u32 s20, s2, s20
	s_delay_alu instid0(SALU_CYCLE_1) | instskip(SKIP_2) | instid1(SALU_CYCLE_1)
	s_mul_i32 s21, s20, s3
	s_add_co_i32 s22, s20, 1
	s_sub_co_i32 s21, s2, s21
	s_sub_co_i32 s23, s21, s3
	s_cmp_ge_u32 s21, s3
	s_cselect_b32 s20, s22, s20
	s_cselect_b32 s21, s23, s21
	s_add_co_i32 s22, s20, 1
	s_cmp_ge_u32 s21, s3
	s_mul_i32 s21, s10, s7
	s_cselect_b32 s22, s22, s20
	s_abs_i32 s20, s7
	s_abs_i32 s28, s21
	s_cvt_f32_u32 s3, s20
	s_cvt_f32_u32 s7, s28
	s_wait_alu 0xfffe
	s_delay_alu instid0(SALU_CYCLE_1) | instskip(NEXT) | instid1(SALU_CYCLE_1)
	v_rcp_iflag_f32_e32 v1, s3
	v_rcp_iflag_f32_e32 v2, s7
	s_mul_i32 s7, s65, s11
	s_mov_b32 s3, 0
	s_delay_alu instid0(TRANS32_DEP_2) | instskip(NEXT) | instid1(TRANS32_DEP_1)
	v_readfirstlane_b32 s24, v1
	v_readfirstlane_b32 s23, v2
	s_wait_alu 0xfffe
	v_cmpx_gt_i32_e64 s7, v0
	s_cbranch_execz .LBB82_21
; %bb.1:
	s_mul_f32 s24, s24, 0x4f7ffffe
	s_ashr_i32 s26, ttmp9, 31
	s_ashr_i32 s49, s10, 31
	s_sub_co_i32 s25, 0, s20
	s_cvt_u32_f32 s24, s24
	s_xor_b32 s27, s26, s49
	s_mul_f32 s29, s23, 0x4f7ffffe
	s_xor_b32 s22, s22, s27
	s_mul_i32 s25, s25, s24
	s_sub_co_i32 s27, s22, s27
	s_mul_hi_u32 s23, s24, s25
	s_abs_i32 s22, s27
	s_add_co_i32 s24, s24, s23
	s_mov_b32 s23, s3
	s_cvt_u32_f32 s29, s29
	s_mov_b32 s25, s3
	s_sub_co_i32 s30, 0, s28
	s_mul_u64 s[24:25], s[22:23], s[24:25]
	s_mul_i32 s30, s30, s29
	s_mul_i32 s25, s25, s20
	s_ashr_i32 s23, s27, 31
	s_mul_hi_u32 s24, s29, s30
	s_mul_i32 s27, s27, s10
	s_sub_co_i32 s22, s22, s25
	s_ashr_i32 s21, s21, 31
	s_add_co_i32 s24, s29, s24
	s_sub_co_i32 s50, ttmp9, s27
	s_sub_co_i32 s27, s22, s20
	s_cmp_ge_u32 s22, s20
	s_mov_b32 s25, s3
	s_cselect_b32 s22, s27, s22
	s_mul_u64 s[30:31], s[2:3], s[24:25]
	s_sub_co_i32 s24, s22, s20
	s_cmp_ge_u32 s22, s20
	s_load_b64 s[34:35], s[0:1], 0x108
	s_cselect_b32 s20, s24, s22
	s_xor_b32 s37, s26, s21
	s_xor_b32 s20, s20, s23
	s_add_co_i32 s29, s31, 1
	s_sub_co_i32 s52, s20, s23
	s_mul_i32 s20, s31, s28
	s_mov_b32 s48, s10
	s_sub_co_i32 s2, s2, s20
	s_load_b256 s[20:27], s[0:1], 0x0
	s_sub_co_i32 s30, s2, s28
	s_cmp_ge_u32 s2, s28
	s_mov_b32 s56, s11
	s_cselect_b32 s33, s29, s31
	s_cselect_b32 s2, s30, s2
	s_add_co_i32 s36, s33, 1
	s_wait_alu 0xfffe
	s_cmp_ge_u32 s2, s28
	s_load_b128 s[28:31], s[0:1], 0xf8
	s_cselect_b32 s2, s36, s33
	s_ashr_i32 s53, s52, 31
	s_wait_kmcnt 0x0
	s_mul_i32 s36, s35, s8
	s_wait_alu 0xfffe
	s_xor_b32 s2, s2, s37
	s_ashr_i32 s57, s11, 31
	s_ashr_i32 s11, s12, 31
	s_mov_b32 s10, s12
	s_wait_alu 0xfffe
	s_sub_co_i32 s60, s2, s37
	s_mul_u64 s[58:59], s[52:53], s[48:49]
	s_mul_u64 s[56:57], s[10:11], s[56:57]
	s_ashr_i32 s51, s50, 31
	s_ashr_i32 s37, s36, 31
	;; [unrolled: 1-line block ×4, first 2 shown]
	s_mov_b32 s42, s8
	s_add_nc_u64 s[58:59], s[58:59], s[50:51]
	s_mul_u64 s[56:57], s[56:57], s[36:37]
	s_mul_i32 s33, s35, s9
	s_mul_u64 s[46:47], s[60:61], s[42:43]
	s_mul_u64 s[56:57], s[56:57], s[58:59]
	v_cmp_neq_f64_e64 s2, s[24:25], 1.0
	v_cmp_neq_f64_e64 s70, s[26:27], 0
	s_ashr_i32 s39, s4, 31
	s_ashr_i32 s41, s5, 31
	;; [unrolled: 1-line block ×8, first 2 shown]
	s_lshl_b64 s[62:63], s[56:57], 2
	s_lshl_b64 s[66:67], s[46:47], 2
	s_cmp_lt_i32 s30, 1
	s_mul_i32 s13, s50, s13
	s_cselect_b32 s11, -1, 0
	s_sub_co_i32 s19, s13, s19
	s_cmp_gt_i32 s31, 0
	s_load_b32 s64, s[0:1], 0x11c
	s_cselect_b32 s42, -1, 0
	s_cmp_gt_i32 s34, 0
	s_load_b64 s[0:1], s[0:1], 0x20
	s_cselect_b32 s56, -1, 0
	s_cmp_gt_i32 s9, 0
	v_cvt_i32_f64_e32 v19, s[24:25]
	s_cselect_b32 s57, -1, 0
	s_abs_i32 s58, s8
	s_abs_i32 s59, s12
	s_cvt_f32_u32 s13, s58
	v_cvt_i32_f64_e32 v20, s[26:27]
	s_mov_b32 s38, s4
	s_cvt_f32_u32 s4, s59
	v_rcp_iflag_f32_e32 v1, s13
	s_mov_b32 s44, s9
	s_mov_b32 s40, s5
	s_mul_u64 s[68:69], s[60:61], s[44:45]
	s_abs_i32 s60, s65
	v_rcp_iflag_f32_e32 v2, s4
	s_cvt_f32_u32 s4, s60
	s_mov_b32 s50, s31
	s_or_b32 s61, s2, s70
	s_wait_kmcnt 0x0
	s_add_nc_u64 s[0:1], s[0:1], s[62:63]
	v_readfirstlane_b32 s5, v1
	s_wait_alu 0xfffe
	v_rcp_iflag_f32_e32 v1, s4
	s_and_b32 s62, s64, 0xffff
	s_mov_b32 s48, s30
	s_mul_u64 s[26:27], s[34:35], s[44:45]
	s_mul_f32 s12, s5, 0x4f7ffffe
	v_readfirstlane_b32 s13, v2
	s_add_nc_u64 s[4:5], s[0:1], s[66:67]
	s_sub_co_i32 s1, 0, s58
	s_wait_alu 0xfffe
	s_cvt_u32_f32 s0, s12
	s_add_nc_u64 s[20:21], s[20:21], s[68:69]
	v_readfirstlane_b32 s12, v1
	s_mul_f32 s2, s13, 0x4f7ffffe
	s_mul_i32 s1, s1, s0
	s_sub_co_i32 s13, 0, s59
	s_mul_hi_u32 s1, s0, s1
	s_wait_alu 0xfffe
	s_cvt_u32_f32 s2, s2
	s_mul_f32 s12, s12, 0x4f7ffffe
	s_add_co_i32 s63, s0, s1
	s_sub_co_i32 s1, 0, s60
	s_wait_alu 0xfffe
	s_mul_i32 s13, s13, s2
	s_cvt_u32_f32 s12, s12
	s_wait_alu 0xfffe
	s_mul_hi_u32 s0, s2, s13
	s_delay_alu instid0(SALU_CYCLE_1)
	s_add_co_i32 s64, s2, s0
	s_mul_i32 s2, s1, s12
	s_mul_u64 s[0:1], s[34:35], s[50:51]
	s_wait_alu 0xfffe
	s_mul_hi_u32 s2, s12, s2
	s_mul_u64 s[24:25], s[0:1], s[44:45]
	s_ashr_i32 s51, s65, 31
	s_wait_alu 0xfffe
	s_add_co_i32 s65, s12, s2
	s_mul_u64 s[12:13], s[38:39], s[52:53]
	s_mul_u64 s[30:31], s[24:25], s[48:49]
	s_mov_b32 s35, 0
	s_branch .LBB82_3
.LBB82_2:                               ;   in Loop: Header=BB82_3 Depth=1
	v_add_nc_u32_e32 v0, s62, v0
	s_delay_alu instid0(VALU_DEP_2) | instskip(NEXT) | instid1(VALU_DEP_2)
	v_cvt_f32_i32_e32 v3, v3
	v_cmp_le_i32_e32 vcc_lo, s7, v0
	global_store_b32 v[1:2], v3, off
	s_or_b32 s35, vcc_lo, s35
	s_delay_alu instid0(SALU_CYCLE_1)
	s_and_not1_b32 exec_lo, exec_lo, s35
	s_cbranch_execz .LBB82_21
.LBB82_3:                               ; =>This Loop Header: Depth=1
                                        ;     Child Loop BB82_8 Depth 2
                                        ;       Child Loop BB82_11 Depth 3
                                        ;         Child Loop BB82_14 Depth 4
                                        ;           Child Loop BB82_17 Depth 5
	v_sub_nc_u32_e32 v1, 0, v0
	s_mov_b32 s39, -1
	s_delay_alu instid0(VALU_DEP_1) | instskip(NEXT) | instid1(VALU_DEP_1)
	v_max_i32_e32 v1, v0, v1
	v_mul_hi_u32 v2, v1, s63
	s_delay_alu instid0(VALU_DEP_1) | instskip(NEXT) | instid1(VALU_DEP_1)
	v_mul_lo_u32 v3, v2, s58
	v_sub_nc_u32_e32 v4, v1, v3
	s_delay_alu instid0(VALU_DEP_1) | instskip(SKIP_2) | instid1(VALU_DEP_2)
	v_subrev_nc_u32_e32 v5, s58, v4
	v_cmp_le_u32_e32 vcc_lo, s58, v4
	s_wait_alu 0xfffd
	v_dual_cndmask_b32 v4, v4, v5 :: v_dual_add_nc_u32 v3, 1, v2
	s_delay_alu instid0(VALU_DEP_1) | instskip(SKIP_1) | instid1(VALU_DEP_3)
	v_cndmask_b32_e32 v2, v2, v3, vcc_lo
	v_ashrrev_i32_e32 v3, 31, v0
	v_cmp_le_u32_e32 vcc_lo, s58, v4
	s_delay_alu instid0(VALU_DEP_3) | instskip(NEXT) | instid1(VALU_DEP_3)
	v_add_nc_u32_e32 v5, 1, v2
	v_xor_b32_e32 v6, s43, v3
	s_wait_alu 0xfffd
	s_delay_alu instid0(VALU_DEP_2) | instskip(SKIP_1) | instid1(VALU_DEP_2)
	v_cndmask_b32_e32 v2, v2, v5, vcc_lo
	v_mul_hi_u32 v5, v1, s65
	v_xor_b32_e32 v2, v2, v6
	s_delay_alu instid0(VALU_DEP_2) | instskip(NEXT) | instid1(VALU_DEP_2)
	v_mul_lo_u32 v7, v5, s60
	v_sub_nc_u32_e32 v4, v2, v6
	s_delay_alu instid0(VALU_DEP_1) | instskip(SKIP_1) | instid1(VALU_DEP_4)
	v_sub_nc_u32_e32 v2, 0, v4
	v_mul_lo_u32 v8, v4, s8
	v_sub_nc_u32_e32 v1, v1, v7
	s_delay_alu instid0(VALU_DEP_3) | instskip(NEXT) | instid1(VALU_DEP_2)
	v_max_i32_e32 v2, v4, v2
	v_subrev_nc_u32_e32 v7, s60, v1
	v_cmp_le_u32_e64 s1, s60, v1
	s_delay_alu instid0(VALU_DEP_3) | instskip(NEXT) | instid1(VALU_DEP_1)
	v_mul_hi_u32 v6, v2, s64
	v_mul_lo_u32 v6, v6, s59
	s_delay_alu instid0(VALU_DEP_1) | instskip(NEXT) | instid1(VALU_DEP_1)
	v_sub_nc_u32_e32 v2, v2, v6
	v_subrev_nc_u32_e32 v6, s59, v2
	v_cmp_le_u32_e32 vcc_lo, s59, v2
	s_wait_alu 0xfffd
	s_delay_alu instid0(VALU_DEP_2)
	v_cndmask_b32_e32 v6, v2, v6, vcc_lo
	s_wait_alu 0xf1ff
	v_cndmask_b32_e64 v2, v1, v7, s1
	v_sub_nc_u32_e32 v1, v0, v8
	s_and_not1_b32 vcc_lo, exec_lo, s11
	v_cmp_le_u32_e64 s0, s59, v6
	s_delay_alu instid0(VALU_DEP_3)
	v_cmp_le_u32_e64 s2, s60, v2
	s_wait_alu 0xfffe
	s_cbranch_vccnz .LBB82_5
; %bb.4:                                ;   in Loop: Header=BB82_3 Depth=1
	v_ashrrev_i32_e32 v2, 31, v1
	s_mov_b32 s39, 0
.LBB82_5:                               ;   in Loop: Header=BB82_3 Depth=1
	v_add_nc_u32_e32 v7, 1, v5
	v_ashrrev_i32_e32 v4, 31, v4
	v_xor_b32_e32 v3, s51, v3
	s_wait_alu 0xfffe
	s_and_not1_b32 vcc_lo, exec_lo, s39
	v_cndmask_b32_e64 v5, v5, v7, s1
	v_subrev_nc_u32_e32 v7, s59, v6
	s_delay_alu instid0(VALU_DEP_2) | instskip(NEXT) | instid1(VALU_DEP_2)
	v_add_nc_u32_e32 v8, 1, v5
	v_cndmask_b32_e64 v6, v6, v7, s0
	s_delay_alu instid0(VALU_DEP_2) | instskip(NEXT) | instid1(VALU_DEP_2)
	v_cndmask_b32_e64 v5, v5, v8, s2
	v_xor_b32_e32 v6, v6, v4
	s_delay_alu instid0(VALU_DEP_2) | instskip(NEXT) | instid1(VALU_DEP_2)
	v_xor_b32_e32 v5, v5, v3
	v_sub_nc_u32_e32 v4, v6, v4
	s_delay_alu instid0(VALU_DEP_2)
	v_sub_nc_u32_e32 v21, v5, v3
	v_mov_b32_e32 v3, 0
	s_wait_alu 0xfffe
	s_cbranch_vccnz .LBB82_19
; %bb.6:                                ;   in Loop: Header=BB82_3 Depth=1
	v_ashrrev_i32_e32 v2, 31, v1
	v_add_co_u32 v3, vcc_lo, s46, v1
	v_mul_lo_u32 v7, v21, s14
	v_mul_lo_u32 v9, v4, s15
	s_wait_alu 0xfffd
	v_add_co_ci_u32_e64 v8, null, s47, v2, vcc_lo
	v_mul_lo_u32 v10, s31, v3
	v_mad_co_u64_u32 v[5:6], null, s30, v3, s[22:23]
	s_delay_alu instid0(VALU_DEP_3) | instskip(SKIP_4) | instid1(VALU_DEP_3)
	v_mul_lo_u32 v3, s30, v8
	v_subrev_nc_u32_e32 v7, s28, v7
	v_subrev_nc_u32_e32 v8, s29, v9
	s_mov_b32 s1, 0
	s_mov_b32 s2, s19
	v_add3_u32 v6, v10, v6, v3
	v_mov_b32_e32 v3, 0
	s_branch .LBB82_8
.LBB82_7:                               ;   in Loop: Header=BB82_8 Depth=2
	v_add_co_u32 v5, vcc_lo, v5, s24
	s_wait_alu 0xfffd
	v_add_co_ci_u32_e64 v6, null, s25, v6, vcc_lo
	s_add_co_i32 s1, s1, 1
	s_add_co_i32 s2, s2, s16
	s_wait_alu 0xfffe
	s_cmp_eq_u32 s1, s48
	s_cbranch_scc1 .LBB82_19
.LBB82_8:                               ;   Parent Loop BB82_3 Depth=1
                                        ; =>  This Loop Header: Depth=2
                                        ;       Child Loop BB82_11 Depth 3
                                        ;         Child Loop BB82_14 Depth 4
                                        ;           Child Loop BB82_17 Depth 5
	s_and_not1_b32 vcc_lo, exec_lo, s42
	s_wait_alu 0xfffe
	s_cbranch_vccnz .LBB82_7
; %bb.9:                                ;   in Loop: Header=BB82_8 Depth=2
	s_mul_i32 s0, s1, s16
	v_dual_mov_b32 v10, v6 :: v_dual_mov_b32 v9, v5
	s_wait_alu 0xfffe
	s_add_co_i32 s0, s0, s19
	v_mov_b32_e32 v22, v7
	s_wait_alu 0xfffe
	s_cmp_lt_i32 s0, 0
	s_add_nc_u64 s[52:53], s[12:13], s[2:3]
	s_cselect_b32 s49, -1, 0
	s_cmp_ge_i32 s0, s38
	s_wait_alu 0xfffe
	s_mul_u64 s[52:53], s[40:41], s[52:53]
	s_cselect_b32 s0, -1, 0
	s_mov_b32 s39, 0
	s_wait_alu 0xfffe
	s_or_b32 s49, s49, s0
	s_branch .LBB82_11
.LBB82_10:                              ;   in Loop: Header=BB82_11 Depth=3
	v_add_co_u32 v9, vcc_lo, v9, s26
	v_add_nc_u32_e32 v22, s17, v22
	s_wait_alu 0xfffd
	v_add_co_ci_u32_e64 v10, null, s27, v10, vcc_lo
	s_add_co_i32 s39, s39, 1
	s_wait_alu 0xfffe
	s_cmp_eq_u32 s39, s50
	s_cbranch_scc1 .LBB82_7
.LBB82_11:                              ;   Parent Loop BB82_3 Depth=1
                                        ;     Parent Loop BB82_8 Depth=2
                                        ; =>    This Loop Header: Depth=3
                                        ;         Child Loop BB82_14 Depth 4
                                        ;           Child Loop BB82_17 Depth 5
	s_and_not1_b32 vcc_lo, exec_lo, s56
	s_wait_alu 0xfffe
	s_cbranch_vccnz .LBB82_10
; %bb.12:                               ;   in Loop: Header=BB82_11 Depth=3
	v_add_co_u32 v11, s0, s52, v22
	s_wait_alu 0xf1ff
	v_add_co_ci_u32_e64 v12, null, s53, 0, s0
	v_mad_co_u64_u32 v[13:14], null, s39, s17, v[7:8]
	s_delay_alu instid0(VALU_DEP_3) | instskip(NEXT) | instid1(VALU_DEP_3)
	v_mul_lo_u32 v15, s54, v11
	v_mul_lo_u32 v16, s6, v12
	v_mad_co_u64_u32 v[11:12], null, s6, v11, 0
	v_mov_b32_e32 v23, v8
	s_mov_b32 s66, 0
	v_cmp_gt_i32_e32 vcc_lo, 0, v13
	v_cmp_le_i32_e64 s0, s40, v13
	v_dual_mov_b32 v14, v10 :: v_dual_mov_b32 v13, v9
	v_add3_u32 v12, v12, v16, v15
	s_or_b32 s0, vcc_lo, s0
	s_wait_alu 0xfffe
	s_or_b32 s67, s49, s0
	s_branch .LBB82_14
.LBB82_13:                              ;   in Loop: Header=BB82_14 Depth=4
	v_add_co_u32 v13, vcc_lo, v13, s44
	v_add_nc_u32_e32 v23, s18, v23
	s_wait_alu 0xfffd
	v_add_co_ci_u32_e64 v14, null, s45, v14, vcc_lo
	s_add_co_i32 s66, s66, 1
	s_wait_alu 0xfffe
	s_cmp_eq_u32 s66, s34
	s_cbranch_scc1 .LBB82_10
.LBB82_14:                              ;   Parent Loop BB82_3 Depth=1
                                        ;     Parent Loop BB82_8 Depth=2
                                        ;       Parent Loop BB82_11 Depth=3
                                        ; =>      This Loop Header: Depth=4
                                        ;           Child Loop BB82_17 Depth 5
	s_and_not1_b32 vcc_lo, exec_lo, s57
	s_wait_alu 0xfffe
	s_cbranch_vccnz .LBB82_13
; %bb.15:                               ;   in Loop: Header=BB82_14 Depth=4
	v_add_co_u32 v15, vcc_lo, v11, v23
	s_wait_alu 0xfffd
	v_add_co_ci_u32_e64 v16, null, 0, v12, vcc_lo
	v_mad_co_u64_u32 v[17:18], null, s66, s18, v[8:9]
	s_delay_alu instid0(VALU_DEP_3) | instskip(NEXT) | instid1(VALU_DEP_3)
	v_mul_lo_u32 v24, s55, v15
	v_mul_lo_u32 v18, s33, v16
	v_mad_co_u64_u32 v[15:16], null, s33, v15, s[20:21]
	s_mov_b32 s68, s9
	v_cmp_gt_i32_e32 vcc_lo, 0, v17
	v_cmp_le_i32_e64 s0, s6, v17
	v_add3_u32 v16, v24, v16, v18
	v_dual_mov_b32 v18, v14 :: v_dual_mov_b32 v17, v13
	s_or_b32 s0, vcc_lo, s0
	s_wait_alu 0xfffe
	s_nor_b32 s0, s67, s0
	s_branch .LBB82_17
.LBB82_16:                              ;   in Loop: Header=BB82_17 Depth=5
	s_or_b32 exec_lo, exec_lo, s69
	v_add_co_u32 v15, vcc_lo, v15, 1
	s_wait_alu 0xfffd
	v_add_co_ci_u32_e64 v16, null, 0, v16, vcc_lo
	v_add_co_u32 v17, vcc_lo, v17, 1
	s_wait_alu 0xfffd
	v_add_co_ci_u32_e64 v18, null, 0, v18, vcc_lo
	s_add_co_i32 s68, s68, -1
	s_delay_alu instid0(SALU_CYCLE_1)
	s_cmp_eq_u32 s68, 0
	s_cbranch_scc1 .LBB82_13
.LBB82_17:                              ;   Parent Loop BB82_3 Depth=1
                                        ;     Parent Loop BB82_8 Depth=2
                                        ;       Parent Loop BB82_11 Depth=3
                                        ;         Parent Loop BB82_14 Depth=4
                                        ; =>        This Inner Loop Header: Depth=5
	s_wait_alu 0xfffe
	s_and_saveexec_b32 s69, s0
	s_cbranch_execz .LBB82_16
; %bb.18:                               ;   in Loop: Header=BB82_17 Depth=5
	global_load_i8 v24, v[15:16], off
	global_load_i8 v25, v[17:18], off
	s_wait_loadcnt 0x0
	v_mad_i32_i24 v3, v25, v24, v3
	s_branch .LBB82_16
.LBB82_19:                              ;   in Loop: Header=BB82_3 Depth=1
	v_ashrrev_i32_e32 v5, 31, v4
	v_lshlrev_b64_e32 v[1:2], 2, v[1:2]
	s_delay_alu instid0(VALU_DEP_2) | instskip(NEXT) | instid1(VALU_DEP_1)
	v_mad_co_i64_i32 v[4:5], null, v21, s10, v[4:5]
	v_mul_lo_u32 v6, v5, s36
	s_delay_alu instid0(VALU_DEP_2) | instskip(SKIP_1) | instid1(VALU_DEP_1)
	v_mul_lo_u32 v7, v4, s37
	v_mad_co_u64_u32 v[4:5], null, v4, s36, 0
	v_add3_u32 v5, v5, v7, v6
	s_delay_alu instid0(VALU_DEP_1) | instskip(NEXT) | instid1(VALU_DEP_1)
	v_lshlrev_b64_e32 v[4:5], 2, v[4:5]
	v_add_co_u32 v4, vcc_lo, s4, v4
	s_wait_alu 0xfffd
	s_delay_alu instid0(VALU_DEP_2) | instskip(NEXT) | instid1(VALU_DEP_2)
	v_add_co_ci_u32_e64 v5, null, s5, v5, vcc_lo
	v_add_co_u32 v1, vcc_lo, v4, v1
	s_wait_alu 0xfffd
	s_delay_alu instid0(VALU_DEP_2)
	v_add_co_ci_u32_e64 v2, null, v5, v2, vcc_lo
	s_and_not1_b32 vcc_lo, exec_lo, s61
	s_wait_alu 0xfffe
	s_cbranch_vccnz .LBB82_2
; %bb.20:                               ;   in Loop: Header=BB82_3 Depth=1
	global_load_b32 v4, v[1:2], off
	v_mul_lo_u32 v3, v3, v19
	s_wait_loadcnt 0x0
	v_cvt_i32_f32_e32 v4, v4
	s_delay_alu instid0(VALU_DEP_1)
	v_mad_co_u64_u32 v[3:4], null, v4, v20, v[3:4]
	s_branch .LBB82_2
.LBB82_21:
	s_endpgm
	.section	.rodata,"a",@progbits
	.p2align	6, 0x0
	.amdhsa_kernel naive_conv_ab_packed_fwd_ndhwc_int8_t_int32_t_float_0
		.amdhsa_group_segment_fixed_size 0
		.amdhsa_private_segment_fixed_size 0
		.amdhsa_kernarg_size 528
		.amdhsa_user_sgpr_count 2
		.amdhsa_user_sgpr_dispatch_ptr 0
		.amdhsa_user_sgpr_queue_ptr 0
		.amdhsa_user_sgpr_kernarg_segment_ptr 1
		.amdhsa_user_sgpr_dispatch_id 0
		.amdhsa_user_sgpr_private_segment_size 0
		.amdhsa_wavefront_size32 1
		.amdhsa_uses_dynamic_stack 0
		.amdhsa_enable_private_segment 0
		.amdhsa_system_sgpr_workgroup_id_x 1
		.amdhsa_system_sgpr_workgroup_id_y 0
		.amdhsa_system_sgpr_workgroup_id_z 0
		.amdhsa_system_sgpr_workgroup_info 0
		.amdhsa_system_vgpr_workitem_id 0
		.amdhsa_next_free_vgpr 26
		.amdhsa_next_free_sgpr 71
		.amdhsa_reserve_vcc 1
		.amdhsa_float_round_mode_32 0
		.amdhsa_float_round_mode_16_64 0
		.amdhsa_float_denorm_mode_32 3
		.amdhsa_float_denorm_mode_16_64 3
		.amdhsa_fp16_overflow 0
		.amdhsa_workgroup_processor_mode 1
		.amdhsa_memory_ordered 1
		.amdhsa_forward_progress 1
		.amdhsa_inst_pref_size 17
		.amdhsa_round_robin_scheduling 0
		.amdhsa_exception_fp_ieee_invalid_op 0
		.amdhsa_exception_fp_denorm_src 0
		.amdhsa_exception_fp_ieee_div_zero 0
		.amdhsa_exception_fp_ieee_overflow 0
		.amdhsa_exception_fp_ieee_underflow 0
		.amdhsa_exception_fp_ieee_inexact 0
		.amdhsa_exception_int_div_zero 0
	.end_amdhsa_kernel
	.text
.Lfunc_end82:
	.size	naive_conv_ab_packed_fwd_ndhwc_int8_t_int32_t_float_0, .Lfunc_end82-naive_conv_ab_packed_fwd_ndhwc_int8_t_int32_t_float_0
                                        ; -- End function
	.set naive_conv_ab_packed_fwd_ndhwc_int8_t_int32_t_float_0.num_vgpr, 26
	.set naive_conv_ab_packed_fwd_ndhwc_int8_t_int32_t_float_0.num_agpr, 0
	.set naive_conv_ab_packed_fwd_ndhwc_int8_t_int32_t_float_0.numbered_sgpr, 71
	.set naive_conv_ab_packed_fwd_ndhwc_int8_t_int32_t_float_0.num_named_barrier, 0
	.set naive_conv_ab_packed_fwd_ndhwc_int8_t_int32_t_float_0.private_seg_size, 0
	.set naive_conv_ab_packed_fwd_ndhwc_int8_t_int32_t_float_0.uses_vcc, 1
	.set naive_conv_ab_packed_fwd_ndhwc_int8_t_int32_t_float_0.uses_flat_scratch, 0
	.set naive_conv_ab_packed_fwd_ndhwc_int8_t_int32_t_float_0.has_dyn_sized_stack, 0
	.set naive_conv_ab_packed_fwd_ndhwc_int8_t_int32_t_float_0.has_recursion, 0
	.set naive_conv_ab_packed_fwd_ndhwc_int8_t_int32_t_float_0.has_indirect_call, 0
	.section	.AMDGPU.csdata,"",@progbits
; Kernel info:
; codeLenInByte = 2144
; TotalNumSgprs: 73
; NumVgprs: 26
; ScratchSize: 0
; MemoryBound: 0
; FloatMode: 240
; IeeeMode: 1
; LDSByteSize: 0 bytes/workgroup (compile time only)
; SGPRBlocks: 0
; VGPRBlocks: 3
; NumSGPRsForWavesPerEU: 73
; NumVGPRsForWavesPerEU: 26
; Occupancy: 16
; WaveLimiterHint : 1
; COMPUTE_PGM_RSRC2:SCRATCH_EN: 0
; COMPUTE_PGM_RSRC2:USER_SGPR: 2
; COMPUTE_PGM_RSRC2:TRAP_HANDLER: 0
; COMPUTE_PGM_RSRC2:TGID_X_EN: 1
; COMPUTE_PGM_RSRC2:TGID_Y_EN: 0
; COMPUTE_PGM_RSRC2:TGID_Z_EN: 0
; COMPUTE_PGM_RSRC2:TIDIG_COMP_CNT: 0
	.text
	.protected	naive_conv_ab_nonpacked_fwd_ndhwc_int8_t_int32_t_float_0 ; -- Begin function naive_conv_ab_nonpacked_fwd_ndhwc_int8_t_int32_t_float_0
	.globl	naive_conv_ab_nonpacked_fwd_ndhwc_int8_t_int32_t_float_0
	.p2align	8
	.type	naive_conv_ab_nonpacked_fwd_ndhwc_int8_t_int32_t_float_0,@function
naive_conv_ab_nonpacked_fwd_ndhwc_int8_t_int32_t_float_0: ; @naive_conv_ab_nonpacked_fwd_ndhwc_int8_t_int32_t_float_0
; %bb.0:
	s_load_b512 s[4:19], s[0:1], 0xb8
	s_mov_b32 s24, exec_lo
	s_wait_kmcnt 0x0
	s_abs_i32 s3, s10
	s_mul_i32 s69, s12, s8
	s_cvt_f32_u32 s2, s3
	s_delay_alu instid0(SALU_CYCLE_3) | instskip(NEXT) | instid1(TRANS32_DEP_1)
	v_rcp_iflag_f32_e32 v1, s2
	v_readfirstlane_b32 s2, v1
	s_mul_f32 s2, s2, 0x4f7ffffe
	s_wait_alu 0xfffe
	s_delay_alu instid0(SALU_CYCLE_2) | instskip(SKIP_2) | instid1(SALU_CYCLE_1)
	s_cvt_u32_f32 s20, s2
	s_sub_co_i32 s2, 0, s3
	s_wait_alu 0xfffe
	s_mul_i32 s2, s2, s20
	s_wait_alu 0xfffe
	s_mul_hi_u32 s21, s20, s2
	s_abs_i32 s2, ttmp9
	s_add_co_i32 s20, s20, s21
	s_wait_alu 0xfffe
	s_mul_hi_u32 s20, s2, s20
	s_delay_alu instid0(SALU_CYCLE_1) | instskip(SKIP_2) | instid1(SALU_CYCLE_1)
	s_mul_i32 s21, s20, s3
	s_add_co_i32 s22, s20, 1
	s_sub_co_i32 s21, s2, s21
	s_sub_co_i32 s23, s21, s3
	s_cmp_ge_u32 s21, s3
	s_cselect_b32 s20, s22, s20
	s_cselect_b32 s21, s23, s21
	s_add_co_i32 s22, s20, 1
	s_cmp_ge_u32 s21, s3
	s_mul_i32 s21, s10, s7
	s_cselect_b32 s22, s22, s20
	s_abs_i32 s20, s7
	s_abs_i32 s33, s21
	s_cvt_f32_u32 s3, s20
	s_cvt_f32_u32 s7, s33
	s_wait_alu 0xfffe
	s_delay_alu instid0(SALU_CYCLE_1) | instskip(NEXT) | instid1(SALU_CYCLE_1)
	v_rcp_iflag_f32_e32 v1, s3
	v_rcp_iflag_f32_e32 v2, s7
	s_mul_i32 s7, s69, s11
	s_mov_b32 s3, 0
	s_delay_alu instid0(TRANS32_DEP_2) | instskip(NEXT) | instid1(TRANS32_DEP_1)
	v_readfirstlane_b32 s23, v1
	v_readfirstlane_b32 s11, v2
	s_wait_alu 0xfffe
	v_cmpx_gt_i32_e64 s7, v0
	s_cbranch_execz .LBB83_21
; %bb.1:
	s_mul_f32 s23, s23, 0x4f7ffffe
	s_ashr_i32 s26, ttmp9, 31
	s_ashr_i32 s24, s10, 31
	s_mul_f32 s11, s11, 0x4f7ffffe
	s_cvt_u32_f32 s23, s23
	s_sub_co_i32 s25, 0, s20
	s_xor_b32 s24, s26, s24
	s_cvt_u32_f32 s11, s11
	s_xor_b32 s22, s22, s24
	s_mul_i32 s25, s25, s23
	s_sub_co_i32 s27, s22, s24
	s_mul_hi_u32 s24, s23, s25
	s_sub_co_i32 s28, 0, s33
	s_abs_i32 s22, s27
	s_add_co_i32 s24, s23, s24
	s_mov_b32 s23, s3
	s_mov_b32 s25, s3
	s_mul_i32 s28, s28, s11
	s_mul_u64 s[24:25], s[22:23], s[24:25]
	s_mul_hi_u32 s24, s11, s28
	s_ashr_i32 s23, s27, 31
	s_add_co_i32 s24, s11, s24
	s_mul_i32 s11, s25, s20
	s_mul_i32 s27, s27, s10
	s_sub_co_i32 s11, s22, s11
	s_ashr_i32 s21, s21, 31
	s_sub_co_i32 s10, ttmp9, s27
	s_sub_co_i32 s22, s11, s20
	s_cmp_ge_u32 s11, s20
	s_mov_b32 s25, s3
	s_cselect_b32 s11, s22, s11
	s_mul_u64 s[34:35], s[2:3], s[24:25]
	s_sub_co_i32 s22, s11, s20
	s_cmp_ge_u32 s11, s20
	s_load_b512 s[36:51], s[0:1], 0x68
	s_cselect_b32 s11, s22, s11
	s_clause 0x1
	s_load_b128 s[28:31], s[0:1], 0xf8
	s_load_b128 s[52:55], s[0:1], 0xa8
	s_xor_b32 s11, s11, s23
	s_xor_b32 s34, s26, s21
	s_sub_co_i32 s70, s11, s23
	s_mul_i32 s11, s35, s33
	s_load_b256 s[20:27], s[0:1], 0x0
	s_sub_co_i32 s2, s2, s11
	s_add_co_i32 s11, s35, 1
	s_wait_alu 0xfffe
	s_sub_co_i32 s56, s2, s33
	s_cmp_ge_u32 s2, s33
	s_cselect_b32 s11, s11, s35
	s_cselect_b32 s2, s56, s2
	s_add_co_i32 s35, s11, 1
	s_wait_alu 0xfffe
	s_cmp_ge_u32 s2, s33
	s_load_b32 s33, s[0:1], 0x108
	s_cselect_b32 s2, s35, s11
	s_ashr_i32 s71, s70, 31
	s_wait_alu 0xfffe
	s_xor_b32 s2, s2, s34
	s_ashr_i32 s11, s10, 31
	s_wait_alu 0xfffe
	s_sub_co_i32 s72, s2, s34
	s_wait_kmcnt 0x0
	s_mul_u64 s[34:35], s[54:55], s[70:71]
	s_ashr_i32 s73, s72, 31
	s_mul_u64 s[52:53], s[52:53], s[10:11]
	s_mul_u64 s[46:47], s[46:47], s[72:73]
	s_lshl_b64 s[74:75], s[34:35], 2
	s_lshl_b64 s[76:77], s[52:53], 2
	;; [unrolled: 1-line block ×3, first 2 shown]
	s_load_b512 s[52:67], s[0:1], 0x28
	s_cmp_lt_i32 s30, 1
	s_mul_i32 s2, s10, s13
	s_cselect_b32 s34, -1, 0
	s_wait_alu 0xfffe
	s_sub_co_i32 s19, s2, s19
	s_cmp_gt_i32 s31, 0
	s_load_b32 s2, s[0:1], 0x11c
	s_cselect_b32 s35, -1, 0
	s_cmp_gt_i32 s33, 0
	s_load_b64 s[10:11], s[0:1], 0x20
	s_cselect_b32 s46, -1, 0
	s_cmp_gt_i32 s9, 0
	v_cmp_neq_f64_e64 s80, s[24:25], 1.0
	s_cselect_b32 s47, -1, 0
	s_abs_i32 s68, s8
	v_cmp_neq_f64_e64 s81, s[26:27], 0
	s_cvt_f32_u32 s0, s68
	v_cvt_i32_f64_e32 v16, s[24:25]
	v_cvt_i32_f64_e32 v17, s[26:27]
	s_delay_alu instid0(SALU_CYCLE_1)
	v_rcp_iflag_f32_e32 v1, s0
	s_wait_kmcnt 0x0
	s_mul_u64 s[0:1], s[62:63], s[70:71]
	s_mul_u64 s[70:71], s[54:55], s[72:73]
	s_abs_i32 s54, s12
	s_abs_i32 s55, s69
	s_cvt_f32_u32 s12, s54
	s_cvt_f32_u32 s62, s55
	s_wait_alu 0xfffe
	s_add_nc_u64 s[0:1], s[70:71], s[0:1]
	s_add_nc_u64 s[10:11], s[10:11], s[74:75]
	v_readfirstlane_b32 s13, v1
	v_rcp_iflag_f32_e32 v1, s12
	v_rcp_iflag_f32_e32 v2, s62
	s_add_nc_u64 s[10:11], s[10:11], s[76:77]
	s_wait_alu 0xfffe
	s_add_nc_u64 s[20:21], s[20:21], s[0:1]
	s_mul_f32 s25, s13, 0x4f7ffffe
	s_mul_u64 s[12:13], s[42:43], s[72:73]
	s_add_nc_u64 s[10:11], s[10:11], s[78:79]
	s_wait_alu 0xfffe
	s_add_nc_u64 s[12:13], s[22:23], s[12:13]
	s_cvt_u32_f32 s27, s25
	s_and_b32 s25, s2, 0xffff
	v_readfirstlane_b32 s26, v1
	v_readfirstlane_b32 s42, v2
	s_sub_co_i32 s2, 0, s68
	s_wait_alu 0xfffe
	s_mul_i32 s2, s2, s27
	s_mul_f32 s43, s26, 0x4f7ffffe
	s_mul_f32 s42, s42, 0x4f7ffffe
	s_wait_alu 0xfffe
	s_mul_hi_u32 s2, s27, s2
	s_ashr_i32 s26, s8, 31
	s_cvt_u32_f32 s43, s43
	s_wait_alu 0xfffe
	s_add_co_i32 s27, s27, s2
	s_sub_co_i32 s2, 0, s54
	s_cvt_u32_f32 s62, s42
	s_wait_alu 0xfffe
	s_mul_i32 s2, s2, s43
	s_sub_co_i32 s42, 0, s55
	s_wait_alu 0xfffe
	s_mul_hi_u32 s2, s43, s2
	s_mul_i32 s63, s42, s62
	s_wait_alu 0xfffe
	s_add_co_i32 s42, s43, s2
	s_mul_hi_u32 s2, s62, s63
	s_or_b32 s24, s80, s81
	s_ashr_i32 s43, s69, 31
	s_wait_alu 0xfffe
	s_add_co_i32 s62, s62, s2
	s_mov_b32 s63, 0
	s_branch .LBB83_3
.LBB83_2:                               ;   in Loop: Header=BB83_3 Depth=1
	v_add_nc_u32_e32 v0, s25, v0
	s_delay_alu instid0(VALU_DEP_2) | instskip(NEXT) | instid1(VALU_DEP_2)
	v_cvt_f32_i32_e32 v1, v1
	v_cmp_le_i32_e32 vcc_lo, s7, v0
	global_store_b32 v[3:4], v1, off
	s_or_b32 s63, vcc_lo, s63
	s_wait_alu 0xfffe
	s_and_not1_b32 exec_lo, exec_lo, s63
	s_cbranch_execz .LBB83_21
.LBB83_3:                               ; =>This Loop Header: Depth=1
                                        ;     Child Loop BB83_8 Depth 2
                                        ;       Child Loop BB83_11 Depth 3
                                        ;         Child Loop BB83_14 Depth 4
                                        ;           Child Loop BB83_17 Depth 5
	v_sub_nc_u32_e32 v1, 0, v0
	s_mov_b32 s22, -1
                                        ; implicit-def: $vgpr19
	s_delay_alu instid0(VALU_DEP_1) | instskip(NEXT) | instid1(VALU_DEP_1)
	v_max_i32_e32 v4, v0, v1
	v_mul_hi_u32 v1, v4, s27
	s_delay_alu instid0(VALU_DEP_1) | instskip(SKIP_1) | instid1(VALU_DEP_2)
	v_mul_lo_u32 v2, v1, s68
	v_add_nc_u32_e32 v3, 1, v1
	v_sub_nc_u32_e32 v2, v4, v2
	s_delay_alu instid0(VALU_DEP_1) | instskip(SKIP_2) | instid1(VALU_DEP_2)
	v_subrev_nc_u32_e32 v5, s68, v2
	v_cmp_le_u32_e32 vcc_lo, s68, v2
	s_wait_alu 0xfffd
	v_dual_cndmask_b32 v3, v1, v3 :: v_dual_cndmask_b32 v2, v2, v5
	v_ashrrev_i32_e32 v1, 31, v0
	s_delay_alu instid0(VALU_DEP_2) | instskip(NEXT) | instid1(VALU_DEP_3)
	v_add_nc_u32_e32 v5, 1, v3
	v_cmp_le_u32_e32 vcc_lo, s68, v2
	s_delay_alu instid0(VALU_DEP_3) | instskip(SKIP_1) | instid1(VALU_DEP_3)
	v_xor_b32_e32 v6, s26, v1
	s_wait_alu 0xfffd
	v_cndmask_b32_e32 v2, v3, v5, vcc_lo
	s_delay_alu instid0(VALU_DEP_1) | instskip(NEXT) | instid1(VALU_DEP_1)
	v_xor_b32_e32 v2, v2, v6
	v_sub_nc_u32_e32 v2, v2, v6
	s_delay_alu instid0(VALU_DEP_1) | instskip(SKIP_1) | instid1(VALU_DEP_2)
	v_sub_nc_u32_e32 v3, 0, v2
	v_mul_lo_u32 v8, v2, s8
	v_max_i32_e32 v5, v2, v3
	s_wait_alu 0xfffe
	v_mul_hi_u32 v3, v4, s62
	s_delay_alu instid0(VALU_DEP_3) | instskip(NEXT) | instid1(VALU_DEP_3)
	v_sub_nc_u32_e32 v18, v0, v8
	v_mul_hi_u32 v6, v5, s42
	s_delay_alu instid0(VALU_DEP_3) | instskip(NEXT) | instid1(VALU_DEP_2)
	v_mul_lo_u32 v7, v3, s55
	v_mul_lo_u32 v6, v6, s54
	s_delay_alu instid0(VALU_DEP_1) | instskip(NEXT) | instid1(VALU_DEP_3)
	v_sub_nc_u32_e32 v5, v5, v6
	v_sub_nc_u32_e32 v6, v4, v7
	s_delay_alu instid0(VALU_DEP_2) | instskip(NEXT) | instid1(VALU_DEP_2)
	v_subrev_nc_u32_e32 v4, s54, v5
	v_subrev_nc_u32_e32 v7, s55, v6
	v_cmp_le_u32_e32 vcc_lo, s54, v5
	v_cmp_le_u32_e64 s1, s55, v6
	s_wait_alu 0xfffd
	v_cndmask_b32_e32 v4, v5, v4, vcc_lo
	s_wait_alu 0xf1ff
	s_delay_alu instid0(VALU_DEP_2) | instskip(SKIP_1) | instid1(VALU_DEP_2)
	v_cndmask_b32_e64 v5, v6, v7, s1
	s_and_not1_b32 vcc_lo, exec_lo, s34
	v_cmp_le_u32_e64 s0, s54, v4
	s_delay_alu instid0(VALU_DEP_2)
	v_cmp_le_u32_e64 s2, s55, v5
	s_wait_alu 0xfffe
	s_cbranch_vccnz .LBB83_5
; %bb.4:                                ;   in Loop: Header=BB83_3 Depth=1
	v_ashrrev_i32_e32 v19, 31, v18
	s_mov_b32 s22, 0
.LBB83_5:                               ;   in Loop: Header=BB83_3 Depth=1
	v_add_nc_u32_e32 v5, 1, v3
	v_ashrrev_i32_e32 v2, 31, v2
	v_xor_b32_e32 v1, s43, v1
	s_wait_alu 0xfffe
	s_and_not1_b32 vcc_lo, exec_lo, s22
	v_cndmask_b32_e64 v3, v3, v5, s1
	v_subrev_nc_u32_e32 v5, s54, v4
	s_delay_alu instid0(VALU_DEP_2) | instskip(NEXT) | instid1(VALU_DEP_2)
	v_add_nc_u32_e32 v6, 1, v3
	v_cndmask_b32_e64 v4, v4, v5, s0
	s_delay_alu instid0(VALU_DEP_2) | instskip(NEXT) | instid1(VALU_DEP_2)
	v_cndmask_b32_e64 v3, v3, v6, s2
	v_xor_b32_e32 v4, v4, v2
	s_delay_alu instid0(VALU_DEP_2) | instskip(NEXT) | instid1(VALU_DEP_2)
	v_xor_b32_e32 v3, v3, v1
	v_sub_nc_u32_e32 v21, v4, v2
	s_delay_alu instid0(VALU_DEP_2)
	v_sub_nc_u32_e32 v20, v3, v1
	v_mov_b32_e32 v1, 0
	s_wait_alu 0xfffe
	s_cbranch_vccnz .LBB83_19
; %bb.6:                                ;   in Loop: Header=BB83_3 Depth=1
	v_ashrrev_i32_e32 v19, 31, v18
	v_mul_lo_u32 v1, v20, s14
	v_mul_lo_u32 v5, v21, s15
	v_mad_co_u64_u32 v[2:3], null, s40, v18, s[12:13]
	v_mul_lo_u32 v6, s41, v18
	v_mul_lo_u32 v7, s40, v19
	s_mov_b32 s1, 0
	s_mov_b32 s2, s19
	v_subrev_nc_u32_e32 v4, s28, v1
	v_subrev_nc_u32_e32 v5, s29, v5
	v_mov_b32_e32 v1, 0
	s_delay_alu instid0(VALU_DEP_4)
	v_add3_u32 v3, v6, v3, v7
	s_branch .LBB83_8
.LBB83_7:                               ;   in Loop: Header=BB83_8 Depth=2
	v_add_co_u32 v2, vcc_lo, v2, s38
	s_wait_alu 0xfffd
	v_add_co_ci_u32_e64 v3, null, s39, v3, vcc_lo
	s_add_co_i32 s1, s1, 1
	s_add_co_i32 s2, s2, s16
	s_wait_alu 0xfffe
	s_cmp_eq_u32 s1, s30
	s_cbranch_scc1 .LBB83_19
.LBB83_8:                               ;   Parent Loop BB83_3 Depth=1
                                        ; =>  This Loop Header: Depth=2
                                        ;       Child Loop BB83_11 Depth 3
                                        ;         Child Loop BB83_14 Depth 4
                                        ;           Child Loop BB83_17 Depth 5
	s_and_not1_b32 vcc_lo, exec_lo, s35
	s_wait_alu 0xfffe
	s_cbranch_vccnz .LBB83_7
; %bb.9:                                ;   in Loop: Header=BB83_8 Depth=2
	s_mul_i32 s0, s1, s16
	v_dual_mov_b32 v22, v4 :: v_dual_mov_b32 v7, v3
	s_wait_alu 0xfffe
	s_add_co_i32 s0, s0, s19
	v_mov_b32_e32 v6, v2
	s_wait_alu 0xfffe
	s_cmp_lt_i32 s0, 0
	s_mul_u64 s[22:23], s[60:61], s[2:3]
	s_cselect_b32 s70, -1, 0
	s_cmp_ge_i32 s0, s4
	s_mov_b32 s69, 0
	s_cselect_b32 s0, -1, 0
	s_wait_alu 0xfffe
	s_add_nc_u64 s[22:23], s[20:21], s[22:23]
	s_or_b32 s70, s70, s0
	s_branch .LBB83_11
.LBB83_10:                              ;   in Loop: Header=BB83_11 Depth=3
	v_add_co_u32 v6, vcc_lo, v6, s36
	s_wait_alu 0xfffd
	v_add_co_ci_u32_e64 v7, null, s37, v7, vcc_lo
	v_add_nc_u32_e32 v22, s17, v22
	s_add_co_i32 s69, s69, 1
	s_wait_alu 0xfffe
	s_cmp_eq_u32 s69, s31
	s_cbranch_scc1 .LBB83_7
.LBB83_11:                              ;   Parent Loop BB83_3 Depth=1
                                        ;     Parent Loop BB83_8 Depth=2
                                        ; =>    This Loop Header: Depth=3
                                        ;         Child Loop BB83_14 Depth 4
                                        ;           Child Loop BB83_17 Depth 5
	s_and_not1_b32 vcc_lo, exec_lo, s46
	s_wait_alu 0xfffe
	s_cbranch_vccnz .LBB83_10
; %bb.12:                               ;   in Loop: Header=BB83_11 Depth=3
	v_mad_co_u64_u32 v[8:9], null, s58, v22, s[22:23]
	v_mad_co_u64_u32 v[10:11], null, s69, s17, v[4:5]
	v_mov_b32_e32 v23, v5
	s_mov_b32 s71, 0
	s_delay_alu instid0(VALU_DEP_2)
	v_mad_co_u64_u32 v[11:12], null, s59, v22, v[9:10]
	v_cmp_gt_i32_e32 vcc_lo, 0, v10
	v_cmp_le_i32_e64 s0, s5, v10
	s_or_b32 s0, vcc_lo, s0
	v_mov_b32_e32 v9, v11
	v_dual_mov_b32 v11, v7 :: v_dual_mov_b32 v10, v6
	s_wait_alu 0xfffe
	s_or_b32 s72, s70, s0
	s_branch .LBB83_14
.LBB83_13:                              ;   in Loop: Header=BB83_14 Depth=4
	v_add_co_u32 v10, vcc_lo, v10, s66
	s_wait_alu 0xfffd
	v_add_co_ci_u32_e64 v11, null, s67, v11, vcc_lo
	v_add_nc_u32_e32 v23, s18, v23
	s_add_co_i32 s71, s71, 1
	s_wait_alu 0xfffe
	s_cmp_eq_u32 s71, s33
	s_cbranch_scc1 .LBB83_10
.LBB83_14:                              ;   Parent Loop BB83_3 Depth=1
                                        ;     Parent Loop BB83_8 Depth=2
                                        ;       Parent Loop BB83_11 Depth=3
                                        ; =>      This Loop Header: Depth=4
                                        ;           Child Loop BB83_17 Depth 5
	s_and_not1_b32 vcc_lo, exec_lo, s47
	s_wait_alu 0xfffe
	s_cbranch_vccnz .LBB83_13
; %bb.15:                               ;   in Loop: Header=BB83_14 Depth=4
	v_mad_co_u64_u32 v[12:13], null, s56, v23, v[8:9]
	v_mad_co_u64_u32 v[14:15], null, s71, s18, v[5:6]
	s_mov_b32 s73, s9
	v_mad_co_u64_u32 v[24:25], null, s57, v23, v[13:14]
	v_cmp_gt_i32_e32 vcc_lo, 0, v14
	v_cmp_le_i32_e64 s0, s6, v14
	v_dual_mov_b32 v15, v11 :: v_dual_mov_b32 v14, v10
	s_delay_alu instid0(VALU_DEP_4)
	v_mov_b32_e32 v13, v24
	s_or_b32 s0, vcc_lo, s0
	s_wait_alu 0xfffe
	s_nor_b32 s0, s72, s0
	s_branch .LBB83_17
.LBB83_16:                              ;   in Loop: Header=BB83_17 Depth=5
	s_or_b32 exec_lo, exec_lo, s74
	v_add_co_u32 v14, vcc_lo, v14, s64
	s_wait_alu 0xfffd
	v_add_co_ci_u32_e64 v15, null, s65, v15, vcc_lo
	v_add_co_u32 v12, vcc_lo, v12, s52
	s_wait_alu 0xfffd
	v_add_co_ci_u32_e64 v13, null, s53, v13, vcc_lo
	s_add_co_i32 s73, s73, -1
	s_delay_alu instid0(SALU_CYCLE_1)
	s_cmp_eq_u32 s73, 0
	s_cbranch_scc1 .LBB83_13
.LBB83_17:                              ;   Parent Loop BB83_3 Depth=1
                                        ;     Parent Loop BB83_8 Depth=2
                                        ;       Parent Loop BB83_11 Depth=3
                                        ;         Parent Loop BB83_14 Depth=4
                                        ; =>        This Inner Loop Header: Depth=5
	s_wait_alu 0xfffe
	s_and_saveexec_b32 s74, s0
	s_cbranch_execz .LBB83_16
; %bb.18:                               ;   in Loop: Header=BB83_17 Depth=5
	global_load_i8 v24, v[12:13], off
	global_load_i8 v25, v[14:15], off
	s_wait_loadcnt 0x0
	v_mad_i32_i24 v1, v25, v24, v1
	s_branch .LBB83_16
.LBB83_19:                              ;   in Loop: Header=BB83_3 Depth=1
	v_ashrrev_i32_e32 v4, 31, v21
	v_mul_lo_u32 v9, s49, v21
	v_mad_co_u64_u32 v[2:3], null, s48, v21, 0
	v_ashrrev_i32_e32 v8, 31, v20
	s_delay_alu instid0(VALU_DEP_4)
	v_mul_lo_u32 v10, s48, v4
	v_mul_lo_u32 v12, v19, s44
	;; [unrolled: 1-line block ×3, first 2 shown]
	v_mad_co_u64_u32 v[4:5], null, v18, s44, 0
	v_mul_lo_u32 v11, s51, v20
	v_mad_co_u64_u32 v[6:7], null, s50, v20, 0
	v_add3_u32 v3, v3, v10, v9
	v_mul_lo_u32 v8, s50, v8
	v_add3_u32 v5, v5, v13, v12
	s_delay_alu instid0(VALU_DEP_3) | instskip(NEXT) | instid1(VALU_DEP_2)
	v_lshlrev_b64_e32 v[2:3], 2, v[2:3]
	v_lshlrev_b64_e32 v[4:5], 2, v[4:5]
	s_delay_alu instid0(VALU_DEP_4) | instskip(NEXT) | instid1(VALU_DEP_3)
	v_add3_u32 v7, v7, v8, v11
	v_add_co_u32 v2, vcc_lo, s10, v2
	s_wait_alu 0xfffd
	s_delay_alu instid0(VALU_DEP_4) | instskip(NEXT) | instid1(VALU_DEP_3)
	v_add_co_ci_u32_e64 v3, null, s11, v3, vcc_lo
	v_lshlrev_b64_e32 v[6:7], 2, v[6:7]
	s_delay_alu instid0(VALU_DEP_3) | instskip(SKIP_1) | instid1(VALU_DEP_3)
	v_add_co_u32 v2, vcc_lo, v2, v4
	s_wait_alu 0xfffd
	v_add_co_ci_u32_e64 v4, null, v3, v5, vcc_lo
	s_delay_alu instid0(VALU_DEP_2) | instskip(SKIP_1) | instid1(VALU_DEP_2)
	v_add_co_u32 v3, vcc_lo, v2, v6
	s_wait_alu 0xfffd
	v_add_co_ci_u32_e64 v4, null, v4, v7, vcc_lo
	s_and_not1_b32 vcc_lo, exec_lo, s24
	s_wait_alu 0xfffe
	s_cbranch_vccnz .LBB83_2
; %bb.20:                               ;   in Loop: Header=BB83_3 Depth=1
	global_load_b32 v2, v[3:4], off
	v_mul_lo_u32 v1, v1, v16
	s_wait_loadcnt 0x0
	v_cvt_i32_f32_e32 v2, v2
	s_delay_alu instid0(VALU_DEP_1)
	v_mad_co_u64_u32 v[1:2], null, v2, v17, v[1:2]
	s_branch .LBB83_2
.LBB83_21:
	s_endpgm
	.section	.rodata,"a",@progbits
	.p2align	6, 0x0
	.amdhsa_kernel naive_conv_ab_nonpacked_fwd_ndhwc_int8_t_int32_t_float_0
		.amdhsa_group_segment_fixed_size 0
		.amdhsa_private_segment_fixed_size 0
		.amdhsa_kernarg_size 528
		.amdhsa_user_sgpr_count 2
		.amdhsa_user_sgpr_dispatch_ptr 0
		.amdhsa_user_sgpr_queue_ptr 0
		.amdhsa_user_sgpr_kernarg_segment_ptr 1
		.amdhsa_user_sgpr_dispatch_id 0
		.amdhsa_user_sgpr_private_segment_size 0
		.amdhsa_wavefront_size32 1
		.amdhsa_uses_dynamic_stack 0
		.amdhsa_enable_private_segment 0
		.amdhsa_system_sgpr_workgroup_id_x 1
		.amdhsa_system_sgpr_workgroup_id_y 0
		.amdhsa_system_sgpr_workgroup_id_z 0
		.amdhsa_system_sgpr_workgroup_info 0
		.amdhsa_system_vgpr_workitem_id 0
		.amdhsa_next_free_vgpr 26
		.amdhsa_next_free_sgpr 82
		.amdhsa_reserve_vcc 1
		.amdhsa_float_round_mode_32 0
		.amdhsa_float_round_mode_16_64 0
		.amdhsa_float_denorm_mode_32 3
		.amdhsa_float_denorm_mode_16_64 3
		.amdhsa_fp16_overflow 0
		.amdhsa_workgroup_processor_mode 1
		.amdhsa_memory_ordered 1
		.amdhsa_forward_progress 1
		.amdhsa_inst_pref_size 17
		.amdhsa_round_robin_scheduling 0
		.amdhsa_exception_fp_ieee_invalid_op 0
		.amdhsa_exception_fp_denorm_src 0
		.amdhsa_exception_fp_ieee_div_zero 0
		.amdhsa_exception_fp_ieee_overflow 0
		.amdhsa_exception_fp_ieee_underflow 0
		.amdhsa_exception_fp_ieee_inexact 0
		.amdhsa_exception_int_div_zero 0
	.end_amdhsa_kernel
	.text
.Lfunc_end83:
	.size	naive_conv_ab_nonpacked_fwd_ndhwc_int8_t_int32_t_float_0, .Lfunc_end83-naive_conv_ab_nonpacked_fwd_ndhwc_int8_t_int32_t_float_0
                                        ; -- End function
	.set naive_conv_ab_nonpacked_fwd_ndhwc_int8_t_int32_t_float_0.num_vgpr, 26
	.set naive_conv_ab_nonpacked_fwd_ndhwc_int8_t_int32_t_float_0.num_agpr, 0
	.set naive_conv_ab_nonpacked_fwd_ndhwc_int8_t_int32_t_float_0.numbered_sgpr, 82
	.set naive_conv_ab_nonpacked_fwd_ndhwc_int8_t_int32_t_float_0.num_named_barrier, 0
	.set naive_conv_ab_nonpacked_fwd_ndhwc_int8_t_int32_t_float_0.private_seg_size, 0
	.set naive_conv_ab_nonpacked_fwd_ndhwc_int8_t_int32_t_float_0.uses_vcc, 1
	.set naive_conv_ab_nonpacked_fwd_ndhwc_int8_t_int32_t_float_0.uses_flat_scratch, 0
	.set naive_conv_ab_nonpacked_fwd_ndhwc_int8_t_int32_t_float_0.has_dyn_sized_stack, 0
	.set naive_conv_ab_nonpacked_fwd_ndhwc_int8_t_int32_t_float_0.has_recursion, 0
	.set naive_conv_ab_nonpacked_fwd_ndhwc_int8_t_int32_t_float_0.has_indirect_call, 0
	.section	.AMDGPU.csdata,"",@progbits
; Kernel info:
; codeLenInByte = 2100
; TotalNumSgprs: 84
; NumVgprs: 26
; ScratchSize: 0
; MemoryBound: 0
; FloatMode: 240
; IeeeMode: 1
; LDSByteSize: 0 bytes/workgroup (compile time only)
; SGPRBlocks: 0
; VGPRBlocks: 3
; NumSGPRsForWavesPerEU: 84
; NumVGPRsForWavesPerEU: 26
; Occupancy: 16
; WaveLimiterHint : 1
; COMPUTE_PGM_RSRC2:SCRATCH_EN: 0
; COMPUTE_PGM_RSRC2:USER_SGPR: 2
; COMPUTE_PGM_RSRC2:TRAP_HANDLER: 0
; COMPUTE_PGM_RSRC2:TGID_X_EN: 1
; COMPUTE_PGM_RSRC2:TGID_Y_EN: 0
; COMPUTE_PGM_RSRC2:TGID_Z_EN: 0
; COMPUTE_PGM_RSRC2:TIDIG_COMP_CNT: 0
	.text
	.protected	naive_conv_ab_packed_bwd_ncdhw_float_double_float_0 ; -- Begin function naive_conv_ab_packed_bwd_ncdhw_float_double_float_0
	.globl	naive_conv_ab_packed_bwd_ncdhw_float_double_float_0
	.p2align	8
	.type	naive_conv_ab_packed_bwd_ncdhw_float_double_float_0,@function
naive_conv_ab_packed_bwd_ncdhw_float_double_float_0: ; @naive_conv_ab_packed_bwd_ncdhw_float_double_float_0
; %bb.0:
	s_load_b512 s[4:19], s[0:1], 0xb8
	s_mov_b32 s25, exec_lo
	s_wait_kmcnt 0x0
	s_abs_i32 s3, s9
	s_mul_i32 s50, s6, s5
	s_cvt_f32_u32 s2, s3
	s_mul_i32 s33, s50, s4
	s_delay_alu instid0(SALU_CYCLE_2) | instskip(NEXT) | instid1(TRANS32_DEP_1)
	v_rcp_iflag_f32_e32 v1, s2
	v_readfirstlane_b32 s2, v1
	s_mul_f32 s2, s2, 0x4f7ffffe
	s_wait_alu 0xfffe
	s_delay_alu instid0(SALU_CYCLE_2) | instskip(SKIP_2) | instid1(SALU_CYCLE_1)
	s_cvt_u32_f32 s20, s2
	s_sub_co_i32 s2, 0, s3
	s_wait_alu 0xfffe
	s_mul_i32 s2, s2, s20
	s_wait_alu 0xfffe
	s_mul_hi_u32 s21, s20, s2
	s_abs_i32 s2, ttmp9
	s_add_co_i32 s20, s20, s21
	s_wait_alu 0xfffe
	s_mul_hi_u32 s20, s2, s20
	s_delay_alu instid0(SALU_CYCLE_1) | instskip(SKIP_2) | instid1(SALU_CYCLE_1)
	s_mul_i32 s21, s20, s3
	s_add_co_i32 s22, s20, 1
	s_sub_co_i32 s21, s2, s21
	s_sub_co_i32 s23, s21, s3
	s_cmp_ge_u32 s21, s3
	s_cselect_b32 s20, s22, s20
	s_cselect_b32 s21, s23, s21
	s_add_co_i32 s22, s20, 1
	s_cmp_ge_u32 s21, s3
	s_mul_i32 s21, s9, s7
	s_cselect_b32 s22, s22, s20
	s_abs_i32 s20, s7
	s_abs_i32 s7, s21
	s_cvt_f32_u32 s3, s20
	s_cvt_f32_u32 s23, s7
	s_wait_alu 0xfffe
	s_delay_alu instid0(SALU_CYCLE_1) | instskip(NEXT) | instid1(SALU_CYCLE_1)
	v_rcp_iflag_f32_e32 v1, s3
	v_rcp_iflag_f32_e32 v2, s23
	s_mov_b32 s3, 0
	s_delay_alu instid0(TRANS32_DEP_2) | instskip(NEXT) | instid1(TRANS32_DEP_1)
	v_readfirstlane_b32 s24, v1
	v_readfirstlane_b32 s23, v2
	v_cmpx_gt_i32_e64 s33, v0
	s_cbranch_execz .LBB84_36
; %bb.1:
	s_mul_f32 s24, s24, 0x4f7ffffe
	s_ashr_i32 s26, ttmp9, 31
	s_ashr_i32 s47, s9, 31
	s_mul_f32 s28, s23, 0x4f7ffffe
	s_cvt_u32_f32 s24, s24
	s_sub_co_i32 s25, 0, s20
	s_xor_b32 s27, s26, s47
	s_cvt_u32_f32 s28, s28
	s_xor_b32 s22, s22, s27
	s_mul_i32 s25, s25, s24
	s_wait_alu 0xfffe
	s_sub_co_i32 s27, s22, s27
	s_mul_hi_u32 s23, s24, s25
	s_sub_co_i32 s29, 0, s7
	s_abs_i32 s22, s27
	s_wait_alu 0xfffe
	s_add_co_i32 s24, s24, s23
	s_mov_b32 s23, s3
	s_mov_b32 s25, s3
	s_mul_i32 s29, s29, s28
	s_wait_alu 0xfffe
	s_mul_u64 s[24:25], s[22:23], s[24:25]
	s_mul_hi_u32 s23, s28, s29
	s_ashr_i32 s30, s27, 31
	s_wait_alu 0xfffe
	s_add_co_i32 s24, s28, s23
	s_mul_i32 s23, s25, s20
	s_mul_i32 s27, s27, s9
	s_wait_alu 0xfffe
	s_sub_co_i32 s22, s22, s23
	s_ashr_i32 s21, s21, 31
	s_sub_co_i32 s48, ttmp9, s27
	s_wait_alu 0xfffe
	s_sub_co_i32 s23, s22, s20
	s_cmp_ge_u32 s22, s20
	s_mov_b32 s25, s3
	s_wait_alu 0xfffe
	s_cselect_b32 s27, s23, s22
	s_mul_u64 s[22:23], s[2:3], s[24:25]
	s_clause 0x1
	s_load_b64 s[34:35], s[0:1], 0x108
	s_load_b32 s51, s[0:1], 0x11c
	s_sub_co_i32 s22, s27, s20
	s_cmp_ge_u32 s27, s20
	s_mov_b32 s36, s5
	s_wait_alu 0xfffe
	s_cselect_b32 s20, s22, s27
	s_xor_b32 s22, s26, s21
	s_xor_b32 s20, s20, s30
	s_mov_b32 s46, s9
	s_sub_co_i32 s42, s20, s30
	s_mul_i32 s20, s23, s7
	s_clause 0x1
	s_load_b128 s[28:31], s[0:1], 0xf8
	s_load_b64 s[62:63], s[0:1], 0x20
	s_sub_co_i32 s2, s2, s20
	s_add_co_i32 s20, s23, 1
	s_wait_alu 0xfffe
	s_sub_co_i32 s21, s2, s7
	s_cmp_ge_u32 s2, s7
	s_cselect_b32 s20, s20, s23
	s_cselect_b32 s2, s21, s2
	s_add_co_i32 s21, s20, 1
	s_wait_alu 0xfffe
	s_cmp_ge_u32 s2, s7
	s_cselect_b32 s2, s21, s20
	s_wait_kmcnt 0x0
	s_mul_i32 s20, s35, s9
	s_ashr_i32 s43, s42, 31
	s_ashr_i32 s21, s20, 31
	s_wait_alu 0xfffe
	s_xor_b32 s2, s2, s22
	s_mul_u64 s[40:41], s[42:43], s[20:21]
	s_ashr_i32 s21, s4, 31
	s_mov_b32 s20, s4
	s_ashr_i32 s37, s5, 31
	s_wait_alu 0xfffe
	s_sub_co_i32 s38, s2, s22
	s_mul_u64 s[52:53], s[36:37], s[20:21]
	s_load_b256 s[20:27], s[0:1], 0x0
	s_ashr_i32 s39, s38, 31
	s_ashr_i32 s49, s48, 31
	s_mul_u64 s[44:45], s[38:39], s[46:47]
	s_add_nc_u64 s[40:41], s[40:41], s[48:49]
	s_ashr_i32 s7, s6, 31
	s_add_nc_u64 s[40:41], s[40:41], s[44:45]
	s_mul_u64 s[44:45], s[52:53], s[6:7]
	s_mul_i32 s52, s35, s8
	s_mul_u64 s[40:41], s[44:45], s[40:41]
	s_ashr_i32 s53, s52, 31
	s_ashr_i32 s9, s8, 31
	s_mul_u64 s[44:45], s[42:43], s[52:53]
	s_ashr_i32 s43, s12, 31
	s_mov_b32 s42, s12
	s_lshl_b64 s[58:59], s[40:41], 2
	s_mul_u64 s[60:61], s[38:39], s[8:9]
	s_ashr_i32 s39, s10, 31
	s_mov_b32 s38, s10
	s_ashr_i32 s41, s11, 31
	s_wait_kmcnt 0x0
	v_cmp_neq_f64_e64 s2, s[24:25], 1.0
	v_cmp_neq_f64_e64 s12, s[26:27], 0
	s_mov_b32 s40, s11
	s_add_nc_u64 s[54:55], s[60:61], s[44:45]
	s_mul_u64 s[52:53], s[40:41], s[38:39]
	s_ashr_i32 s11, s30, 31
	s_mul_u64 s[52:53], s[52:53], s[42:43]
	s_ashr_i32 s45, s31, 31
	;; [unrolled: 2-line block ×3, first 2 shown]
	s_lshl_b64 s[52:53], s[52:53], 2
	s_cmp_gt_i32 s8, 0
	s_mov_b32 s44, s31
	s_cselect_b32 s9, -1, 0
	s_cmp_gt_i32 s30, 0
	s_mov_b32 s10, s30
	s_cselect_b32 s37, -1, 0
	s_cmp_gt_i32 s31, 0
	s_cselect_b32 s54, -1, 0
	s_cmp_gt_i32 s34, 0
	s_cselect_b32 s55, -1, 0
	s_abs_i32 s56, s6
	s_abs_i32 s57, s5
	s_cvt_f32_u32 s0, s56
	s_add_nc_u64 s[4:5], s[20:21], s[58:59]
	s_abs_i32 s58, s50
	s_add_nc_u64 s[20:21], s[62:63], s[52:53]
	v_rcp_iflag_f32_e32 v1, s0
	s_cvt_f32_u32 s0, s57
	s_cvt_f32_u32 s31, s58
	s_abs_i32 s62, s14
	s_abs_i32 s65, s15
	s_wait_alu 0xfffe
	v_rcp_iflag_f32_e32 v2, s0
	s_mul_u64 s[0:1], s[60:61], s[46:47]
	s_abs_i32 s61, s13
	s_and_b32 s60, s51, 0xffff
	s_sub_co_i32 s51, 0, s57
	v_readfirstlane_b32 s30, v1
	v_rcp_iflag_f32_e32 v1, s31
	s_or_b32 s59, s2, s12
	s_cvt_f32_u32 s31, s61
	s_ashr_i32 s68, s13, 31
	v_readfirstlane_b32 s12, v2
	s_mul_f32 s2, s30, 0x4f7ffffe
	s_sub_co_i32 s30, 0, s56
	s_ashr_i32 s70, s14, 31
	s_wait_alu 0xfffe
	s_add_nc_u64 s[0:1], s[0:1], s[48:49]
	s_mul_f32 s12, s12, 0x4f7ffffe
	v_readfirstlane_b32 s52, v1
	v_rcp_iflag_f32_e32 v1, s31
	s_cvt_f32_u32 s31, s62
	s_cvt_u32_f32 s12, s12
	s_cvt_u32_f32 s2, s2
	s_mul_f32 s52, s52, 0x4f7ffffe
	s_wait_alu 0xfffe
	v_rcp_iflag_f32_e32 v2, s31
	s_mul_i32 s51, s51, s12
	s_mul_i32 s30, s30, s2
	s_mul_hi_u32 s51, s12, s51
	s_cvt_f32_u32 s31, s65
	s_wait_alu 0xfffe
	s_mul_hi_u32 s30, s2, s30
	s_add_co_i32 s64, s12, s51
	v_readfirstlane_b32 s12, v1
	s_wait_alu 0xfffe
	s_add_co_i32 s63, s2, s30
	s_cvt_u32_f32 s2, s52
	v_rcp_iflag_f32_e32 v1, s31
	s_sub_co_i32 s30, 0, s58
	s_mul_f32 s12, s12, 0x4f7ffffe
	s_wait_alu 0xfffe
	s_mul_i32 s30, s30, s2
	v_readfirstlane_b32 s51, v2
	s_wait_alu 0xfffe
	s_mul_hi_u32 s30, s2, s30
	s_sub_co_i32 s31, 0, s62
	s_wait_alu 0xfffe
	s_add_co_i32 s67, s2, s30
	s_cvt_u32_f32 s2, s12
	s_mul_f32 s12, s51, 0x4f7ffffe
	s_sub_co_i32 s30, 0, s61
	v_readfirstlane_b32 s13, v1
	s_wait_alu 0xfffe
	s_mul_i32 s30, s30, s2
	s_cvt_u32_f32 s12, s12
	s_wait_alu 0xfffe
	s_mul_hi_u32 s30, s2, s30
	s_ashr_i32 s66, s50, 31
	s_wait_alu 0xfffe
	s_add_co_i32 s69, s2, s30
	s_mul_f32 s2, s13, 0x4f7ffffe
	s_mul_i32 s31, s31, s12
	s_wait_alu 0xfffe
	s_mul_hi_u32 s13, s12, s31
	s_cvt_u32_f32 s2, s2
	s_add_co_i32 s71, s12, s13
	s_mul_u64 s[30:31], s[34:35], s[44:45]
	s_sub_co_i32 s12, 0, s65
	s_ashr_i32 s45, s15, 31
	s_wait_alu 0xfffe
	s_mul_i32 s14, s12, s2
	s_mul_u64 s[12:13], s[30:31], s[10:11]
	s_mul_hi_u32 s11, s2, s14
	s_mul_u64 s[0:1], s[12:13], s[0:1]
	s_mul_u64 s[14:15], s[12:13], s[46:47]
	s_wait_alu 0xfffe
	s_lshl_b64 s[0:1], s[0:1], 2
	s_add_co_i32 s11, s2, s11
	s_wait_alu 0xfffe
	s_add_nc_u64 s[12:13], s[22:23], s[0:1]
	s_lshl_b64 s[14:15], s[14:15], 2
	s_lshl_b64 s[22:23], s[30:31], 2
	;; [unrolled: 1-line block ×3, first 2 shown]
	s_mov_b32 s35, 0
	s_branch .LBB84_3
.LBB84_2:                               ;   in Loop: Header=BB84_3 Depth=1
	s_delay_alu instid0(VALU_DEP_1) | instskip(SKIP_1) | instid1(VALU_DEP_1)
	v_cvt_f32_f64_e32 v1, v[1:2]
	v_add_nc_u32_e32 v0, s60, v0
	v_cmp_le_i32_e32 vcc_lo, s33, v0
	s_or_b32 s35, vcc_lo, s35
	global_store_b32 v[3:4], v1, off
	s_and_not1_b32 exec_lo, exec_lo, s35
	s_cbranch_execz .LBB84_36
.LBB84_3:                               ; =>This Loop Header: Depth=1
                                        ;     Child Loop BB84_6 Depth 2
                                        ;       Child Loop BB84_9 Depth 3
                                        ;         Child Loop BB84_18 Depth 4
                                        ;           Child Loop BB84_25 Depth 5
	v_sub_nc_u32_e32 v1, 0, v0
	s_delay_alu instid0(VALU_DEP_1) | instskip(NEXT) | instid1(VALU_DEP_1)
	v_max_i32_e32 v1, v0, v1
	v_mul_hi_u32 v2, v1, s63
	s_delay_alu instid0(VALU_DEP_1) | instskip(NEXT) | instid1(VALU_DEP_1)
	v_mul_lo_u32 v3, v2, s56
	v_sub_nc_u32_e32 v3, v1, v3
	s_delay_alu instid0(VALU_DEP_1) | instskip(SKIP_2) | instid1(VALU_DEP_2)
	v_subrev_nc_u32_e32 v5, s56, v3
	v_cmp_le_u32_e32 vcc_lo, s56, v3
	s_wait_alu 0xfffd
	v_dual_cndmask_b32 v3, v3, v5 :: v_dual_add_nc_u32 v4, 1, v2
	s_delay_alu instid0(VALU_DEP_1) | instskip(SKIP_1) | instid1(VALU_DEP_3)
	v_cndmask_b32_e32 v2, v2, v4, vcc_lo
	v_ashrrev_i32_e32 v4, 31, v0
	v_cmp_le_u32_e32 vcc_lo, s56, v3
	s_delay_alu instid0(VALU_DEP_3) | instskip(NEXT) | instid1(VALU_DEP_3)
	v_add_nc_u32_e32 v5, 1, v2
	v_xor_b32_e32 v6, s7, v4
	s_wait_alu 0xfffd
	s_delay_alu instid0(VALU_DEP_2) | instskip(SKIP_1) | instid1(VALU_DEP_1)
	v_cndmask_b32_e32 v2, v2, v5, vcc_lo
	v_mul_hi_u32 v5, v1, s67
	v_mul_lo_u32 v7, v5, s58
	s_delay_alu instid0(VALU_DEP_1) | instskip(NEXT) | instid1(VALU_DEP_1)
	v_sub_nc_u32_e32 v1, v1, v7
	v_subrev_nc_u32_e32 v7, s58, v1
	v_cmp_le_u32_e32 vcc_lo, s58, v1
	s_wait_alu 0xfffd
	s_delay_alu instid0(VALU_DEP_2) | instskip(SKIP_2) | instid1(VALU_DEP_2)
	v_cndmask_b32_e32 v1, v1, v7, vcc_lo
	v_xor_b32_e32 v2, v2, v6
	v_xor_b32_e32 v7, s66, v4
	v_sub_nc_u32_e32 v2, v2, v6
	s_delay_alu instid0(VALU_DEP_1) | instskip(NEXT) | instid1(VALU_DEP_1)
	v_sub_nc_u32_e32 v3, 0, v2
	v_max_i32_e32 v3, v2, v3
	s_delay_alu instid0(VALU_DEP_1) | instskip(NEXT) | instid1(VALU_DEP_1)
	v_mul_hi_u32 v6, v3, s64
	v_mul_lo_u32 v6, v6, s57
	s_delay_alu instid0(VALU_DEP_1) | instskip(NEXT) | instid1(VALU_DEP_1)
	v_sub_nc_u32_e32 v3, v3, v6
	v_subrev_nc_u32_e32 v8, s57, v3
	v_cmp_le_u32_e64 s0, s57, v3
	s_wait_alu 0xf1ff
	s_delay_alu instid0(VALU_DEP_1) | instskip(NEXT) | instid1(VALU_DEP_1)
	v_cndmask_b32_e64 v3, v3, v8, s0
	v_subrev_nc_u32_e32 v4, s57, v3
	v_add_nc_u32_e32 v6, 1, v5
	s_delay_alu instid0(VALU_DEP_1) | instskip(SKIP_1) | instid1(VALU_DEP_2)
	v_cndmask_b32_e32 v5, v5, v6, vcc_lo
	v_cmp_le_u32_e32 vcc_lo, s58, v1
	v_add_nc_u32_e32 v6, 1, v5
	s_wait_alu 0xfffd
	s_delay_alu instid0(VALU_DEP_1) | instskip(SKIP_3) | instid1(VALU_DEP_4)
	v_cndmask_b32_e32 v1, v5, v6, vcc_lo
	v_cmp_le_u32_e32 vcc_lo, s57, v3
	v_ashrrev_i32_e32 v5, 31, v2
	v_mul_lo_u32 v2, v2, s6
	v_xor_b32_e32 v1, v1, v7
	s_wait_alu 0xfffd
	v_cndmask_b32_e32 v3, v3, v4, vcc_lo
	s_and_not1_b32 vcc_lo, exec_lo, s9
	s_delay_alu instid0(VALU_DEP_2) | instskip(NEXT) | instid1(VALU_DEP_2)
	v_sub_nc_u32_e32 v9, v1, v7
	v_xor_b32_e32 v4, v3, v5
	v_sub_nc_u32_e32 v3, v0, v2
	s_delay_alu instid0(VALU_DEP_2)
	v_sub_nc_u32_e32 v4, v4, v5
	s_wait_alu 0xfffe
	s_cbranch_vccnz .LBB84_33
; %bb.4:                                ;   in Loop: Header=BB84_3 Depth=1
	v_dual_mov_b32 v1, 0 :: v_dual_add_nc_u32 v10, s19, v9
	s_delay_alu instid0(VALU_DEP_2)
	v_dual_mov_b32 v2, 0 :: v_dual_add_nc_u32 v11, s28, v4
	v_add_nc_u32_e32 v12, s29, v3
	s_mov_b32 s2, 0
	s_mov_b64 s[0:1], s[12:13]
	s_branch .LBB84_6
.LBB84_5:                               ;   in Loop: Header=BB84_6 Depth=2
	s_add_co_i32 s2, s2, 1
	s_add_nc_u64 s[0:1], s[0:1], s[14:15]
	s_wait_alu 0xfffe
	s_cmp_eq_u32 s2, s8
	s_cbranch_scc1 .LBB84_34
.LBB84_6:                               ;   Parent Loop BB84_3 Depth=1
                                        ; =>  This Loop Header: Depth=2
                                        ;       Child Loop BB84_9 Depth 3
                                        ;         Child Loop BB84_18 Depth 4
                                        ;           Child Loop BB84_25 Depth 5
	s_and_not1_b32 vcc_lo, exec_lo, s37
	s_wait_alu 0xfffe
	s_cbranch_vccnz .LBB84_5
; %bb.7:                                ;   in Loop: Header=BB84_6 Depth=2
	s_mul_u64 s[46:47], s[2:3], s[38:39]
	s_mov_b32 s72, 0
	s_mov_b64 s[48:49], s[0:1]
	s_branch .LBB84_9
.LBB84_8:                               ;   in Loop: Header=BB84_9 Depth=3
	s_add_co_i32 s72, s72, 1
	s_add_nc_u64 s[48:49], s[48:49], s[22:23]
	s_cmp_eq_u32 s72, s10
	s_cbranch_scc1 .LBB84_5
.LBB84_9:                               ;   Parent Loop BB84_3 Depth=1
                                        ;     Parent Loop BB84_6 Depth=2
                                        ; =>    This Loop Header: Depth=3
                                        ;         Child Loop BB84_18 Depth 4
                                        ;           Child Loop BB84_25 Depth 5
	s_mul_i32 s50, s16, s72
	s_mov_b32 s51, exec_lo
	s_wait_alu 0xfffe
	v_subrev_nc_u32_e32 v14, s50, v10
	s_mov_b32 s50, 0
                                        ; implicit-def: $vgpr7
                                        ; implicit-def: $vgpr8
	s_delay_alu instid0(VALU_DEP_1) | instskip(SKIP_1) | instid1(VALU_DEP_2)
	v_sub_nc_u32_e32 v6, 0, v14
	v_ashrrev_i32_e32 v5, 31, v14
	v_max_i32_e32 v13, v14, v6
                                        ; implicit-def: $vgpr6
	v_cmpx_lt_i32_e32 -1, v14
	s_xor_b32 s51, exec_lo, s51
	s_cbranch_execnz .LBB84_13
; %bb.10:                               ;   in Loop: Header=BB84_9 Depth=3
	s_wait_alu 0xfffe
	s_and_not1_saveexec_b32 s51, s51
	s_cbranch_execnz .LBB84_14
.LBB84_11:                              ;   in Loop: Header=BB84_9 Depth=3
	s_wait_alu 0xfffe
	s_or_b32 exec_lo, exec_lo, s51
	v_mov_b32_e32 v13, 1
	s_and_saveexec_b32 s51, s50
	s_cbranch_execnz .LBB84_15
.LBB84_12:                              ;   in Loop: Header=BB84_9 Depth=3
	s_wait_alu 0xfffe
	s_or_b32 exec_lo, exec_lo, s51
	s_delay_alu instid0(SALU_CYCLE_1)
	s_and_not1_b32 vcc_lo, exec_lo, s54
	s_wait_alu 0xfffe
	s_cbranch_vccz .LBB84_16
	s_branch .LBB84_8
.LBB84_13:                              ;   in Loop: Header=BB84_9 Depth=3
	s_delay_alu instid0(VALU_DEP_2) | instskip(NEXT) | instid1(VALU_DEP_1)
	v_mul_hi_u32 v6, v13, s69
	v_mul_lo_u32 v5, v6, s61
	s_delay_alu instid0(VALU_DEP_1) | instskip(SKIP_1) | instid1(VALU_DEP_2)
	v_sub_nc_u32_e32 v7, v13, v5
	v_ashrrev_i32_e32 v5, 31, v14
	v_subrev_nc_u32_e32 v8, s61, v7
	v_cmp_le_u32_e32 vcc_lo, s61, v7
	s_wait_alu 0xfffd
	s_delay_alu instid0(VALU_DEP_2) | instskip(NEXT) | instid1(VALU_DEP_1)
	v_cndmask_b32_e32 v13, v7, v8, vcc_lo
	v_subrev_nc_u32_e32 v15, s61, v13
	v_cmp_le_u32_e32 vcc_lo, s61, v13
	s_wait_alu 0xfffd
	s_delay_alu instid0(VALU_DEP_2) | instskip(NEXT) | instid1(VALU_DEP_1)
	v_cndmask_b32_e32 v13, v13, v15, vcc_lo
	v_xor_b32_e32 v13, v13, v5
	s_delay_alu instid0(VALU_DEP_1) | instskip(NEXT) | instid1(VALU_DEP_1)
	v_sub_nc_u32_e32 v13, v13, v5
	v_cmp_ne_u32_e32 vcc_lo, 0, v13
                                        ; implicit-def: $vgpr13
	s_and_b32 s50, vcc_lo, exec_lo
	s_wait_alu 0xfffe
	s_and_not1_saveexec_b32 s51, s51
	s_cbranch_execz .LBB84_11
.LBB84_14:                              ;   in Loop: Header=BB84_9 Depth=3
	v_mul_hi_u32 v6, v13, s69
	s_or_b32 s50, s50, exec_lo
	s_delay_alu instid0(VALU_DEP_1) | instskip(NEXT) | instid1(VALU_DEP_1)
	v_mul_lo_u32 v7, v6, s61
	v_sub_nc_u32_e32 v7, v13, v7
	s_delay_alu instid0(VALU_DEP_1)
	v_subrev_nc_u32_e32 v8, s61, v7
	s_wait_alu 0xfffe
	s_or_b32 exec_lo, exec_lo, s51
	v_mov_b32_e32 v13, 1
	s_and_saveexec_b32 s51, s50
	s_cbranch_execz .LBB84_12
.LBB84_15:                              ;   in Loop: Header=BB84_9 Depth=3
	v_mov_b32_e32 v13, 0
	s_wait_alu 0xfffe
	s_or_b32 exec_lo, exec_lo, s51
	s_delay_alu instid0(SALU_CYCLE_1)
	s_and_not1_b32 vcc_lo, exec_lo, s54
	s_wait_alu 0xfffe
	s_cbranch_vccnz .LBB84_8
.LBB84_16:                              ;   in Loop: Header=BB84_9 Depth=3
	v_cmp_le_u32_e32 vcc_lo, s61, v7
	v_add_nc_u32_e32 v14, 1, v6
	v_xor_b32_e32 v5, s68, v5
	s_mov_b32 s73, 0
	s_mov_b64 s[50:51], s[48:49]
	s_wait_alu 0xfffd
	v_dual_cndmask_b32 v7, v7, v8 :: v_dual_cndmask_b32 v6, v6, v14
	s_delay_alu instid0(VALU_DEP_1) | instskip(NEXT) | instid1(VALU_DEP_2)
	v_cmp_le_u32_e32 vcc_lo, s61, v7
	v_add_nc_u32_e32 v8, 1, v6
	s_wait_alu 0xfffd
	s_delay_alu instid0(VALU_DEP_1) | instskip(NEXT) | instid1(VALU_DEP_1)
	v_cndmask_b32_e32 v6, v6, v8, vcc_lo
	v_xor_b32_e32 v6, v6, v5
	s_delay_alu instid0(VALU_DEP_1) | instskip(NEXT) | instid1(VALU_DEP_1)
	v_sub_nc_u32_e32 v7, v6, v5
	v_ashrrev_i32_e32 v5, 31, v7
	v_add_co_u32 v6, vcc_lo, s46, v7
	s_wait_alu 0xfffd
	s_delay_alu instid0(VALU_DEP_2) | instskip(NEXT) | instid1(VALU_DEP_2)
	v_add_co_ci_u32_e64 v5, null, s47, v5, vcc_lo
	v_mul_lo_u32 v8, v6, s41
	v_cmp_gt_i32_e32 vcc_lo, s38, v7
	s_delay_alu instid0(VALU_DEP_3) | instskip(SKIP_3) | instid1(VALU_DEP_2)
	v_mul_lo_u32 v14, v5, s40
	v_mad_co_u64_u32 v[5:6], null, v6, s40, 0
	s_wait_alu 0xfffd
	v_cndmask_b32_e32 v13, 0, v13, vcc_lo
	v_add3_u32 v6, v6, v8, v14
	s_branch .LBB84_18
.LBB84_17:                              ;   in Loop: Header=BB84_18 Depth=4
	s_add_co_i32 s73, s73, 1
	s_add_nc_u64 s[50:51], s[50:51], s[30:31]
	s_cmp_eq_u32 s73, s44
	s_cbranch_scc1 .LBB84_8
.LBB84_18:                              ;   Parent Loop BB84_3 Depth=1
                                        ;     Parent Loop BB84_6 Depth=2
                                        ;       Parent Loop BB84_9 Depth=3
                                        ; =>      This Loop Header: Depth=4
                                        ;           Child Loop BB84_25 Depth 5
	s_mul_i32 s52, s17, s73
	s_wait_alu 0xfffe
	v_subrev_nc_u32_e32 v8, s52, v11
	s_delay_alu instid0(VALU_DEP_1) | instskip(SKIP_3) | instid1(VALU_DEP_4)
	v_sub_nc_u32_e32 v14, 0, v8
	v_cmp_gt_i32_e64 s52, 0, v8
	v_cmp_lt_i32_e32 vcc_lo, -1, v8
	v_ashrrev_i32_e32 v7, 31, v8
	v_max_i32_e32 v8, v8, v14
	s_and_saveexec_b32 s53, vcc_lo
	s_cbranch_execnz .LBB84_21
; %bb.19:                               ;   in Loop: Header=BB84_18 Depth=4
	s_wait_alu 0xfffe
	s_or_b32 exec_lo, exec_lo, s53
	v_mov_b32_e32 v14, 1
	s_and_saveexec_b32 s53, s52
	s_cbranch_execnz .LBB84_22
.LBB84_20:                              ;   in Loop: Header=BB84_18 Depth=4
	s_wait_alu 0xfffe
	s_or_b32 exec_lo, exec_lo, s53
	s_delay_alu instid0(SALU_CYCLE_1)
	s_and_not1_b32 vcc_lo, exec_lo, s55
	s_wait_alu 0xfffe
	s_cbranch_vccz .LBB84_23
	s_branch .LBB84_17
.LBB84_21:                              ;   in Loop: Header=BB84_18 Depth=4
	s_delay_alu instid0(VALU_DEP_1) | instskip(SKIP_1) | instid1(VALU_DEP_1)
	v_mul_hi_u32 v14, v8, s71
	s_and_not1_b32 s52, s52, exec_lo
	v_mul_lo_u32 v14, v14, s62
	s_delay_alu instid0(VALU_DEP_1) | instskip(NEXT) | instid1(VALU_DEP_1)
	v_sub_nc_u32_e32 v14, v8, v14
	v_subrev_nc_u32_e32 v15, s62, v14
	v_cmp_le_u32_e32 vcc_lo, s62, v14
	s_wait_alu 0xfffd
	s_delay_alu instid0(VALU_DEP_2) | instskip(NEXT) | instid1(VALU_DEP_1)
	v_cndmask_b32_e32 v14, v14, v15, vcc_lo
	v_subrev_nc_u32_e32 v15, s62, v14
	v_cmp_le_u32_e32 vcc_lo, s62, v14
	s_wait_alu 0xfffd
	s_delay_alu instid0(VALU_DEP_2) | instskip(NEXT) | instid1(VALU_DEP_1)
	v_cndmask_b32_e32 v14, v14, v15, vcc_lo
	v_xor_b32_e32 v14, v14, v7
	s_delay_alu instid0(VALU_DEP_1) | instskip(NEXT) | instid1(VALU_DEP_1)
	v_sub_nc_u32_e32 v14, v14, v7
	v_cmp_ne_u32_e32 vcc_lo, 0, v14
	s_and_b32 s74, vcc_lo, exec_lo
	s_wait_alu 0xfffe
	s_or_b32 s52, s52, s74
	s_or_b32 exec_lo, exec_lo, s53
	v_mov_b32_e32 v14, 1
	s_wait_alu 0xfffe
	s_and_saveexec_b32 s53, s52
	s_cbranch_execz .LBB84_20
.LBB84_22:                              ;   in Loop: Header=BB84_18 Depth=4
	v_mov_b32_e32 v14, 0
	s_wait_alu 0xfffe
	s_or_b32 exec_lo, exec_lo, s53
	s_delay_alu instid0(SALU_CYCLE_1)
	s_and_not1_b32 vcc_lo, exec_lo, s55
	s_wait_alu 0xfffe
	s_cbranch_vccnz .LBB84_17
.LBB84_23:                              ;   in Loop: Header=BB84_18 Depth=4
	v_mul_hi_u32 v15, v8, s71
	v_xor_b32_e32 v7, s70, v7
	s_mov_b64 s[52:53], s[50:51]
	s_mov_b32 s74, s34
	s_delay_alu instid0(VALU_DEP_2) | instskip(NEXT) | instid1(VALU_DEP_1)
	v_mul_lo_u32 v16, v15, s62
	v_sub_nc_u32_e32 v8, v8, v16
	v_add_nc_u32_e32 v16, 1, v15
	s_delay_alu instid0(VALU_DEP_2) | instskip(SKIP_2) | instid1(VALU_DEP_2)
	v_subrev_nc_u32_e32 v17, s62, v8
	v_cmp_le_u32_e32 vcc_lo, s62, v8
	s_wait_alu 0xfffd
	v_dual_cndmask_b32 v15, v15, v16 :: v_dual_cndmask_b32 v8, v8, v17
	s_delay_alu instid0(VALU_DEP_1) | instskip(NEXT) | instid1(VALU_DEP_2)
	v_add_nc_u32_e32 v16, 1, v15
	v_cmp_le_u32_e32 vcc_lo, s62, v8
	s_wait_alu 0xfffd
	s_delay_alu instid0(VALU_DEP_2) | instskip(NEXT) | instid1(VALU_DEP_1)
	v_cndmask_b32_e32 v8, v15, v16, vcc_lo
	v_xor_b32_e32 v8, v8, v7
	s_delay_alu instid0(VALU_DEP_1) | instskip(NEXT) | instid1(VALU_DEP_1)
	v_sub_nc_u32_e32 v15, v8, v7
	v_ashrrev_i32_e32 v7, 31, v15
	v_add_co_u32 v8, vcc_lo, v5, v15
	s_wait_alu 0xfffd
	s_delay_alu instid0(VALU_DEP_2) | instskip(NEXT) | instid1(VALU_DEP_2)
	v_add_co_ci_u32_e64 v16, null, v6, v7, vcc_lo
	v_mul_lo_u32 v17, v8, s43
	v_mad_co_u64_u32 v[7:8], null, v8, s42, 0
	s_delay_alu instid0(VALU_DEP_3) | instskip(SKIP_3) | instid1(VALU_DEP_3)
	v_mul_lo_u32 v16, v16, s42
	v_cmp_gt_i32_e32 vcc_lo, s40, v15
	s_wait_alu 0xfffd
	v_cndmask_b32_e32 v14, 0, v14, vcc_lo
	v_add3_u32 v8, v8, v17, v16
	s_delay_alu instid0(VALU_DEP_2) | instskip(NEXT) | instid1(VALU_DEP_2)
	v_dual_mov_b32 v17, v12 :: v_dual_and_b32 v14, v14, v13
	v_lshlrev_b64_e32 v[7:8], 2, v[7:8]
	s_delay_alu instid0(VALU_DEP_1) | instskip(SKIP_1) | instid1(VALU_DEP_2)
	v_add_co_u32 v15, vcc_lo, s20, v7
	s_wait_alu 0xfffd
	v_add_co_ci_u32_e64 v16, null, s21, v8, vcc_lo
	s_branch .LBB84_25
.LBB84_24:                              ;   in Loop: Header=BB84_25 Depth=5
	s_or_b32 exec_lo, exec_lo, s75
	v_subrev_nc_u32_e32 v17, s18, v17
	s_add_co_i32 s74, s74, -1
	s_wait_alu 0xfffe
	s_add_nc_u64 s[52:53], s[52:53], 4
	s_cmp_eq_u32 s74, 0
	s_cbranch_scc1 .LBB84_17
.LBB84_25:                              ;   Parent Loop BB84_3 Depth=1
                                        ;     Parent Loop BB84_6 Depth=2
                                        ;       Parent Loop BB84_9 Depth=3
                                        ;         Parent Loop BB84_18 Depth=4
                                        ; =>        This Inner Loop Header: Depth=5
	v_sub_nc_u32_e32 v8, 0, v17
	v_ashrrev_i32_e32 v7, 31, v17
	s_mov_b32 s75, 0
	s_mov_b32 s76, exec_lo
                                        ; implicit-def: $vgpr18
                                        ; implicit-def: $vgpr19
	s_delay_alu instid0(VALU_DEP_2)
	v_max_i32_e32 v20, v17, v8
                                        ; implicit-def: $vgpr8
	v_cmpx_lt_i32_e32 -1, v17
	s_wait_alu 0xfffe
	s_xor_b32 s76, exec_lo, s76
	s_cbranch_execnz .LBB84_31
; %bb.26:                               ;   in Loop: Header=BB84_25 Depth=5
	s_wait_alu 0xfffe
	s_and_not1_saveexec_b32 s76, s76
	s_cbranch_execnz .LBB84_32
.LBB84_27:                              ;   in Loop: Header=BB84_25 Depth=5
	s_wait_alu 0xfffe
	s_or_b32 exec_lo, exec_lo, s76
	v_mov_b32_e32 v20, 1
	s_and_saveexec_b32 s76, s75
.LBB84_28:                              ;   in Loop: Header=BB84_25 Depth=5
	v_mov_b32_e32 v20, 0
.LBB84_29:                              ;   in Loop: Header=BB84_25 Depth=5
	s_wait_alu 0xfffe
	s_or_b32 exec_lo, exec_lo, s76
	v_cmp_le_u32_e32 vcc_lo, s65, v18
	v_add_nc_u32_e32 v21, 1, v8
	v_xor_b32_e32 v7, s45, v7
	s_mov_b32 s75, exec_lo
	s_wait_alu 0xfffd
	v_cndmask_b32_e32 v18, v18, v19, vcc_lo
	v_cndmask_b32_e32 v8, v8, v21, vcc_lo
	s_delay_alu instid0(VALU_DEP_2) | instskip(NEXT) | instid1(VALU_DEP_2)
	v_cmp_le_u32_e32 vcc_lo, s65, v18
	v_add_nc_u32_e32 v19, 1, v8
	s_wait_alu 0xfffd
	s_delay_alu instid0(VALU_DEP_1) | instskip(NEXT) | instid1(VALU_DEP_1)
	v_cndmask_b32_e32 v8, v8, v19, vcc_lo
	v_xor_b32_e32 v8, v8, v7
	s_delay_alu instid0(VALU_DEP_1) | instskip(NEXT) | instid1(VALU_DEP_1)
	v_sub_nc_u32_e32 v7, v8, v7
	v_cmp_gt_i32_e32 vcc_lo, s42, v7
	s_wait_alu 0xfffd
	v_cndmask_b32_e32 v8, 0, v20, vcc_lo
	s_delay_alu instid0(VALU_DEP_1) | instskip(NEXT) | instid1(VALU_DEP_1)
	v_and_b32_e32 v8, v14, v8
	v_and_b32_e32 v8, 1, v8
	s_delay_alu instid0(VALU_DEP_1)
	v_cmpx_eq_u32_e32 1, v8
	s_cbranch_execz .LBB84_24
; %bb.30:                               ;   in Loop: Header=BB84_25 Depth=5
	v_ashrrev_i32_e32 v8, 31, v7
	s_load_b32 s76, s[52:53], 0x0
	s_delay_alu instid0(VALU_DEP_1) | instskip(NEXT) | instid1(VALU_DEP_1)
	v_lshlrev_b64_e32 v[7:8], 2, v[7:8]
	v_add_co_u32 v7, vcc_lo, v15, v7
	s_wait_alu 0xfffd
	s_delay_alu instid0(VALU_DEP_2)
	v_add_co_ci_u32_e64 v8, null, v16, v8, vcc_lo
	global_load_b32 v7, v[7:8], off
	s_wait_kmcnt 0x0
	v_cvt_f64_f32_e32 v[18:19], s76
	s_wait_loadcnt 0x0
	v_cvt_f64_f32_e32 v[7:8], v7
	s_delay_alu instid0(VALU_DEP_1)
	v_fma_f64 v[1:2], v[7:8], v[18:19], v[1:2]
	s_branch .LBB84_24
.LBB84_31:                              ;   in Loop: Header=BB84_25 Depth=5
	v_mul_hi_u32 v8, v20, s11
	s_delay_alu instid0(VALU_DEP_1) | instskip(NEXT) | instid1(VALU_DEP_1)
	v_mul_lo_u32 v7, v8, s65
	v_sub_nc_u32_e32 v18, v20, v7
	v_ashrrev_i32_e32 v7, 31, v17
	s_delay_alu instid0(VALU_DEP_2) | instskip(SKIP_2) | instid1(VALU_DEP_2)
	v_subrev_nc_u32_e32 v19, s65, v18
	v_cmp_le_u32_e32 vcc_lo, s65, v18
	s_wait_alu 0xfffd
	v_cndmask_b32_e32 v20, v18, v19, vcc_lo
	s_delay_alu instid0(VALU_DEP_1) | instskip(SKIP_2) | instid1(VALU_DEP_2)
	v_subrev_nc_u32_e32 v21, s65, v20
	v_cmp_le_u32_e32 vcc_lo, s65, v20
	s_wait_alu 0xfffd
	v_cndmask_b32_e32 v20, v20, v21, vcc_lo
	s_delay_alu instid0(VALU_DEP_1) | instskip(NEXT) | instid1(VALU_DEP_1)
	v_xor_b32_e32 v20, v20, v7
	v_sub_nc_u32_e32 v20, v20, v7
	s_delay_alu instid0(VALU_DEP_1)
	v_cmp_ne_u32_e32 vcc_lo, 0, v20
                                        ; implicit-def: $vgpr20
	s_and_b32 s75, vcc_lo, exec_lo
	s_wait_alu 0xfffe
	s_and_not1_saveexec_b32 s76, s76
	s_cbranch_execz .LBB84_27
.LBB84_32:                              ;   in Loop: Header=BB84_25 Depth=5
	v_mul_hi_u32 v8, v20, s11
	s_or_b32 s75, s75, exec_lo
	s_delay_alu instid0(VALU_DEP_1) | instskip(NEXT) | instid1(VALU_DEP_1)
	v_mul_lo_u32 v18, v8, s65
	v_sub_nc_u32_e32 v18, v20, v18
	s_delay_alu instid0(VALU_DEP_1)
	v_subrev_nc_u32_e32 v19, s65, v18
	s_wait_alu 0xfffe
	s_or_b32 exec_lo, exec_lo, s76
	v_mov_b32_e32 v20, 1
	s_and_saveexec_b32 s76, s75
	s_cbranch_execnz .LBB84_28
	s_branch .LBB84_29
.LBB84_33:                              ;   in Loop: Header=BB84_3 Depth=1
	v_mov_b32_e32 v1, 0
	v_mov_b32_e32 v2, 0
.LBB84_34:                              ;   in Loop: Header=BB84_3 Depth=1
	v_ashrrev_i32_e32 v5, 31, v4
	s_delay_alu instid0(VALU_DEP_1) | instskip(NEXT) | instid1(VALU_DEP_1)
	v_mad_co_i64_i32 v[4:5], null, v9, s36, v[4:5]
	v_mul_lo_u32 v7, v5, s6
	s_delay_alu instid0(VALU_DEP_2) | instskip(SKIP_2) | instid1(VALU_DEP_1)
	v_mul_lo_u32 v8, v4, s7
	v_mad_co_u64_u32 v[5:6], null, v4, s6, 0
	v_ashrrev_i32_e32 v4, 31, v3
	v_lshlrev_b64_e32 v[3:4], 2, v[3:4]
	s_delay_alu instid0(VALU_DEP_3) | instskip(NEXT) | instid1(VALU_DEP_1)
	v_add3_u32 v6, v6, v8, v7
	v_lshlrev_b64_e32 v[5:6], 2, v[5:6]
	s_delay_alu instid0(VALU_DEP_1) | instskip(SKIP_1) | instid1(VALU_DEP_2)
	v_add_co_u32 v5, vcc_lo, s4, v5
	s_wait_alu 0xfffd
	v_add_co_ci_u32_e64 v6, null, s5, v6, vcc_lo
	s_delay_alu instid0(VALU_DEP_2) | instskip(SKIP_1) | instid1(VALU_DEP_2)
	v_add_co_u32 v3, vcc_lo, v5, v3
	s_wait_alu 0xfffd
	v_add_co_ci_u32_e64 v4, null, v6, v4, vcc_lo
	s_and_not1_b32 vcc_lo, exec_lo, s59
	s_wait_alu 0xfffe
	s_cbranch_vccnz .LBB84_2
; %bb.35:                               ;   in Loop: Header=BB84_3 Depth=1
	global_load_b32 v5, v[3:4], off
	s_wait_loadcnt 0x0
	v_cvt_f64_f32_e32 v[5:6], v5
	s_delay_alu instid0(VALU_DEP_1) | instskip(NEXT) | instid1(VALU_DEP_1)
	v_mul_f64_e32 v[5:6], s[26:27], v[5:6]
	v_fma_f64 v[1:2], s[24:25], v[1:2], v[5:6]
	s_branch .LBB84_2
.LBB84_36:
	s_endpgm
	.section	.rodata,"a",@progbits
	.p2align	6, 0x0
	.amdhsa_kernel naive_conv_ab_packed_bwd_ncdhw_float_double_float_0
		.amdhsa_group_segment_fixed_size 0
		.amdhsa_private_segment_fixed_size 0
		.amdhsa_kernarg_size 528
		.amdhsa_user_sgpr_count 2
		.amdhsa_user_sgpr_dispatch_ptr 0
		.amdhsa_user_sgpr_queue_ptr 0
		.amdhsa_user_sgpr_kernarg_segment_ptr 1
		.amdhsa_user_sgpr_dispatch_id 0
		.amdhsa_user_sgpr_private_segment_size 0
		.amdhsa_wavefront_size32 1
		.amdhsa_uses_dynamic_stack 0
		.amdhsa_enable_private_segment 0
		.amdhsa_system_sgpr_workgroup_id_x 1
		.amdhsa_system_sgpr_workgroup_id_y 0
		.amdhsa_system_sgpr_workgroup_id_z 0
		.amdhsa_system_sgpr_workgroup_info 0
		.amdhsa_system_vgpr_workitem_id 0
		.amdhsa_next_free_vgpr 22
		.amdhsa_next_free_sgpr 77
		.amdhsa_reserve_vcc 1
		.amdhsa_float_round_mode_32 0
		.amdhsa_float_round_mode_16_64 0
		.amdhsa_float_denorm_mode_32 3
		.amdhsa_float_denorm_mode_16_64 3
		.amdhsa_fp16_overflow 0
		.amdhsa_workgroup_processor_mode 1
		.amdhsa_memory_ordered 1
		.amdhsa_forward_progress 1
		.amdhsa_inst_pref_size 25
		.amdhsa_round_robin_scheduling 0
		.amdhsa_exception_fp_ieee_invalid_op 0
		.amdhsa_exception_fp_denorm_src 0
		.amdhsa_exception_fp_ieee_div_zero 0
		.amdhsa_exception_fp_ieee_overflow 0
		.amdhsa_exception_fp_ieee_underflow 0
		.amdhsa_exception_fp_ieee_inexact 0
		.amdhsa_exception_int_div_zero 0
	.end_amdhsa_kernel
	.text
.Lfunc_end84:
	.size	naive_conv_ab_packed_bwd_ncdhw_float_double_float_0, .Lfunc_end84-naive_conv_ab_packed_bwd_ncdhw_float_double_float_0
                                        ; -- End function
	.set naive_conv_ab_packed_bwd_ncdhw_float_double_float_0.num_vgpr, 22
	.set naive_conv_ab_packed_bwd_ncdhw_float_double_float_0.num_agpr, 0
	.set naive_conv_ab_packed_bwd_ncdhw_float_double_float_0.numbered_sgpr, 77
	.set naive_conv_ab_packed_bwd_ncdhw_float_double_float_0.num_named_barrier, 0
	.set naive_conv_ab_packed_bwd_ncdhw_float_double_float_0.private_seg_size, 0
	.set naive_conv_ab_packed_bwd_ncdhw_float_double_float_0.uses_vcc, 1
	.set naive_conv_ab_packed_bwd_ncdhw_float_double_float_0.uses_flat_scratch, 0
	.set naive_conv_ab_packed_bwd_ncdhw_float_double_float_0.has_dyn_sized_stack, 0
	.set naive_conv_ab_packed_bwd_ncdhw_float_double_float_0.has_recursion, 0
	.set naive_conv_ab_packed_bwd_ncdhw_float_double_float_0.has_indirect_call, 0
	.section	.AMDGPU.csdata,"",@progbits
; Kernel info:
; codeLenInByte = 3168
; TotalNumSgprs: 79
; NumVgprs: 22
; ScratchSize: 0
; MemoryBound: 0
; FloatMode: 240
; IeeeMode: 1
; LDSByteSize: 0 bytes/workgroup (compile time only)
; SGPRBlocks: 0
; VGPRBlocks: 2
; NumSGPRsForWavesPerEU: 79
; NumVGPRsForWavesPerEU: 22
; Occupancy: 16
; WaveLimiterHint : 1
; COMPUTE_PGM_RSRC2:SCRATCH_EN: 0
; COMPUTE_PGM_RSRC2:USER_SGPR: 2
; COMPUTE_PGM_RSRC2:TRAP_HANDLER: 0
; COMPUTE_PGM_RSRC2:TGID_X_EN: 1
; COMPUTE_PGM_RSRC2:TGID_Y_EN: 0
; COMPUTE_PGM_RSRC2:TGID_Z_EN: 0
; COMPUTE_PGM_RSRC2:TIDIG_COMP_CNT: 0
	.text
	.protected	naive_conv_ab_nonpacked_bwd_ncdhw_float_double_float_0 ; -- Begin function naive_conv_ab_nonpacked_bwd_ncdhw_float_double_float_0
	.globl	naive_conv_ab_nonpacked_bwd_ncdhw_float_double_float_0
	.p2align	8
	.type	naive_conv_ab_nonpacked_bwd_ncdhw_float_double_float_0,@function
naive_conv_ab_nonpacked_bwd_ncdhw_float_double_float_0: ; @naive_conv_ab_nonpacked_bwd_ncdhw_float_double_float_0
; %bb.0:
	s_load_b512 s[4:19], s[0:1], 0xb8
	s_mov_b32 s24, exec_lo
	s_wait_kmcnt 0x0
	s_abs_i32 s3, s9
	s_mul_i32 s84, s6, s5
	s_cvt_f32_u32 s2, s3
	s_delay_alu instid0(SALU_CYCLE_3) | instskip(NEXT) | instid1(TRANS32_DEP_1)
	v_rcp_iflag_f32_e32 v1, s2
	v_readfirstlane_b32 s2, v1
	s_mul_f32 s2, s2, 0x4f7ffffe
	s_wait_alu 0xfffe
	s_delay_alu instid0(SALU_CYCLE_2) | instskip(SKIP_2) | instid1(SALU_CYCLE_1)
	s_cvt_u32_f32 s20, s2
	s_sub_co_i32 s2, 0, s3
	s_wait_alu 0xfffe
	s_mul_i32 s2, s2, s20
	s_wait_alu 0xfffe
	s_mul_hi_u32 s21, s20, s2
	s_abs_i32 s2, ttmp9
	s_add_co_i32 s20, s20, s21
	s_wait_alu 0xfffe
	s_mul_hi_u32 s20, s2, s20
	s_delay_alu instid0(SALU_CYCLE_1) | instskip(SKIP_2) | instid1(SALU_CYCLE_1)
	s_mul_i32 s21, s20, s3
	s_add_co_i32 s22, s20, 1
	s_sub_co_i32 s21, s2, s21
	s_sub_co_i32 s23, s21, s3
	s_cmp_ge_u32 s21, s3
	s_cselect_b32 s20, s22, s20
	s_cselect_b32 s21, s23, s21
	s_add_co_i32 s22, s20, 1
	s_cmp_ge_u32 s21, s3
	s_mul_i32 s21, s9, s7
	s_cselect_b32 s22, s22, s20
	s_abs_i32 s20, s7
	s_abs_i32 s28, s21
	s_cvt_f32_u32 s3, s20
	s_cvt_f32_u32 s7, s28
	s_wait_alu 0xfffe
	s_delay_alu instid0(SALU_CYCLE_1) | instskip(NEXT) | instid1(SALU_CYCLE_1)
	v_rcp_iflag_f32_e32 v1, s3
	v_rcp_iflag_f32_e32 v2, s7
	s_mul_i32 s7, s84, s4
	s_mov_b32 s3, 0
	s_delay_alu instid0(TRANS32_DEP_2) | instskip(NEXT) | instid1(TRANS32_DEP_1)
	v_readfirstlane_b32 s23, v1
	v_readfirstlane_b32 s4, v2
	s_wait_alu 0xfffe
	v_cmpx_gt_i32_e64 s7, v0
	s_cbranch_execz .LBB85_36
; %bb.1:
	s_mul_f32 s23, s23, 0x4f7ffffe
	s_ashr_i32 s26, ttmp9, 31
	s_ashr_i32 s24, s9, 31
	s_mul_f32 s4, s4, 0x4f7ffffe
	s_cvt_u32_f32 s23, s23
	s_sub_co_i32 s25, 0, s20
	s_xor_b32 s24, s26, s24
	s_cvt_u32_f32 s4, s4
	s_xor_b32 s22, s22, s24
	s_mul_i32 s25, s25, s23
	s_sub_co_i32 s27, s22, s24
	s_mul_hi_u32 s24, s23, s25
	s_sub_co_i32 s29, 0, s28
	s_abs_i32 s22, s27
	s_add_co_i32 s24, s23, s24
	s_mov_b32 s23, s3
	s_mov_b32 s25, s3
	s_mul_i32 s29, s29, s4
	s_mul_u64 s[24:25], s[22:23], s[24:25]
	s_mul_hi_u32 s24, s4, s29
	s_ashr_i32 s23, s27, 31
	s_add_co_i32 s24, s4, s24
	s_mul_i32 s4, s25, s20
	s_mul_i32 s27, s27, s9
	s_sub_co_i32 s4, s22, s4
	s_ashr_i32 s21, s21, 31
	s_sub_co_i32 s34, ttmp9, s27
	s_sub_co_i32 s9, s4, s20
	s_cmp_ge_u32 s4, s20
	s_mov_b32 s25, s3
	s_cselect_b32 s4, s9, s4
	s_mul_u64 s[30:31], s[2:3], s[24:25]
	s_sub_co_i32 s9, s4, s20
	s_cmp_ge_u32 s4, s20
	s_load_b512 s[36:51], s[0:1], 0x28
	s_cselect_b32 s4, s9, s4
	s_xor_b32 s33, s26, s21
	s_xor_b32 s4, s4, s23
	s_load_b128 s[52:55], s[0:1], 0xa8
	s_sub_co_i32 s56, s4, s23
	s_mul_i32 s4, s31, s28
	s_load_b256 s[20:27], s[0:1], 0x0
	s_sub_co_i32 s2, s2, s4
	s_add_co_i32 s4, s31, 1
	s_wait_alu 0xfffe
	s_sub_co_i32 s9, s2, s28
	s_cmp_ge_u32 s2, s28
	s_load_b32 s83, s[0:1], 0x11c
	s_cselect_b32 s4, s4, s31
	s_cselect_b32 s2, s9, s2
	s_add_co_i32 s9, s4, 1
	s_wait_alu 0xfffe
	s_cmp_ge_u32 s2, s28
	s_load_b128 s[28:31], s[0:1], 0xf8
	s_cselect_b32 s2, s9, s4
	s_load_b32 s9, s[0:1], 0x108
	s_xor_b32 s2, s2, s33
	s_ashr_i32 s57, s56, 31
	s_wait_alu 0xfffe
	s_sub_co_i32 s68, s2, s33
	s_ashr_i32 s35, s34, 31
	s_ashr_i32 s69, s68, 31
	s_wait_kmcnt 0x0
	s_mul_u64 s[46:47], s[46:47], s[56:57]
	s_mul_u64 s[44:45], s[44:45], s[68:69]
	v_cmp_neq_f64_e64 s2, s[24:25], 1.0
	v_cmp_neq_f64_e64 s82, s[26:27], 0
	s_mul_u64 s[42:43], s[42:43], s[34:35]
	s_mul_u64 s[54:55], s[54:55], s[56:57]
	;; [unrolled: 1-line block ×3, first 2 shown]
	s_lshl_b64 s[46:47], s[46:47], 2
	s_lshl_b64 s[44:45], s[44:45], 2
	;; [unrolled: 1-line block ×5, first 2 shown]
	s_cmp_gt_i32 s8, 0
	s_load_b64 s[80:81], s[0:1], 0x20
	s_cselect_b32 s33, -1, 0
	s_cmp_gt_i32 s30, 0
	s_load_b512 s[52:67], s[0:1], 0x68
	s_cselect_b32 s70, -1, 0
	s_cmp_gt_i32 s31, 0
	s_add_nc_u64 s[0:1], s[20:21], s[46:47]
	s_cselect_b32 s71, -1, 0
	s_cmp_gt_i32 s9, 0
	s_add_nc_u64 s[0:1], s[0:1], s[44:45]
	s_cselect_b32 s72, -1, 0
	s_abs_i32 s73, s6
	s_abs_i32 s74, s5
	s_cvt_f32_u32 s4, s73
	s_abs_i32 s75, s84
	s_ashr_i32 s87, s14, 31
	s_ashr_i32 s89, s15, 31
	v_rcp_iflag_f32_e32 v1, s4
	s_cvt_f32_u32 s4, s74
	s_ashr_i32 s84, s84, 31
	s_wait_kmcnt 0x0
	s_add_nc_u64 s[20:21], s[80:81], s[76:77]
	s_abs_i32 s80, s14
	s_add_nc_u64 s[20:21], s[20:21], s[78:79]
	s_abs_i32 s79, s13
	s_and_b32 s77, s83, 0xffff
	s_abs_i32 s83, s15
	s_mul_u64 s[14:15], s[58:59], s[68:69]
	v_readfirstlane_b32 s46, v1
	s_wait_alu 0xfffe
	v_rcp_iflag_f32_e32 v1, s4
	s_add_nc_u64 s[4:5], s[0:1], s[42:43]
	s_cvt_f32_u32 s1, s75
	s_or_b32 s76, s2, s82
	s_mul_f32 s0, s46, 0x4f7ffffe
	s_sub_co_i32 s42, 0, s73
	s_sub_co_i32 s43, 0, s74
	s_lshl_b64 s[14:15], s[14:15], 2
	s_cvt_u32_f32 s0, s0
	s_ashr_i32 s78, s6, 31
	v_readfirstlane_b32 s2, v1
	v_rcp_iflag_f32_e32 v1, s1
	s_mul_i32 s42, s42, s0
	s_ashr_i32 s13, s13, 31
	s_mul_f32 s1, s2, 0x4f7ffffe
	s_mul_hi_u32 s2, s0, s42
	s_cvt_f32_u32 s42, s79
	s_wait_alu 0xfffe
	s_add_co_i32 s81, s0, s2
	s_cvt_u32_f32 s1, s1
	s_cvt_f32_u32 s2, s83
	v_readfirstlane_b32 s44, v1
	v_rcp_iflag_f32_e32 v1, s42
	s_wait_alu 0xfffe
	s_mul_i32 s43, s43, s1
	s_wait_alu 0xfffe
	s_mul_hi_u32 s42, s1, s43
	s_mul_f32 s43, s44, 0x4f7ffffe
	s_cvt_f32_u32 s44, s80
	s_wait_alu 0xfffe
	s_add_co_i32 s82, s1, s42
	s_sub_co_i32 s42, 0, s75
	s_cvt_u32_f32 s0, s43
	v_rcp_iflag_f32_e32 v2, s44
	v_readfirstlane_b32 s1, v1
	v_rcp_iflag_f32_e32 v1, s2
	s_wait_alu 0xfffe
	s_mul_i32 s42, s42, s0
	s_lshl_b64 s[44:45], s[48:49], 2
	s_wait_alu 0xfffe
	s_mul_hi_u32 s2, s0, s42
	s_mul_f32 s1, s1, 0x4f7ffffe
	s_wait_alu 0xfffe
	s_add_co_i32 s85, s0, s2
	v_readfirstlane_b32 s42, v2
	s_cvt_u32_f32 s0, s1
	s_sub_co_i32 s1, 0, s79
	s_mul_f32 s2, s42, 0x4f7ffffe
	v_readfirstlane_b32 s42, v1
	s_wait_alu 0xfffe
	s_mul_i32 s1, s1, s0
	s_wait_alu 0xfffe
	s_mul_hi_u32 s1, s0, s1
	s_cvt_u32_f32 s2, s2
	s_wait_alu 0xfffe
	s_add_co_i32 s86, s0, s1
	s_sub_co_i32 s0, 0, s80
	s_mul_f32 s1, s42, 0x4f7ffffe
	s_wait_alu 0xfffe
	s_mul_i32 s0, s0, s2
	s_wait_alu 0xfffe
	s_mul_hi_u32 s0, s2, s0
	s_cvt_u32_f32 s42, s1
	s_wait_alu 0xfffe
	s_add_co_i32 s88, s2, s0
	s_sub_co_i32 s0, 0, s83
	s_wait_alu 0xfffe
	s_mul_i32 s2, s0, s42
	s_mul_u64 s[0:1], s[54:55], s[34:35]
	s_wait_alu 0xfffe
	s_mul_hi_u32 s2, s42, s2
	s_lshl_b64 s[0:1], s[0:1], 2
	s_wait_alu 0xfffe
	s_add_co_i32 s54, s42, s2
	s_add_nc_u64 s[0:1], s[0:1], s[14:15]
	s_lshl_b64 s[34:35], s[52:53], 2
	s_wait_alu 0xfffe
	s_add_nc_u64 s[14:15], s[22:23], s[0:1]
	s_lshl_b64 s[22:23], s[56:57], 2
	s_lshl_b64 s[42:43], s[50:51], 2
	s_mov_b32 s55, 0
	s_branch .LBB85_3
.LBB85_2:                               ;   in Loop: Header=BB85_3 Depth=1
	s_delay_alu instid0(VALU_DEP_1) | instskip(SKIP_1) | instid1(VALU_DEP_1)
	v_cvt_f32_f64_e32 v1, v[1:2]
	v_add_nc_u32_e32 v0, s77, v0
	v_cmp_le_i32_e32 vcc_lo, s7, v0
	s_or_b32 s55, vcc_lo, s55
	global_store_b32 v[3:4], v1, off
	s_wait_alu 0xfffe
	s_and_not1_b32 exec_lo, exec_lo, s55
	s_cbranch_execz .LBB85_36
.LBB85_3:                               ; =>This Loop Header: Depth=1
                                        ;     Child Loop BB85_6 Depth 2
                                        ;       Child Loop BB85_9 Depth 3
                                        ;         Child Loop BB85_18 Depth 4
                                        ;           Child Loop BB85_25 Depth 5
	v_sub_nc_u32_e32 v1, 0, v0
	s_delay_alu instid0(VALU_DEP_1) | instskip(NEXT) | instid1(VALU_DEP_1)
	v_max_i32_e32 v1, v0, v1
	v_mul_hi_u32 v2, v1, s81
	s_delay_alu instid0(VALU_DEP_1) | instskip(NEXT) | instid1(VALU_DEP_1)
	v_mul_lo_u32 v3, v2, s73
	v_sub_nc_u32_e32 v3, v1, v3
	s_delay_alu instid0(VALU_DEP_1) | instskip(SKIP_2) | instid1(VALU_DEP_2)
	v_subrev_nc_u32_e32 v5, s73, v3
	v_cmp_le_u32_e32 vcc_lo, s73, v3
	s_wait_alu 0xfffd
	v_dual_cndmask_b32 v3, v3, v5 :: v_dual_add_nc_u32 v4, 1, v2
	s_delay_alu instid0(VALU_DEP_1) | instskip(SKIP_1) | instid1(VALU_DEP_3)
	v_cndmask_b32_e32 v2, v2, v4, vcc_lo
	v_ashrrev_i32_e32 v4, 31, v0
	v_cmp_le_u32_e32 vcc_lo, s73, v3
	s_delay_alu instid0(VALU_DEP_3) | instskip(NEXT) | instid1(VALU_DEP_3)
	v_add_nc_u32_e32 v5, 1, v2
	v_xor_b32_e32 v6, s78, v4
	s_wait_alu 0xfffd
	s_delay_alu instid0(VALU_DEP_2) | instskip(SKIP_1) | instid1(VALU_DEP_1)
	v_cndmask_b32_e32 v2, v2, v5, vcc_lo
	v_mul_hi_u32 v5, v1, s85
	v_mul_lo_u32 v7, v5, s75
	s_delay_alu instid0(VALU_DEP_1) | instskip(NEXT) | instid1(VALU_DEP_1)
	v_sub_nc_u32_e32 v1, v1, v7
	v_subrev_nc_u32_e32 v7, s75, v1
	v_cmp_le_u32_e32 vcc_lo, s75, v1
	s_wait_alu 0xfffd
	s_delay_alu instid0(VALU_DEP_2) | instskip(SKIP_2) | instid1(VALU_DEP_2)
	v_cndmask_b32_e32 v1, v1, v7, vcc_lo
	v_xor_b32_e32 v2, v2, v6
	v_xor_b32_e32 v7, s84, v4
	v_sub_nc_u32_e32 v2, v2, v6
	s_delay_alu instid0(VALU_DEP_1) | instskip(NEXT) | instid1(VALU_DEP_1)
	v_sub_nc_u32_e32 v3, 0, v2
	v_max_i32_e32 v3, v2, v3
	s_delay_alu instid0(VALU_DEP_1) | instskip(NEXT) | instid1(VALU_DEP_1)
	v_mul_hi_u32 v6, v3, s82
	v_mul_lo_u32 v6, v6, s74
	s_delay_alu instid0(VALU_DEP_1) | instskip(NEXT) | instid1(VALU_DEP_1)
	v_sub_nc_u32_e32 v3, v3, v6
	v_subrev_nc_u32_e32 v8, s74, v3
	v_cmp_le_u32_e64 s0, s74, v3
	s_wait_alu 0xf1ff
	s_delay_alu instid0(VALU_DEP_1) | instskip(NEXT) | instid1(VALU_DEP_1)
	v_cndmask_b32_e64 v3, v3, v8, s0
	v_subrev_nc_u32_e32 v4, s74, v3
	v_add_nc_u32_e32 v6, 1, v5
	s_delay_alu instid0(VALU_DEP_1) | instskip(SKIP_1) | instid1(VALU_DEP_2)
	v_cndmask_b32_e32 v5, v5, v6, vcc_lo
	v_cmp_le_u32_e32 vcc_lo, s75, v1
	v_add_nc_u32_e32 v6, 1, v5
	s_wait_alu 0xfffd
	s_delay_alu instid0(VALU_DEP_1) | instskip(SKIP_3) | instid1(VALU_DEP_4)
	v_cndmask_b32_e32 v1, v5, v6, vcc_lo
	v_cmp_le_u32_e32 vcc_lo, s74, v3
	v_ashrrev_i32_e32 v5, 31, v2
	v_mul_lo_u32 v2, v2, s6
	v_xor_b32_e32 v1, v1, v7
	s_wait_alu 0xfffd
	v_cndmask_b32_e32 v3, v3, v4, vcc_lo
	s_and_not1_b32 vcc_lo, exec_lo, s33
	s_delay_alu instid0(VALU_DEP_1) | instskip(NEXT) | instid1(VALU_DEP_4)
	v_xor_b32_e32 v4, v3, v5
	v_sub_nc_u32_e32 v3, v0, v2
	s_delay_alu instid0(VALU_DEP_2)
	v_sub_nc_u32_e32 v4, v4, v5
	v_sub_nc_u32_e32 v5, v1, v7
	s_wait_alu 0xfffe
	s_cbranch_vccnz .LBB85_33
; %bb.4:                                ;   in Loop: Header=BB85_3 Depth=1
	s_delay_alu instid0(VALU_DEP_1)
	v_dual_mov_b32 v1, 0 :: v_dual_add_nc_u32 v6, s19, v5
	v_dual_mov_b32 v2, 0 :: v_dual_add_nc_u32 v7, s28, v4
	v_add_nc_u32_e32 v8, s29, v3
	s_mov_b32 s2, 0
	s_mov_b64 s[0:1], s[14:15]
	s_branch .LBB85_6
.LBB85_5:                               ;   in Loop: Header=BB85_6 Depth=2
	s_add_co_i32 s2, s2, 1
	s_add_nc_u64 s[0:1], s[0:1], s[22:23]
	s_wait_alu 0xfffe
	s_cmp_eq_u32 s2, s8
	s_cbranch_scc1 .LBB85_34
.LBB85_6:                               ;   Parent Loop BB85_3 Depth=1
                                        ; =>  This Loop Header: Depth=2
                                        ;       Child Loop BB85_9 Depth 3
                                        ;         Child Loop BB85_18 Depth 4
                                        ;           Child Loop BB85_25 Depth 5
	s_and_not1_b32 vcc_lo, exec_lo, s70
	s_wait_alu 0xfffe
	s_cbranch_vccnz .LBB85_5
; %bb.7:                                ;   in Loop: Header=BB85_6 Depth=2
	s_mul_u64 s[46:47], s[66:67], s[2:3]
	s_mov_b32 s56, 0
	s_wait_alu 0xfffe
	s_lshl_b64 s[46:47], s[46:47], 2
	s_mov_b64 s[48:49], s[0:1]
	s_wait_alu 0xfffe
	s_add_nc_u64 s[46:47], s[20:21], s[46:47]
	s_branch .LBB85_9
.LBB85_8:                               ;   in Loop: Header=BB85_9 Depth=3
	s_add_co_i32 s56, s56, 1
	s_add_nc_u64 s[48:49], s[48:49], s[34:35]
	s_cmp_eq_u32 s56, s30
	s_cbranch_scc1 .LBB85_5
.LBB85_9:                               ;   Parent Loop BB85_3 Depth=1
                                        ;     Parent Loop BB85_6 Depth=2
                                        ; =>    This Loop Header: Depth=3
                                        ;         Child Loop BB85_18 Depth 4
                                        ;           Child Loop BB85_25 Depth 5
	s_mul_i32 s50, s16, s56
	s_mov_b32 s51, exec_lo
	s_wait_alu 0xfffe
	v_subrev_nc_u32_e32 v14, s50, v6
	s_mov_b32 s50, 0
                                        ; implicit-def: $vgpr11
                                        ; implicit-def: $vgpr12
	s_delay_alu instid0(VALU_DEP_1) | instskip(SKIP_1) | instid1(VALU_DEP_2)
	v_sub_nc_u32_e32 v10, 0, v14
	v_ashrrev_i32_e32 v9, 31, v14
	v_max_i32_e32 v13, v14, v10
                                        ; implicit-def: $vgpr10
	v_cmpx_lt_i32_e32 -1, v14
	s_xor_b32 s51, exec_lo, s51
	s_cbranch_execnz .LBB85_13
; %bb.10:                               ;   in Loop: Header=BB85_9 Depth=3
	s_wait_alu 0xfffe
	s_and_not1_saveexec_b32 s51, s51
	s_cbranch_execnz .LBB85_14
.LBB85_11:                              ;   in Loop: Header=BB85_9 Depth=3
	s_wait_alu 0xfffe
	s_or_b32 exec_lo, exec_lo, s51
	v_mov_b32_e32 v13, 1
	s_and_saveexec_b32 s51, s50
	s_cbranch_execnz .LBB85_15
.LBB85_12:                              ;   in Loop: Header=BB85_9 Depth=3
	s_wait_alu 0xfffe
	s_or_b32 exec_lo, exec_lo, s51
	s_delay_alu instid0(SALU_CYCLE_1)
	s_and_not1_b32 vcc_lo, exec_lo, s71
	s_wait_alu 0xfffe
	s_cbranch_vccz .LBB85_16
	s_branch .LBB85_8
.LBB85_13:                              ;   in Loop: Header=BB85_9 Depth=3
	s_delay_alu instid0(VALU_DEP_2) | instskip(NEXT) | instid1(VALU_DEP_1)
	v_mul_hi_u32 v10, v13, s86
	v_mul_lo_u32 v9, v10, s79
	s_delay_alu instid0(VALU_DEP_1) | instskip(SKIP_1) | instid1(VALU_DEP_2)
	v_sub_nc_u32_e32 v11, v13, v9
	v_ashrrev_i32_e32 v9, 31, v14
	v_subrev_nc_u32_e32 v12, s79, v11
	v_cmp_le_u32_e32 vcc_lo, s79, v11
	s_wait_alu 0xfffd
	s_delay_alu instid0(VALU_DEP_2) | instskip(NEXT) | instid1(VALU_DEP_1)
	v_cndmask_b32_e32 v13, v11, v12, vcc_lo
	v_subrev_nc_u32_e32 v15, s79, v13
	v_cmp_le_u32_e32 vcc_lo, s79, v13
	s_wait_alu 0xfffd
	s_delay_alu instid0(VALU_DEP_2) | instskip(NEXT) | instid1(VALU_DEP_1)
	v_cndmask_b32_e32 v13, v13, v15, vcc_lo
	v_xor_b32_e32 v13, v13, v9
	s_delay_alu instid0(VALU_DEP_1) | instskip(NEXT) | instid1(VALU_DEP_1)
	v_sub_nc_u32_e32 v13, v13, v9
	v_cmp_ne_u32_e32 vcc_lo, 0, v13
                                        ; implicit-def: $vgpr13
	s_and_b32 s50, vcc_lo, exec_lo
	s_wait_alu 0xfffe
	s_and_not1_saveexec_b32 s51, s51
	s_cbranch_execz .LBB85_11
.LBB85_14:                              ;   in Loop: Header=BB85_9 Depth=3
	v_mul_hi_u32 v10, v13, s86
	s_or_b32 s50, s50, exec_lo
	s_delay_alu instid0(VALU_DEP_1) | instskip(NEXT) | instid1(VALU_DEP_1)
	v_mul_lo_u32 v11, v10, s79
	v_sub_nc_u32_e32 v11, v13, v11
	s_delay_alu instid0(VALU_DEP_1)
	v_subrev_nc_u32_e32 v12, s79, v11
	s_wait_alu 0xfffe
	s_or_b32 exec_lo, exec_lo, s51
	v_mov_b32_e32 v13, 1
	s_and_saveexec_b32 s51, s50
	s_cbranch_execz .LBB85_12
.LBB85_15:                              ;   in Loop: Header=BB85_9 Depth=3
	v_mov_b32_e32 v13, 0
	s_wait_alu 0xfffe
	s_or_b32 exec_lo, exec_lo, s51
	s_delay_alu instid0(SALU_CYCLE_1)
	s_and_not1_b32 vcc_lo, exec_lo, s71
	s_wait_alu 0xfffe
	s_cbranch_vccnz .LBB85_8
.LBB85_16:                              ;   in Loop: Header=BB85_9 Depth=3
	v_cmp_le_u32_e32 vcc_lo, s79, v11
	v_add_nc_u32_e32 v14, 1, v10
	v_xor_b32_e32 v9, s13, v9
	s_mov_b32 s57, 0
	s_mov_b64 s[50:51], s[48:49]
	s_wait_alu 0xfffd
	v_dual_cndmask_b32 v11, v11, v12 :: v_dual_cndmask_b32 v10, v10, v14
	s_delay_alu instid0(VALU_DEP_1) | instskip(NEXT) | instid1(VALU_DEP_2)
	v_cmp_le_u32_e32 vcc_lo, s79, v11
	v_add_nc_u32_e32 v12, 1, v10
	s_wait_alu 0xfffd
	s_delay_alu instid0(VALU_DEP_1) | instskip(NEXT) | instid1(VALU_DEP_1)
	v_cndmask_b32_e32 v10, v10, v12, vcc_lo
	v_xor_b32_e32 v10, v10, v9
	s_delay_alu instid0(VALU_DEP_1) | instskip(NEXT) | instid1(VALU_DEP_1)
	v_sub_nc_u32_e32 v12, v10, v9
	v_ashrrev_i32_e32 v11, 31, v12
	v_mul_lo_u32 v14, s65, v12
	v_mad_co_u64_u32 v[9:10], null, s64, v12, 0
	v_cmp_gt_i32_e32 vcc_lo, s10, v12
	s_delay_alu instid0(VALU_DEP_4) | instskip(NEXT) | instid1(VALU_DEP_1)
	v_mul_lo_u32 v11, s64, v11
	v_add3_u32 v10, v10, v11, v14
	s_delay_alu instid0(VALU_DEP_1) | instskip(SKIP_2) | instid1(VALU_DEP_2)
	v_lshlrev_b64_e32 v[10:11], 2, v[9:10]
	s_wait_alu 0xfffd
	v_cndmask_b32_e32 v9, 0, v13, vcc_lo
	v_add_co_u32 v10, vcc_lo, s46, v10
	s_wait_alu 0xfffd
	s_delay_alu instid0(VALU_DEP_3)
	v_add_co_ci_u32_e64 v11, null, s47, v11, vcc_lo
	s_branch .LBB85_18
.LBB85_17:                              ;   in Loop: Header=BB85_18 Depth=4
	s_add_co_i32 s57, s57, 1
	s_add_nc_u64 s[50:51], s[50:51], s[42:43]
	s_cmp_eq_u32 s57, s31
	s_cbranch_scc1 .LBB85_8
.LBB85_18:                              ;   Parent Loop BB85_3 Depth=1
                                        ;     Parent Loop BB85_6 Depth=2
                                        ;       Parent Loop BB85_9 Depth=3
                                        ; =>      This Loop Header: Depth=4
                                        ;           Child Loop BB85_25 Depth 5
	s_mul_i32 s52, s17, s57
	s_wait_alu 0xfffe
	v_subrev_nc_u32_e32 v13, s52, v7
	s_delay_alu instid0(VALU_DEP_1) | instskip(SKIP_3) | instid1(VALU_DEP_4)
	v_sub_nc_u32_e32 v14, 0, v13
	v_cmp_gt_i32_e64 s52, 0, v13
	v_cmp_lt_i32_e32 vcc_lo, -1, v13
	v_ashrrev_i32_e32 v12, 31, v13
	v_max_i32_e32 v13, v13, v14
	s_and_saveexec_b32 s53, vcc_lo
	s_cbranch_execnz .LBB85_21
; %bb.19:                               ;   in Loop: Header=BB85_18 Depth=4
	s_wait_alu 0xfffe
	s_or_b32 exec_lo, exec_lo, s53
	v_mov_b32_e32 v14, 1
	s_and_saveexec_b32 s53, s52
	s_cbranch_execnz .LBB85_22
.LBB85_20:                              ;   in Loop: Header=BB85_18 Depth=4
	s_wait_alu 0xfffe
	s_or_b32 exec_lo, exec_lo, s53
	s_delay_alu instid0(SALU_CYCLE_1)
	s_and_not1_b32 vcc_lo, exec_lo, s72
	s_wait_alu 0xfffe
	s_cbranch_vccz .LBB85_23
	s_branch .LBB85_17
.LBB85_21:                              ;   in Loop: Header=BB85_18 Depth=4
	s_delay_alu instid0(VALU_DEP_1) | instskip(SKIP_1) | instid1(VALU_DEP_1)
	v_mul_hi_u32 v14, v13, s88
	s_and_not1_b32 s52, s52, exec_lo
	v_mul_lo_u32 v14, v14, s80
	s_delay_alu instid0(VALU_DEP_1) | instskip(NEXT) | instid1(VALU_DEP_1)
	v_sub_nc_u32_e32 v14, v13, v14
	v_subrev_nc_u32_e32 v15, s80, v14
	v_cmp_le_u32_e32 vcc_lo, s80, v14
	s_wait_alu 0xfffd
	s_delay_alu instid0(VALU_DEP_2) | instskip(NEXT) | instid1(VALU_DEP_1)
	v_cndmask_b32_e32 v14, v14, v15, vcc_lo
	v_subrev_nc_u32_e32 v15, s80, v14
	v_cmp_le_u32_e32 vcc_lo, s80, v14
	s_wait_alu 0xfffd
	s_delay_alu instid0(VALU_DEP_2) | instskip(NEXT) | instid1(VALU_DEP_1)
	v_cndmask_b32_e32 v14, v14, v15, vcc_lo
	v_xor_b32_e32 v14, v14, v12
	s_delay_alu instid0(VALU_DEP_1) | instskip(NEXT) | instid1(VALU_DEP_1)
	v_sub_nc_u32_e32 v14, v14, v12
	v_cmp_ne_u32_e32 vcc_lo, 0, v14
	s_and_b32 s58, vcc_lo, exec_lo
	s_wait_alu 0xfffe
	s_or_b32 s52, s52, s58
	s_or_b32 exec_lo, exec_lo, s53
	v_mov_b32_e32 v14, 1
	s_wait_alu 0xfffe
	s_and_saveexec_b32 s53, s52
	s_cbranch_execz .LBB85_20
.LBB85_22:                              ;   in Loop: Header=BB85_18 Depth=4
	v_mov_b32_e32 v14, 0
	s_wait_alu 0xfffe
	s_or_b32 exec_lo, exec_lo, s53
	s_delay_alu instid0(SALU_CYCLE_1)
	s_and_not1_b32 vcc_lo, exec_lo, s72
	s_wait_alu 0xfffe
	s_cbranch_vccnz .LBB85_17
.LBB85_23:                              ;   in Loop: Header=BB85_18 Depth=4
	v_mul_hi_u32 v15, v13, s88
	v_xor_b32_e32 v12, s87, v12
	s_mov_b64 s[52:53], s[50:51]
	s_mov_b32 s58, s9
	s_delay_alu instid0(VALU_DEP_2) | instskip(NEXT) | instid1(VALU_DEP_1)
	v_mul_lo_u32 v16, v15, s80
	v_sub_nc_u32_e32 v13, v13, v16
	s_delay_alu instid0(VALU_DEP_1) | instskip(SKIP_2) | instid1(VALU_DEP_2)
	v_subrev_nc_u32_e32 v17, s80, v13
	v_cmp_le_u32_e32 vcc_lo, s80, v13
	s_wait_alu 0xfffd
	v_dual_cndmask_b32 v13, v13, v17 :: v_dual_add_nc_u32 v16, 1, v15
	s_delay_alu instid0(VALU_DEP_1) | instskip(NEXT) | instid1(VALU_DEP_2)
	v_cndmask_b32_e32 v15, v15, v16, vcc_lo
	v_cmp_le_u32_e32 vcc_lo, s80, v13
	s_delay_alu instid0(VALU_DEP_2) | instskip(SKIP_1) | instid1(VALU_DEP_1)
	v_add_nc_u32_e32 v16, 1, v15
	s_wait_alu 0xfffd
	v_cndmask_b32_e32 v13, v15, v16, vcc_lo
	s_delay_alu instid0(VALU_DEP_1) | instskip(NEXT) | instid1(VALU_DEP_1)
	v_xor_b32_e32 v13, v13, v12
	v_sub_nc_u32_e32 v15, v13, v12
	s_delay_alu instid0(VALU_DEP_1) | instskip(SKIP_3) | instid1(VALU_DEP_4)
	v_ashrrev_i32_e32 v16, 31, v15
	v_mul_lo_u32 v17, s63, v15
	v_mad_co_u64_u32 v[12:13], null, s62, v15, 0
	v_cmp_gt_i32_e32 vcc_lo, s11, v15
	v_mul_lo_u32 v16, s62, v16
	s_wait_alu 0xfffd
	v_cndmask_b32_e32 v15, 0, v14, vcc_lo
	s_delay_alu instid0(VALU_DEP_2) | instskip(NEXT) | instid1(VALU_DEP_1)
	v_add3_u32 v13, v13, v16, v17
	v_lshlrev_b64_e32 v[13:14], 2, v[12:13]
	s_delay_alu instid0(VALU_DEP_3) | instskip(NEXT) | instid1(VALU_DEP_2)
	v_dual_mov_b32 v15, v8 :: v_dual_and_b32 v12, v15, v9
	v_add_co_u32 v13, vcc_lo, v10, v13
	s_wait_alu 0xfffd
	s_delay_alu instid0(VALU_DEP_3)
	v_add_co_ci_u32_e64 v14, null, v11, v14, vcc_lo
	s_branch .LBB85_25
.LBB85_24:                              ;   in Loop: Header=BB85_25 Depth=5
	s_or_b32 exec_lo, exec_lo, s59
	v_subrev_nc_u32_e32 v15, s18, v15
	s_add_co_i32 s58, s58, -1
	s_wait_alu 0xfffe
	s_add_nc_u64 s[52:53], s[52:53], s[44:45]
	s_cmp_eq_u32 s58, 0
	s_cbranch_scc1 .LBB85_17
.LBB85_25:                              ;   Parent Loop BB85_3 Depth=1
                                        ;     Parent Loop BB85_6 Depth=2
                                        ;       Parent Loop BB85_9 Depth=3
                                        ;         Parent Loop BB85_18 Depth=4
                                        ; =>        This Inner Loop Header: Depth=5
	v_sub_nc_u32_e32 v17, 0, v15
	v_ashrrev_i32_e32 v16, 31, v15
	s_mov_b32 s59, 0
	s_mov_b32 s68, exec_lo
                                        ; implicit-def: $vgpr18
                                        ; implicit-def: $vgpr19
	s_delay_alu instid0(VALU_DEP_2)
	v_max_i32_e32 v20, v15, v17
                                        ; implicit-def: $vgpr17
	v_cmpx_lt_i32_e32 -1, v15
	s_wait_alu 0xfffe
	s_xor_b32 s68, exec_lo, s68
	s_cbranch_execnz .LBB85_31
; %bb.26:                               ;   in Loop: Header=BB85_25 Depth=5
	s_wait_alu 0xfffe
	s_and_not1_saveexec_b32 s68, s68
	s_cbranch_execnz .LBB85_32
.LBB85_27:                              ;   in Loop: Header=BB85_25 Depth=5
	s_wait_alu 0xfffe
	s_or_b32 exec_lo, exec_lo, s68
	v_mov_b32_e32 v20, 1
	s_and_saveexec_b32 s68, s59
.LBB85_28:                              ;   in Loop: Header=BB85_25 Depth=5
	v_mov_b32_e32 v20, 0
.LBB85_29:                              ;   in Loop: Header=BB85_25 Depth=5
	s_wait_alu 0xfffe
	s_or_b32 exec_lo, exec_lo, s68
	v_cmp_le_u32_e32 vcc_lo, s83, v18
	v_add_nc_u32_e32 v21, 1, v17
	v_xor_b32_e32 v16, s89, v16
	s_mov_b32 s59, exec_lo
	s_wait_alu 0xfffd
	s_delay_alu instid0(VALU_DEP_2) | instskip(NEXT) | instid1(VALU_DEP_1)
	v_dual_cndmask_b32 v18, v18, v19 :: v_dual_cndmask_b32 v17, v17, v21
	v_cmp_le_u32_e32 vcc_lo, s83, v18
	s_delay_alu instid0(VALU_DEP_2) | instskip(SKIP_1) | instid1(VALU_DEP_1)
	v_add_nc_u32_e32 v19, 1, v17
	s_wait_alu 0xfffd
	v_cndmask_b32_e32 v17, v17, v19, vcc_lo
	s_delay_alu instid0(VALU_DEP_1) | instskip(NEXT) | instid1(VALU_DEP_1)
	v_xor_b32_e32 v17, v17, v16
	v_sub_nc_u32_e32 v16, v17, v16
	s_delay_alu instid0(VALU_DEP_1) | instskip(SKIP_2) | instid1(VALU_DEP_1)
	v_cmp_gt_i32_e32 vcc_lo, s12, v16
	s_wait_alu 0xfffd
	v_cndmask_b32_e32 v17, 0, v20, vcc_lo
	v_and_b32_e32 v17, v12, v17
	s_delay_alu instid0(VALU_DEP_1) | instskip(NEXT) | instid1(VALU_DEP_1)
	v_and_b32_e32 v17, 1, v17
	v_cmpx_eq_u32_e32 1, v17
	s_cbranch_execz .LBB85_24
; %bb.30:                               ;   in Loop: Header=BB85_25 Depth=5
	v_ashrrev_i32_e32 v18, 31, v16
	v_mul_lo_u32 v19, s61, v16
	v_mad_co_u64_u32 v[16:17], null, s60, v16, 0
	s_load_b32 s68, s[52:53], 0x0
	v_mul_lo_u32 v18, s60, v18
	s_delay_alu instid0(VALU_DEP_1) | instskip(NEXT) | instid1(VALU_DEP_1)
	v_add3_u32 v17, v17, v18, v19
	v_lshlrev_b64_e32 v[16:17], 2, v[16:17]
	s_wait_kmcnt 0x0
	v_cvt_f64_f32_e32 v[18:19], s68
	s_delay_alu instid0(VALU_DEP_2) | instskip(SKIP_1) | instid1(VALU_DEP_3)
	v_add_co_u32 v16, vcc_lo, v13, v16
	s_wait_alu 0xfffd
	v_add_co_ci_u32_e64 v17, null, v14, v17, vcc_lo
	global_load_b32 v16, v[16:17], off
	s_wait_loadcnt 0x0
	v_cvt_f64_f32_e32 v[16:17], v16
	s_delay_alu instid0(VALU_DEP_1)
	v_fma_f64 v[1:2], v[16:17], v[18:19], v[1:2]
	s_branch .LBB85_24
.LBB85_31:                              ;   in Loop: Header=BB85_25 Depth=5
	v_mul_hi_u32 v17, v20, s54
	s_delay_alu instid0(VALU_DEP_1) | instskip(NEXT) | instid1(VALU_DEP_1)
	v_mul_lo_u32 v16, v17, s83
	v_sub_nc_u32_e32 v18, v20, v16
	v_ashrrev_i32_e32 v16, 31, v15
	s_delay_alu instid0(VALU_DEP_2) | instskip(SKIP_2) | instid1(VALU_DEP_2)
	v_subrev_nc_u32_e32 v19, s83, v18
	v_cmp_le_u32_e32 vcc_lo, s83, v18
	s_wait_alu 0xfffd
	v_cndmask_b32_e32 v20, v18, v19, vcc_lo
	s_delay_alu instid0(VALU_DEP_1) | instskip(SKIP_2) | instid1(VALU_DEP_2)
	v_subrev_nc_u32_e32 v21, s83, v20
	v_cmp_le_u32_e32 vcc_lo, s83, v20
	s_wait_alu 0xfffd
	v_cndmask_b32_e32 v20, v20, v21, vcc_lo
	s_delay_alu instid0(VALU_DEP_1) | instskip(NEXT) | instid1(VALU_DEP_1)
	v_xor_b32_e32 v20, v20, v16
	v_sub_nc_u32_e32 v20, v20, v16
	s_delay_alu instid0(VALU_DEP_1)
	v_cmp_ne_u32_e32 vcc_lo, 0, v20
                                        ; implicit-def: $vgpr20
	s_and_b32 s59, vcc_lo, exec_lo
	s_wait_alu 0xfffe
	s_and_not1_saveexec_b32 s68, s68
	s_cbranch_execz .LBB85_27
.LBB85_32:                              ;   in Loop: Header=BB85_25 Depth=5
	v_mul_hi_u32 v17, v20, s54
	s_or_b32 s59, s59, exec_lo
	s_delay_alu instid0(VALU_DEP_1) | instskip(NEXT) | instid1(VALU_DEP_1)
	v_mul_lo_u32 v18, v17, s83
	v_sub_nc_u32_e32 v18, v20, v18
	s_delay_alu instid0(VALU_DEP_1)
	v_subrev_nc_u32_e32 v19, s83, v18
	s_wait_alu 0xfffe
	s_or_b32 exec_lo, exec_lo, s68
	v_mov_b32_e32 v20, 1
	s_and_saveexec_b32 s68, s59
	s_cbranch_execnz .LBB85_28
	s_branch .LBB85_29
.LBB85_33:                              ;   in Loop: Header=BB85_3 Depth=1
	v_mov_b32_e32 v1, 0
	v_mov_b32_e32 v2, 0
.LBB85_34:                              ;   in Loop: Header=BB85_3 Depth=1
	v_ashrrev_i32_e32 v7, 31, v5
	v_mul_lo_u32 v9, s41, v5
	v_mad_co_u64_u32 v[5:6], null, s40, v5, 0
	v_ashrrev_i32_e32 v11, 31, v4
	s_delay_alu instid0(VALU_DEP_4)
	v_mul_lo_u32 v10, s40, v7
	v_mul_lo_u32 v12, s39, v4
	v_mad_co_u64_u32 v[7:8], null, s38, v4, 0
	v_ashrrev_i32_e32 v13, 31, v3
	v_mul_lo_u32 v11, s38, v11
	v_mul_lo_u32 v14, s37, v3
	v_mad_co_u64_u32 v[3:4], null, s36, v3, 0
	v_add3_u32 v6, v6, v10, v9
	v_mul_lo_u32 v9, s36, v13
	v_add3_u32 v8, v8, v11, v12
	s_delay_alu instid0(VALU_DEP_3) | instskip(NEXT) | instid1(VALU_DEP_2)
	v_lshlrev_b64_e32 v[5:6], 2, v[5:6]
	v_lshlrev_b64_e32 v[7:8], 2, v[7:8]
	s_delay_alu instid0(VALU_DEP_4) | instskip(NEXT) | instid1(VALU_DEP_3)
	v_add3_u32 v4, v4, v9, v14
	v_add_co_u32 v5, vcc_lo, s4, v5
	s_wait_alu 0xfffd
	s_delay_alu instid0(VALU_DEP_4) | instskip(NEXT) | instid1(VALU_DEP_3)
	v_add_co_ci_u32_e64 v6, null, s5, v6, vcc_lo
	v_lshlrev_b64_e32 v[3:4], 2, v[3:4]
	s_delay_alu instid0(VALU_DEP_3) | instskip(SKIP_1) | instid1(VALU_DEP_3)
	v_add_co_u32 v5, vcc_lo, v5, v7
	s_wait_alu 0xfffd
	v_add_co_ci_u32_e64 v6, null, v6, v8, vcc_lo
	s_delay_alu instid0(VALU_DEP_2) | instskip(SKIP_1) | instid1(VALU_DEP_2)
	v_add_co_u32 v3, vcc_lo, v5, v3
	s_wait_alu 0xfffd
	v_add_co_ci_u32_e64 v4, null, v6, v4, vcc_lo
	s_and_not1_b32 vcc_lo, exec_lo, s76
	s_wait_alu 0xfffe
	s_cbranch_vccnz .LBB85_2
; %bb.35:                               ;   in Loop: Header=BB85_3 Depth=1
	global_load_b32 v5, v[3:4], off
	s_wait_loadcnt 0x0
	v_cvt_f64_f32_e32 v[5:6], v5
	s_delay_alu instid0(VALU_DEP_1) | instskip(NEXT) | instid1(VALU_DEP_1)
	v_mul_f64_e32 v[5:6], s[26:27], v[5:6]
	v_fma_f64 v[1:2], s[24:25], v[1:2], v[5:6]
	s_branch .LBB85_2
.LBB85_36:
	s_endpgm
	.section	.rodata,"a",@progbits
	.p2align	6, 0x0
	.amdhsa_kernel naive_conv_ab_nonpacked_bwd_ncdhw_float_double_float_0
		.amdhsa_group_segment_fixed_size 0
		.amdhsa_private_segment_fixed_size 0
		.amdhsa_kernarg_size 528
		.amdhsa_user_sgpr_count 2
		.amdhsa_user_sgpr_dispatch_ptr 0
		.amdhsa_user_sgpr_queue_ptr 0
		.amdhsa_user_sgpr_kernarg_segment_ptr 1
		.amdhsa_user_sgpr_dispatch_id 0
		.amdhsa_user_sgpr_private_segment_size 0
		.amdhsa_wavefront_size32 1
		.amdhsa_uses_dynamic_stack 0
		.amdhsa_enable_private_segment 0
		.amdhsa_system_sgpr_workgroup_id_x 1
		.amdhsa_system_sgpr_workgroup_id_y 0
		.amdhsa_system_sgpr_workgroup_id_z 0
		.amdhsa_system_sgpr_workgroup_info 0
		.amdhsa_system_vgpr_workitem_id 0
		.amdhsa_next_free_vgpr 22
		.amdhsa_next_free_sgpr 90
		.amdhsa_reserve_vcc 1
		.amdhsa_float_round_mode_32 0
		.amdhsa_float_round_mode_16_64 0
		.amdhsa_float_denorm_mode_32 3
		.amdhsa_float_denorm_mode_16_64 3
		.amdhsa_fp16_overflow 0
		.amdhsa_workgroup_processor_mode 1
		.amdhsa_memory_ordered 1
		.amdhsa_forward_progress 1
		.amdhsa_inst_pref_size 25
		.amdhsa_round_robin_scheduling 0
		.amdhsa_exception_fp_ieee_invalid_op 0
		.amdhsa_exception_fp_denorm_src 0
		.amdhsa_exception_fp_ieee_div_zero 0
		.amdhsa_exception_fp_ieee_overflow 0
		.amdhsa_exception_fp_ieee_underflow 0
		.amdhsa_exception_fp_ieee_inexact 0
		.amdhsa_exception_int_div_zero 0
	.end_amdhsa_kernel
	.text
.Lfunc_end85:
	.size	naive_conv_ab_nonpacked_bwd_ncdhw_float_double_float_0, .Lfunc_end85-naive_conv_ab_nonpacked_bwd_ncdhw_float_double_float_0
                                        ; -- End function
	.set naive_conv_ab_nonpacked_bwd_ncdhw_float_double_float_0.num_vgpr, 22
	.set naive_conv_ab_nonpacked_bwd_ncdhw_float_double_float_0.num_agpr, 0
	.set naive_conv_ab_nonpacked_bwd_ncdhw_float_double_float_0.numbered_sgpr, 90
	.set naive_conv_ab_nonpacked_bwd_ncdhw_float_double_float_0.num_named_barrier, 0
	.set naive_conv_ab_nonpacked_bwd_ncdhw_float_double_float_0.private_seg_size, 0
	.set naive_conv_ab_nonpacked_bwd_ncdhw_float_double_float_0.uses_vcc, 1
	.set naive_conv_ab_nonpacked_bwd_ncdhw_float_double_float_0.uses_flat_scratch, 0
	.set naive_conv_ab_nonpacked_bwd_ncdhw_float_double_float_0.has_dyn_sized_stack, 0
	.set naive_conv_ab_nonpacked_bwd_ncdhw_float_double_float_0.has_recursion, 0
	.set naive_conv_ab_nonpacked_bwd_ncdhw_float_double_float_0.has_indirect_call, 0
	.section	.AMDGPU.csdata,"",@progbits
; Kernel info:
; codeLenInByte = 3196
; TotalNumSgprs: 92
; NumVgprs: 22
; ScratchSize: 0
; MemoryBound: 0
; FloatMode: 240
; IeeeMode: 1
; LDSByteSize: 0 bytes/workgroup (compile time only)
; SGPRBlocks: 0
; VGPRBlocks: 2
; NumSGPRsForWavesPerEU: 92
; NumVGPRsForWavesPerEU: 22
; Occupancy: 16
; WaveLimiterHint : 1
; COMPUTE_PGM_RSRC2:SCRATCH_EN: 0
; COMPUTE_PGM_RSRC2:USER_SGPR: 2
; COMPUTE_PGM_RSRC2:TRAP_HANDLER: 0
; COMPUTE_PGM_RSRC2:TGID_X_EN: 1
; COMPUTE_PGM_RSRC2:TGID_Y_EN: 0
; COMPUTE_PGM_RSRC2:TGID_Z_EN: 0
; COMPUTE_PGM_RSRC2:TIDIG_COMP_CNT: 0
	.text
	.protected	naive_conv_ab_packed_bwd_ncdhw_float_double_float_1 ; -- Begin function naive_conv_ab_packed_bwd_ncdhw_float_double_float_1
	.globl	naive_conv_ab_packed_bwd_ncdhw_float_double_float_1
	.p2align	8
	.type	naive_conv_ab_packed_bwd_ncdhw_float_double_float_1,@function
naive_conv_ab_packed_bwd_ncdhw_float_double_float_1: ; @naive_conv_ab_packed_bwd_ncdhw_float_double_float_1
; %bb.0:
	s_load_b512 s[4:19], s[0:1], 0xb8
	s_mov_b32 s25, exec_lo
	s_wait_kmcnt 0x0
	s_abs_i32 s3, s9
	s_mul_i32 s50, s6, s5
	s_cvt_f32_u32 s2, s3
	s_mul_i32 s33, s50, s4
	s_delay_alu instid0(SALU_CYCLE_2) | instskip(NEXT) | instid1(TRANS32_DEP_1)
	v_rcp_iflag_f32_e32 v1, s2
	v_readfirstlane_b32 s2, v1
	s_mul_f32 s2, s2, 0x4f7ffffe
	s_wait_alu 0xfffe
	s_delay_alu instid0(SALU_CYCLE_2) | instskip(SKIP_2) | instid1(SALU_CYCLE_1)
	s_cvt_u32_f32 s20, s2
	s_sub_co_i32 s2, 0, s3
	s_wait_alu 0xfffe
	s_mul_i32 s2, s2, s20
	s_wait_alu 0xfffe
	s_mul_hi_u32 s21, s20, s2
	s_abs_i32 s2, ttmp9
	s_add_co_i32 s20, s20, s21
	s_wait_alu 0xfffe
	s_mul_hi_u32 s20, s2, s20
	s_delay_alu instid0(SALU_CYCLE_1) | instskip(SKIP_2) | instid1(SALU_CYCLE_1)
	s_mul_i32 s21, s20, s3
	s_add_co_i32 s22, s20, 1
	s_sub_co_i32 s21, s2, s21
	s_sub_co_i32 s23, s21, s3
	s_cmp_ge_u32 s21, s3
	s_cselect_b32 s20, s22, s20
	s_cselect_b32 s21, s23, s21
	s_add_co_i32 s22, s20, 1
	s_cmp_ge_u32 s21, s3
	s_mul_i32 s21, s9, s7
	s_cselect_b32 s22, s22, s20
	s_abs_i32 s20, s7
	s_abs_i32 s7, s21
	s_cvt_f32_u32 s3, s20
	s_cvt_f32_u32 s23, s7
	s_wait_alu 0xfffe
	s_delay_alu instid0(SALU_CYCLE_1) | instskip(NEXT) | instid1(SALU_CYCLE_1)
	v_rcp_iflag_f32_e32 v1, s3
	v_rcp_iflag_f32_e32 v2, s23
	s_mov_b32 s3, 0
	s_delay_alu instid0(TRANS32_DEP_2) | instskip(NEXT) | instid1(TRANS32_DEP_1)
	v_readfirstlane_b32 s24, v1
	v_readfirstlane_b32 s23, v2
	v_cmpx_gt_i32_e64 s33, v0
	s_cbranch_execz .LBB86_36
; %bb.1:
	s_mul_f32 s24, s24, 0x4f7ffffe
	s_ashr_i32 s26, ttmp9, 31
	s_ashr_i32 s47, s9, 31
	s_mul_f32 s28, s23, 0x4f7ffffe
	s_cvt_u32_f32 s24, s24
	s_sub_co_i32 s25, 0, s20
	s_xor_b32 s27, s26, s47
	s_cvt_u32_f32 s28, s28
	s_xor_b32 s22, s22, s27
	s_mul_i32 s25, s25, s24
	s_wait_alu 0xfffe
	s_sub_co_i32 s27, s22, s27
	s_mul_hi_u32 s23, s24, s25
	s_sub_co_i32 s29, 0, s7
	s_abs_i32 s22, s27
	s_wait_alu 0xfffe
	s_add_co_i32 s24, s24, s23
	s_mov_b32 s23, s3
	s_mov_b32 s25, s3
	s_mul_i32 s29, s29, s28
	s_wait_alu 0xfffe
	s_mul_u64 s[24:25], s[22:23], s[24:25]
	s_mul_hi_u32 s23, s28, s29
	s_ashr_i32 s30, s27, 31
	s_wait_alu 0xfffe
	s_add_co_i32 s24, s28, s23
	s_mul_i32 s23, s25, s20
	s_mul_i32 s27, s27, s9
	s_wait_alu 0xfffe
	s_sub_co_i32 s22, s22, s23
	s_ashr_i32 s21, s21, 31
	s_sub_co_i32 s48, ttmp9, s27
	s_wait_alu 0xfffe
	s_sub_co_i32 s23, s22, s20
	s_cmp_ge_u32 s22, s20
	s_mov_b32 s25, s3
	s_wait_alu 0xfffe
	s_cselect_b32 s27, s23, s22
	s_mul_u64 s[22:23], s[2:3], s[24:25]
	s_clause 0x1
	s_load_b64 s[34:35], s[0:1], 0x108
	s_load_b32 s51, s[0:1], 0x11c
	s_sub_co_i32 s22, s27, s20
	s_cmp_ge_u32 s27, s20
	s_mov_b32 s36, s5
	s_wait_alu 0xfffe
	s_cselect_b32 s20, s22, s27
	s_xor_b32 s22, s26, s21
	s_xor_b32 s20, s20, s30
	s_mov_b32 s46, s9
	s_sub_co_i32 s42, s20, s30
	s_mul_i32 s20, s23, s7
	s_clause 0x1
	s_load_b128 s[28:31], s[0:1], 0xf8
	s_load_b64 s[62:63], s[0:1], 0x20
	s_sub_co_i32 s2, s2, s20
	s_add_co_i32 s20, s23, 1
	s_wait_alu 0xfffe
	s_sub_co_i32 s21, s2, s7
	s_cmp_ge_u32 s2, s7
	s_cselect_b32 s20, s20, s23
	s_cselect_b32 s2, s21, s2
	s_add_co_i32 s21, s20, 1
	s_wait_alu 0xfffe
	s_cmp_ge_u32 s2, s7
	s_cselect_b32 s2, s21, s20
	s_wait_kmcnt 0x0
	s_mul_i32 s20, s35, s9
	s_ashr_i32 s43, s42, 31
	s_ashr_i32 s21, s20, 31
	s_wait_alu 0xfffe
	s_xor_b32 s2, s2, s22
	s_mul_u64 s[40:41], s[42:43], s[20:21]
	s_ashr_i32 s21, s4, 31
	s_mov_b32 s20, s4
	s_ashr_i32 s37, s5, 31
	s_wait_alu 0xfffe
	s_sub_co_i32 s38, s2, s22
	s_mul_u64 s[52:53], s[36:37], s[20:21]
	s_load_b256 s[20:27], s[0:1], 0x0
	s_ashr_i32 s39, s38, 31
	s_ashr_i32 s49, s48, 31
	s_mul_u64 s[44:45], s[38:39], s[46:47]
	s_add_nc_u64 s[40:41], s[40:41], s[48:49]
	s_ashr_i32 s7, s6, 31
	s_add_nc_u64 s[40:41], s[40:41], s[44:45]
	s_mul_u64 s[44:45], s[52:53], s[6:7]
	s_mul_i32 s52, s35, s8
	s_mul_u64 s[40:41], s[44:45], s[40:41]
	s_ashr_i32 s53, s52, 31
	s_ashr_i32 s9, s8, 31
	s_mul_u64 s[44:45], s[42:43], s[52:53]
	s_ashr_i32 s43, s12, 31
	s_mov_b32 s42, s12
	s_lshl_b64 s[58:59], s[40:41], 2
	s_mul_u64 s[60:61], s[38:39], s[8:9]
	s_ashr_i32 s39, s10, 31
	s_mov_b32 s38, s10
	s_ashr_i32 s41, s11, 31
	s_wait_kmcnt 0x0
	v_cmp_neq_f64_e64 s2, s[24:25], 1.0
	v_cmp_neq_f64_e64 s12, s[26:27], 0
	s_mov_b32 s40, s11
	s_add_nc_u64 s[54:55], s[60:61], s[44:45]
	s_mul_u64 s[52:53], s[40:41], s[38:39]
	s_ashr_i32 s11, s30, 31
	s_mul_u64 s[52:53], s[52:53], s[42:43]
	s_ashr_i32 s45, s31, 31
	;; [unrolled: 2-line block ×3, first 2 shown]
	s_lshl_b64 s[52:53], s[52:53], 2
	s_cmp_gt_i32 s8, 0
	s_mov_b32 s44, s31
	s_cselect_b32 s9, -1, 0
	s_cmp_gt_i32 s30, 0
	s_mov_b32 s10, s30
	s_cselect_b32 s37, -1, 0
	s_cmp_gt_i32 s31, 0
	s_cselect_b32 s54, -1, 0
	s_cmp_gt_i32 s34, 0
	s_cselect_b32 s55, -1, 0
	s_abs_i32 s56, s6
	s_abs_i32 s57, s5
	s_cvt_f32_u32 s0, s56
	s_add_nc_u64 s[4:5], s[20:21], s[58:59]
	s_abs_i32 s58, s50
	s_add_nc_u64 s[20:21], s[62:63], s[52:53]
	v_rcp_iflag_f32_e32 v1, s0
	s_cvt_f32_u32 s0, s57
	s_cvt_f32_u32 s31, s58
	s_abs_i32 s62, s14
	s_abs_i32 s65, s15
	s_wait_alu 0xfffe
	v_rcp_iflag_f32_e32 v2, s0
	s_mul_u64 s[0:1], s[60:61], s[46:47]
	s_abs_i32 s61, s13
	s_and_b32 s60, s51, 0xffff
	s_sub_co_i32 s51, 0, s57
	v_readfirstlane_b32 s30, v1
	v_rcp_iflag_f32_e32 v1, s31
	s_or_b32 s59, s2, s12
	s_cvt_f32_u32 s31, s61
	s_ashr_i32 s68, s13, 31
	v_readfirstlane_b32 s12, v2
	s_mul_f32 s2, s30, 0x4f7ffffe
	s_sub_co_i32 s30, 0, s56
	s_ashr_i32 s70, s14, 31
	s_wait_alu 0xfffe
	s_add_nc_u64 s[0:1], s[0:1], s[48:49]
	s_mul_f32 s12, s12, 0x4f7ffffe
	v_readfirstlane_b32 s52, v1
	v_rcp_iflag_f32_e32 v1, s31
	s_cvt_f32_u32 s31, s62
	s_cvt_u32_f32 s12, s12
	s_cvt_u32_f32 s2, s2
	s_mul_f32 s52, s52, 0x4f7ffffe
	s_wait_alu 0xfffe
	v_rcp_iflag_f32_e32 v2, s31
	s_mul_i32 s51, s51, s12
	s_mul_i32 s30, s30, s2
	s_mul_hi_u32 s51, s12, s51
	s_cvt_f32_u32 s31, s65
	s_wait_alu 0xfffe
	s_mul_hi_u32 s30, s2, s30
	s_add_co_i32 s64, s12, s51
	v_readfirstlane_b32 s12, v1
	s_wait_alu 0xfffe
	s_add_co_i32 s63, s2, s30
	s_cvt_u32_f32 s2, s52
	v_rcp_iflag_f32_e32 v1, s31
	s_sub_co_i32 s30, 0, s58
	s_mul_f32 s12, s12, 0x4f7ffffe
	s_wait_alu 0xfffe
	s_mul_i32 s30, s30, s2
	v_readfirstlane_b32 s51, v2
	s_wait_alu 0xfffe
	s_mul_hi_u32 s30, s2, s30
	s_sub_co_i32 s31, 0, s62
	s_wait_alu 0xfffe
	s_add_co_i32 s67, s2, s30
	s_cvt_u32_f32 s2, s12
	s_mul_f32 s12, s51, 0x4f7ffffe
	s_sub_co_i32 s30, 0, s61
	v_readfirstlane_b32 s13, v1
	s_wait_alu 0xfffe
	s_mul_i32 s30, s30, s2
	s_cvt_u32_f32 s12, s12
	s_wait_alu 0xfffe
	s_mul_hi_u32 s30, s2, s30
	s_ashr_i32 s66, s50, 31
	s_wait_alu 0xfffe
	s_add_co_i32 s69, s2, s30
	s_mul_f32 s2, s13, 0x4f7ffffe
	s_mul_i32 s31, s31, s12
	s_wait_alu 0xfffe
	s_mul_hi_u32 s13, s12, s31
	s_cvt_u32_f32 s2, s2
	s_add_co_i32 s71, s12, s13
	s_mul_u64 s[30:31], s[34:35], s[44:45]
	s_sub_co_i32 s12, 0, s65
	s_ashr_i32 s45, s15, 31
	s_wait_alu 0xfffe
	s_mul_i32 s14, s12, s2
	s_mul_u64 s[12:13], s[30:31], s[10:11]
	s_mul_hi_u32 s11, s2, s14
	s_mul_u64 s[0:1], s[12:13], s[0:1]
	s_mul_u64 s[14:15], s[12:13], s[46:47]
	s_wait_alu 0xfffe
	s_lshl_b64 s[0:1], s[0:1], 2
	s_add_co_i32 s11, s2, s11
	s_wait_alu 0xfffe
	s_add_nc_u64 s[12:13], s[22:23], s[0:1]
	s_lshl_b64 s[14:15], s[14:15], 2
	s_lshl_b64 s[22:23], s[30:31], 2
	;; [unrolled: 1-line block ×3, first 2 shown]
	s_mov_b32 s35, 0
	s_branch .LBB86_3
.LBB86_2:                               ;   in Loop: Header=BB86_3 Depth=1
	s_delay_alu instid0(VALU_DEP_1) | instskip(SKIP_1) | instid1(VALU_DEP_1)
	v_cvt_f32_f64_e32 v1, v[1:2]
	v_add_nc_u32_e32 v0, s60, v0
	v_cmp_le_i32_e32 vcc_lo, s33, v0
	s_or_b32 s35, vcc_lo, s35
	global_store_b32 v[3:4], v1, off
	s_and_not1_b32 exec_lo, exec_lo, s35
	s_cbranch_execz .LBB86_36
.LBB86_3:                               ; =>This Loop Header: Depth=1
                                        ;     Child Loop BB86_6 Depth 2
                                        ;       Child Loop BB86_9 Depth 3
                                        ;         Child Loop BB86_18 Depth 4
                                        ;           Child Loop BB86_25 Depth 5
	v_sub_nc_u32_e32 v1, 0, v0
	s_delay_alu instid0(VALU_DEP_1) | instskip(NEXT) | instid1(VALU_DEP_1)
	v_max_i32_e32 v1, v0, v1
	v_mul_hi_u32 v2, v1, s63
	s_delay_alu instid0(VALU_DEP_1) | instskip(NEXT) | instid1(VALU_DEP_1)
	v_mul_lo_u32 v3, v2, s56
	v_sub_nc_u32_e32 v3, v1, v3
	s_delay_alu instid0(VALU_DEP_1) | instskip(SKIP_2) | instid1(VALU_DEP_2)
	v_subrev_nc_u32_e32 v5, s56, v3
	v_cmp_le_u32_e32 vcc_lo, s56, v3
	s_wait_alu 0xfffd
	v_dual_cndmask_b32 v3, v3, v5 :: v_dual_add_nc_u32 v4, 1, v2
	s_delay_alu instid0(VALU_DEP_1) | instskip(SKIP_1) | instid1(VALU_DEP_3)
	v_cndmask_b32_e32 v2, v2, v4, vcc_lo
	v_ashrrev_i32_e32 v4, 31, v0
	v_cmp_le_u32_e32 vcc_lo, s56, v3
	s_delay_alu instid0(VALU_DEP_3) | instskip(NEXT) | instid1(VALU_DEP_3)
	v_add_nc_u32_e32 v5, 1, v2
	v_xor_b32_e32 v6, s7, v4
	s_wait_alu 0xfffd
	s_delay_alu instid0(VALU_DEP_2) | instskip(SKIP_1) | instid1(VALU_DEP_1)
	v_cndmask_b32_e32 v2, v2, v5, vcc_lo
	v_mul_hi_u32 v5, v1, s67
	v_mul_lo_u32 v7, v5, s58
	s_delay_alu instid0(VALU_DEP_1) | instskip(NEXT) | instid1(VALU_DEP_1)
	v_sub_nc_u32_e32 v1, v1, v7
	v_subrev_nc_u32_e32 v7, s58, v1
	v_cmp_le_u32_e32 vcc_lo, s58, v1
	s_wait_alu 0xfffd
	s_delay_alu instid0(VALU_DEP_2) | instskip(SKIP_2) | instid1(VALU_DEP_2)
	v_cndmask_b32_e32 v1, v1, v7, vcc_lo
	v_xor_b32_e32 v2, v2, v6
	v_xor_b32_e32 v7, s66, v4
	v_sub_nc_u32_e32 v2, v2, v6
	s_delay_alu instid0(VALU_DEP_1) | instskip(NEXT) | instid1(VALU_DEP_1)
	v_sub_nc_u32_e32 v3, 0, v2
	v_max_i32_e32 v3, v2, v3
	s_delay_alu instid0(VALU_DEP_1) | instskip(NEXT) | instid1(VALU_DEP_1)
	v_mul_hi_u32 v6, v3, s64
	v_mul_lo_u32 v6, v6, s57
	s_delay_alu instid0(VALU_DEP_1) | instskip(NEXT) | instid1(VALU_DEP_1)
	v_sub_nc_u32_e32 v3, v3, v6
	v_subrev_nc_u32_e32 v8, s57, v3
	v_cmp_le_u32_e64 s0, s57, v3
	s_wait_alu 0xf1ff
	s_delay_alu instid0(VALU_DEP_1) | instskip(NEXT) | instid1(VALU_DEP_1)
	v_cndmask_b32_e64 v3, v3, v8, s0
	v_subrev_nc_u32_e32 v4, s57, v3
	v_add_nc_u32_e32 v6, 1, v5
	s_delay_alu instid0(VALU_DEP_1) | instskip(SKIP_1) | instid1(VALU_DEP_2)
	v_cndmask_b32_e32 v5, v5, v6, vcc_lo
	v_cmp_le_u32_e32 vcc_lo, s58, v1
	v_add_nc_u32_e32 v6, 1, v5
	s_wait_alu 0xfffd
	s_delay_alu instid0(VALU_DEP_1) | instskip(SKIP_3) | instid1(VALU_DEP_4)
	v_cndmask_b32_e32 v1, v5, v6, vcc_lo
	v_cmp_le_u32_e32 vcc_lo, s57, v3
	v_ashrrev_i32_e32 v5, 31, v2
	v_mul_lo_u32 v2, v2, s6
	v_xor_b32_e32 v1, v1, v7
	s_wait_alu 0xfffd
	v_cndmask_b32_e32 v3, v3, v4, vcc_lo
	s_and_not1_b32 vcc_lo, exec_lo, s9
	s_delay_alu instid0(VALU_DEP_2) | instskip(NEXT) | instid1(VALU_DEP_2)
	v_sub_nc_u32_e32 v9, v1, v7
	v_xor_b32_e32 v4, v3, v5
	v_sub_nc_u32_e32 v3, v0, v2
	s_delay_alu instid0(VALU_DEP_2)
	v_sub_nc_u32_e32 v4, v4, v5
	s_wait_alu 0xfffe
	s_cbranch_vccnz .LBB86_33
; %bb.4:                                ;   in Loop: Header=BB86_3 Depth=1
	v_dual_mov_b32 v1, 0 :: v_dual_add_nc_u32 v10, s19, v9
	s_delay_alu instid0(VALU_DEP_2)
	v_dual_mov_b32 v2, 0 :: v_dual_add_nc_u32 v11, s28, v4
	v_add_nc_u32_e32 v12, s29, v3
	s_mov_b32 s2, 0
	s_mov_b64 s[0:1], s[12:13]
	s_branch .LBB86_6
.LBB86_5:                               ;   in Loop: Header=BB86_6 Depth=2
	s_add_co_i32 s2, s2, 1
	s_add_nc_u64 s[0:1], s[0:1], s[14:15]
	s_wait_alu 0xfffe
	s_cmp_eq_u32 s2, s8
	s_cbranch_scc1 .LBB86_34
.LBB86_6:                               ;   Parent Loop BB86_3 Depth=1
                                        ; =>  This Loop Header: Depth=2
                                        ;       Child Loop BB86_9 Depth 3
                                        ;         Child Loop BB86_18 Depth 4
                                        ;           Child Loop BB86_25 Depth 5
	s_and_not1_b32 vcc_lo, exec_lo, s37
	s_wait_alu 0xfffe
	s_cbranch_vccnz .LBB86_5
; %bb.7:                                ;   in Loop: Header=BB86_6 Depth=2
	s_mul_u64 s[46:47], s[2:3], s[38:39]
	s_mov_b32 s72, 0
	s_mov_b64 s[48:49], s[0:1]
	s_branch .LBB86_9
.LBB86_8:                               ;   in Loop: Header=BB86_9 Depth=3
	s_add_co_i32 s72, s72, 1
	s_add_nc_u64 s[48:49], s[48:49], s[22:23]
	s_cmp_eq_u32 s72, s10
	s_cbranch_scc1 .LBB86_5
.LBB86_9:                               ;   Parent Loop BB86_3 Depth=1
                                        ;     Parent Loop BB86_6 Depth=2
                                        ; =>    This Loop Header: Depth=3
                                        ;         Child Loop BB86_18 Depth 4
                                        ;           Child Loop BB86_25 Depth 5
	s_mul_i32 s50, s16, s72
	s_mov_b32 s51, exec_lo
	s_wait_alu 0xfffe
	v_subrev_nc_u32_e32 v14, s50, v10
	s_mov_b32 s50, 0
                                        ; implicit-def: $vgpr7
                                        ; implicit-def: $vgpr8
	s_delay_alu instid0(VALU_DEP_1) | instskip(SKIP_1) | instid1(VALU_DEP_2)
	v_sub_nc_u32_e32 v6, 0, v14
	v_ashrrev_i32_e32 v5, 31, v14
	v_max_i32_e32 v13, v14, v6
                                        ; implicit-def: $vgpr6
	v_cmpx_lt_i32_e32 -1, v14
	s_xor_b32 s51, exec_lo, s51
	s_cbranch_execnz .LBB86_13
; %bb.10:                               ;   in Loop: Header=BB86_9 Depth=3
	s_wait_alu 0xfffe
	s_and_not1_saveexec_b32 s51, s51
	s_cbranch_execnz .LBB86_14
.LBB86_11:                              ;   in Loop: Header=BB86_9 Depth=3
	s_wait_alu 0xfffe
	s_or_b32 exec_lo, exec_lo, s51
	v_mov_b32_e32 v13, 1
	s_and_saveexec_b32 s51, s50
	s_cbranch_execnz .LBB86_15
.LBB86_12:                              ;   in Loop: Header=BB86_9 Depth=3
	s_wait_alu 0xfffe
	s_or_b32 exec_lo, exec_lo, s51
	s_delay_alu instid0(SALU_CYCLE_1)
	s_and_not1_b32 vcc_lo, exec_lo, s54
	s_wait_alu 0xfffe
	s_cbranch_vccz .LBB86_16
	s_branch .LBB86_8
.LBB86_13:                              ;   in Loop: Header=BB86_9 Depth=3
	s_delay_alu instid0(VALU_DEP_2) | instskip(NEXT) | instid1(VALU_DEP_1)
	v_mul_hi_u32 v6, v13, s69
	v_mul_lo_u32 v5, v6, s61
	s_delay_alu instid0(VALU_DEP_1) | instskip(SKIP_1) | instid1(VALU_DEP_2)
	v_sub_nc_u32_e32 v7, v13, v5
	v_ashrrev_i32_e32 v5, 31, v14
	v_subrev_nc_u32_e32 v8, s61, v7
	v_cmp_le_u32_e32 vcc_lo, s61, v7
	s_wait_alu 0xfffd
	s_delay_alu instid0(VALU_DEP_2) | instskip(NEXT) | instid1(VALU_DEP_1)
	v_cndmask_b32_e32 v13, v7, v8, vcc_lo
	v_subrev_nc_u32_e32 v15, s61, v13
	v_cmp_le_u32_e32 vcc_lo, s61, v13
	s_wait_alu 0xfffd
	s_delay_alu instid0(VALU_DEP_2) | instskip(NEXT) | instid1(VALU_DEP_1)
	v_cndmask_b32_e32 v13, v13, v15, vcc_lo
	v_xor_b32_e32 v13, v13, v5
	s_delay_alu instid0(VALU_DEP_1) | instskip(NEXT) | instid1(VALU_DEP_1)
	v_sub_nc_u32_e32 v13, v13, v5
	v_cmp_ne_u32_e32 vcc_lo, 0, v13
                                        ; implicit-def: $vgpr13
	s_and_b32 s50, vcc_lo, exec_lo
	s_wait_alu 0xfffe
	s_and_not1_saveexec_b32 s51, s51
	s_cbranch_execz .LBB86_11
.LBB86_14:                              ;   in Loop: Header=BB86_9 Depth=3
	v_mul_hi_u32 v6, v13, s69
	s_or_b32 s50, s50, exec_lo
	s_delay_alu instid0(VALU_DEP_1) | instskip(NEXT) | instid1(VALU_DEP_1)
	v_mul_lo_u32 v7, v6, s61
	v_sub_nc_u32_e32 v7, v13, v7
	s_delay_alu instid0(VALU_DEP_1)
	v_subrev_nc_u32_e32 v8, s61, v7
	s_wait_alu 0xfffe
	s_or_b32 exec_lo, exec_lo, s51
	v_mov_b32_e32 v13, 1
	s_and_saveexec_b32 s51, s50
	s_cbranch_execz .LBB86_12
.LBB86_15:                              ;   in Loop: Header=BB86_9 Depth=3
	v_mov_b32_e32 v13, 0
	s_wait_alu 0xfffe
	s_or_b32 exec_lo, exec_lo, s51
	s_delay_alu instid0(SALU_CYCLE_1)
	s_and_not1_b32 vcc_lo, exec_lo, s54
	s_wait_alu 0xfffe
	s_cbranch_vccnz .LBB86_8
.LBB86_16:                              ;   in Loop: Header=BB86_9 Depth=3
	v_cmp_le_u32_e32 vcc_lo, s61, v7
	v_add_nc_u32_e32 v14, 1, v6
	v_xor_b32_e32 v5, s68, v5
	s_mov_b32 s73, 0
	s_mov_b64 s[50:51], s[48:49]
	s_wait_alu 0xfffd
	v_dual_cndmask_b32 v7, v7, v8 :: v_dual_cndmask_b32 v6, v6, v14
	s_delay_alu instid0(VALU_DEP_1) | instskip(NEXT) | instid1(VALU_DEP_2)
	v_cmp_le_u32_e32 vcc_lo, s61, v7
	v_add_nc_u32_e32 v8, 1, v6
	s_wait_alu 0xfffd
	s_delay_alu instid0(VALU_DEP_1) | instskip(NEXT) | instid1(VALU_DEP_1)
	v_cndmask_b32_e32 v6, v6, v8, vcc_lo
	v_xor_b32_e32 v6, v6, v5
	s_delay_alu instid0(VALU_DEP_1) | instskip(NEXT) | instid1(VALU_DEP_1)
	v_sub_nc_u32_e32 v7, v6, v5
	v_ashrrev_i32_e32 v5, 31, v7
	v_add_co_u32 v6, vcc_lo, s46, v7
	s_wait_alu 0xfffd
	s_delay_alu instid0(VALU_DEP_2) | instskip(NEXT) | instid1(VALU_DEP_2)
	v_add_co_ci_u32_e64 v5, null, s47, v5, vcc_lo
	v_mul_lo_u32 v8, v6, s41
	v_cmp_gt_i32_e32 vcc_lo, s38, v7
	s_delay_alu instid0(VALU_DEP_3) | instskip(SKIP_3) | instid1(VALU_DEP_2)
	v_mul_lo_u32 v14, v5, s40
	v_mad_co_u64_u32 v[5:6], null, v6, s40, 0
	s_wait_alu 0xfffd
	v_cndmask_b32_e32 v13, 0, v13, vcc_lo
	v_add3_u32 v6, v6, v8, v14
	s_branch .LBB86_18
.LBB86_17:                              ;   in Loop: Header=BB86_18 Depth=4
	s_add_co_i32 s73, s73, 1
	s_add_nc_u64 s[50:51], s[50:51], s[30:31]
	s_cmp_eq_u32 s73, s44
	s_cbranch_scc1 .LBB86_8
.LBB86_18:                              ;   Parent Loop BB86_3 Depth=1
                                        ;     Parent Loop BB86_6 Depth=2
                                        ;       Parent Loop BB86_9 Depth=3
                                        ; =>      This Loop Header: Depth=4
                                        ;           Child Loop BB86_25 Depth 5
	s_mul_i32 s52, s17, s73
	s_wait_alu 0xfffe
	v_subrev_nc_u32_e32 v8, s52, v11
	s_delay_alu instid0(VALU_DEP_1) | instskip(SKIP_3) | instid1(VALU_DEP_4)
	v_sub_nc_u32_e32 v14, 0, v8
	v_cmp_gt_i32_e64 s52, 0, v8
	v_cmp_lt_i32_e32 vcc_lo, -1, v8
	v_ashrrev_i32_e32 v7, 31, v8
	v_max_i32_e32 v8, v8, v14
	s_and_saveexec_b32 s53, vcc_lo
	s_cbranch_execnz .LBB86_21
; %bb.19:                               ;   in Loop: Header=BB86_18 Depth=4
	s_wait_alu 0xfffe
	s_or_b32 exec_lo, exec_lo, s53
	v_mov_b32_e32 v14, 1
	s_and_saveexec_b32 s53, s52
	s_cbranch_execnz .LBB86_22
.LBB86_20:                              ;   in Loop: Header=BB86_18 Depth=4
	s_wait_alu 0xfffe
	s_or_b32 exec_lo, exec_lo, s53
	s_delay_alu instid0(SALU_CYCLE_1)
	s_and_not1_b32 vcc_lo, exec_lo, s55
	s_wait_alu 0xfffe
	s_cbranch_vccz .LBB86_23
	s_branch .LBB86_17
.LBB86_21:                              ;   in Loop: Header=BB86_18 Depth=4
	s_delay_alu instid0(VALU_DEP_1) | instskip(SKIP_1) | instid1(VALU_DEP_1)
	v_mul_hi_u32 v14, v8, s71
	s_and_not1_b32 s52, s52, exec_lo
	v_mul_lo_u32 v14, v14, s62
	s_delay_alu instid0(VALU_DEP_1) | instskip(NEXT) | instid1(VALU_DEP_1)
	v_sub_nc_u32_e32 v14, v8, v14
	v_subrev_nc_u32_e32 v15, s62, v14
	v_cmp_le_u32_e32 vcc_lo, s62, v14
	s_wait_alu 0xfffd
	s_delay_alu instid0(VALU_DEP_2) | instskip(NEXT) | instid1(VALU_DEP_1)
	v_cndmask_b32_e32 v14, v14, v15, vcc_lo
	v_subrev_nc_u32_e32 v15, s62, v14
	v_cmp_le_u32_e32 vcc_lo, s62, v14
	s_wait_alu 0xfffd
	s_delay_alu instid0(VALU_DEP_2) | instskip(NEXT) | instid1(VALU_DEP_1)
	v_cndmask_b32_e32 v14, v14, v15, vcc_lo
	v_xor_b32_e32 v14, v14, v7
	s_delay_alu instid0(VALU_DEP_1) | instskip(NEXT) | instid1(VALU_DEP_1)
	v_sub_nc_u32_e32 v14, v14, v7
	v_cmp_ne_u32_e32 vcc_lo, 0, v14
	s_and_b32 s74, vcc_lo, exec_lo
	s_wait_alu 0xfffe
	s_or_b32 s52, s52, s74
	s_or_b32 exec_lo, exec_lo, s53
	v_mov_b32_e32 v14, 1
	s_wait_alu 0xfffe
	s_and_saveexec_b32 s53, s52
	s_cbranch_execz .LBB86_20
.LBB86_22:                              ;   in Loop: Header=BB86_18 Depth=4
	v_mov_b32_e32 v14, 0
	s_wait_alu 0xfffe
	s_or_b32 exec_lo, exec_lo, s53
	s_delay_alu instid0(SALU_CYCLE_1)
	s_and_not1_b32 vcc_lo, exec_lo, s55
	s_wait_alu 0xfffe
	s_cbranch_vccnz .LBB86_17
.LBB86_23:                              ;   in Loop: Header=BB86_18 Depth=4
	v_mul_hi_u32 v15, v8, s71
	v_xor_b32_e32 v7, s70, v7
	s_mov_b64 s[52:53], s[50:51]
	s_mov_b32 s74, s34
	s_delay_alu instid0(VALU_DEP_2) | instskip(NEXT) | instid1(VALU_DEP_1)
	v_mul_lo_u32 v16, v15, s62
	v_sub_nc_u32_e32 v8, v8, v16
	v_add_nc_u32_e32 v16, 1, v15
	s_delay_alu instid0(VALU_DEP_2) | instskip(SKIP_2) | instid1(VALU_DEP_2)
	v_subrev_nc_u32_e32 v17, s62, v8
	v_cmp_le_u32_e32 vcc_lo, s62, v8
	s_wait_alu 0xfffd
	v_dual_cndmask_b32 v15, v15, v16 :: v_dual_cndmask_b32 v8, v8, v17
	s_delay_alu instid0(VALU_DEP_1) | instskip(NEXT) | instid1(VALU_DEP_2)
	v_add_nc_u32_e32 v16, 1, v15
	v_cmp_le_u32_e32 vcc_lo, s62, v8
	s_wait_alu 0xfffd
	s_delay_alu instid0(VALU_DEP_2) | instskip(NEXT) | instid1(VALU_DEP_1)
	v_cndmask_b32_e32 v8, v15, v16, vcc_lo
	v_xor_b32_e32 v8, v8, v7
	s_delay_alu instid0(VALU_DEP_1) | instskip(NEXT) | instid1(VALU_DEP_1)
	v_sub_nc_u32_e32 v15, v8, v7
	v_ashrrev_i32_e32 v7, 31, v15
	v_add_co_u32 v8, vcc_lo, v5, v15
	s_wait_alu 0xfffd
	s_delay_alu instid0(VALU_DEP_2) | instskip(NEXT) | instid1(VALU_DEP_2)
	v_add_co_ci_u32_e64 v16, null, v6, v7, vcc_lo
	v_mul_lo_u32 v17, v8, s43
	v_mad_co_u64_u32 v[7:8], null, v8, s42, 0
	s_delay_alu instid0(VALU_DEP_3) | instskip(SKIP_3) | instid1(VALU_DEP_3)
	v_mul_lo_u32 v16, v16, s42
	v_cmp_gt_i32_e32 vcc_lo, s40, v15
	s_wait_alu 0xfffd
	v_cndmask_b32_e32 v14, 0, v14, vcc_lo
	v_add3_u32 v8, v8, v17, v16
	s_delay_alu instid0(VALU_DEP_2) | instskip(NEXT) | instid1(VALU_DEP_2)
	v_dual_mov_b32 v17, v12 :: v_dual_and_b32 v14, v14, v13
	v_lshlrev_b64_e32 v[7:8], 2, v[7:8]
	s_delay_alu instid0(VALU_DEP_1) | instskip(SKIP_1) | instid1(VALU_DEP_2)
	v_add_co_u32 v15, vcc_lo, s20, v7
	s_wait_alu 0xfffd
	v_add_co_ci_u32_e64 v16, null, s21, v8, vcc_lo
	s_branch .LBB86_25
.LBB86_24:                              ;   in Loop: Header=BB86_25 Depth=5
	s_or_b32 exec_lo, exec_lo, s75
	v_subrev_nc_u32_e32 v17, s18, v17
	s_add_co_i32 s74, s74, -1
	s_wait_alu 0xfffe
	s_add_nc_u64 s[52:53], s[52:53], 4
	s_cmp_eq_u32 s74, 0
	s_cbranch_scc1 .LBB86_17
.LBB86_25:                              ;   Parent Loop BB86_3 Depth=1
                                        ;     Parent Loop BB86_6 Depth=2
                                        ;       Parent Loop BB86_9 Depth=3
                                        ;         Parent Loop BB86_18 Depth=4
                                        ; =>        This Inner Loop Header: Depth=5
	v_sub_nc_u32_e32 v8, 0, v17
	v_ashrrev_i32_e32 v7, 31, v17
	s_mov_b32 s75, 0
	s_mov_b32 s76, exec_lo
                                        ; implicit-def: $vgpr18
                                        ; implicit-def: $vgpr19
	s_delay_alu instid0(VALU_DEP_2)
	v_max_i32_e32 v20, v17, v8
                                        ; implicit-def: $vgpr8
	v_cmpx_lt_i32_e32 -1, v17
	s_wait_alu 0xfffe
	s_xor_b32 s76, exec_lo, s76
	s_cbranch_execnz .LBB86_31
; %bb.26:                               ;   in Loop: Header=BB86_25 Depth=5
	s_wait_alu 0xfffe
	s_and_not1_saveexec_b32 s76, s76
	s_cbranch_execnz .LBB86_32
.LBB86_27:                              ;   in Loop: Header=BB86_25 Depth=5
	s_wait_alu 0xfffe
	s_or_b32 exec_lo, exec_lo, s76
	v_mov_b32_e32 v20, 1
	s_and_saveexec_b32 s76, s75
.LBB86_28:                              ;   in Loop: Header=BB86_25 Depth=5
	v_mov_b32_e32 v20, 0
.LBB86_29:                              ;   in Loop: Header=BB86_25 Depth=5
	s_wait_alu 0xfffe
	s_or_b32 exec_lo, exec_lo, s76
	v_cmp_le_u32_e32 vcc_lo, s65, v18
	v_add_nc_u32_e32 v21, 1, v8
	v_xor_b32_e32 v7, s45, v7
	s_mov_b32 s75, exec_lo
	s_wait_alu 0xfffd
	v_cndmask_b32_e32 v18, v18, v19, vcc_lo
	v_cndmask_b32_e32 v8, v8, v21, vcc_lo
	s_delay_alu instid0(VALU_DEP_2) | instskip(NEXT) | instid1(VALU_DEP_2)
	v_cmp_le_u32_e32 vcc_lo, s65, v18
	v_add_nc_u32_e32 v19, 1, v8
	s_wait_alu 0xfffd
	s_delay_alu instid0(VALU_DEP_1) | instskip(NEXT) | instid1(VALU_DEP_1)
	v_cndmask_b32_e32 v8, v8, v19, vcc_lo
	v_xor_b32_e32 v8, v8, v7
	s_delay_alu instid0(VALU_DEP_1) | instskip(NEXT) | instid1(VALU_DEP_1)
	v_sub_nc_u32_e32 v7, v8, v7
	v_cmp_gt_i32_e32 vcc_lo, s42, v7
	s_wait_alu 0xfffd
	v_cndmask_b32_e32 v8, 0, v20, vcc_lo
	s_delay_alu instid0(VALU_DEP_1) | instskip(NEXT) | instid1(VALU_DEP_1)
	v_and_b32_e32 v8, v14, v8
	v_and_b32_e32 v8, 1, v8
	s_delay_alu instid0(VALU_DEP_1)
	v_cmpx_eq_u32_e32 1, v8
	s_cbranch_execz .LBB86_24
; %bb.30:                               ;   in Loop: Header=BB86_25 Depth=5
	v_ashrrev_i32_e32 v8, 31, v7
	s_load_b32 s76, s[52:53], 0x0
	s_delay_alu instid0(VALU_DEP_1) | instskip(NEXT) | instid1(VALU_DEP_1)
	v_lshlrev_b64_e32 v[7:8], 2, v[7:8]
	v_add_co_u32 v7, vcc_lo, v15, v7
	s_wait_alu 0xfffd
	s_delay_alu instid0(VALU_DEP_2)
	v_add_co_ci_u32_e64 v8, null, v16, v8, vcc_lo
	global_load_b32 v7, v[7:8], off
	s_wait_kmcnt 0x0
	s_and_b32 s76, s76, 0xffffe000
	s_wait_alu 0xfffe
	v_cvt_f64_f32_e32 v[18:19], s76
	s_wait_loadcnt 0x0
	v_and_b32_e32 v7, 0xffffe000, v7
	s_delay_alu instid0(VALU_DEP_1) | instskip(NEXT) | instid1(VALU_DEP_1)
	v_cvt_f64_f32_e32 v[7:8], v7
	v_fma_f64 v[1:2], v[7:8], v[18:19], v[1:2]
	s_branch .LBB86_24
.LBB86_31:                              ;   in Loop: Header=BB86_25 Depth=5
	v_mul_hi_u32 v8, v20, s11
	s_delay_alu instid0(VALU_DEP_1) | instskip(NEXT) | instid1(VALU_DEP_1)
	v_mul_lo_u32 v7, v8, s65
	v_sub_nc_u32_e32 v18, v20, v7
	v_ashrrev_i32_e32 v7, 31, v17
	s_delay_alu instid0(VALU_DEP_2) | instskip(SKIP_2) | instid1(VALU_DEP_2)
	v_subrev_nc_u32_e32 v19, s65, v18
	v_cmp_le_u32_e32 vcc_lo, s65, v18
	s_wait_alu 0xfffd
	v_cndmask_b32_e32 v20, v18, v19, vcc_lo
	s_delay_alu instid0(VALU_DEP_1) | instskip(SKIP_2) | instid1(VALU_DEP_2)
	v_subrev_nc_u32_e32 v21, s65, v20
	v_cmp_le_u32_e32 vcc_lo, s65, v20
	s_wait_alu 0xfffd
	v_cndmask_b32_e32 v20, v20, v21, vcc_lo
	s_delay_alu instid0(VALU_DEP_1) | instskip(NEXT) | instid1(VALU_DEP_1)
	v_xor_b32_e32 v20, v20, v7
	v_sub_nc_u32_e32 v20, v20, v7
	s_delay_alu instid0(VALU_DEP_1)
	v_cmp_ne_u32_e32 vcc_lo, 0, v20
                                        ; implicit-def: $vgpr20
	s_and_b32 s75, vcc_lo, exec_lo
	s_wait_alu 0xfffe
	s_and_not1_saveexec_b32 s76, s76
	s_cbranch_execz .LBB86_27
.LBB86_32:                              ;   in Loop: Header=BB86_25 Depth=5
	v_mul_hi_u32 v8, v20, s11
	s_or_b32 s75, s75, exec_lo
	s_delay_alu instid0(VALU_DEP_1) | instskip(NEXT) | instid1(VALU_DEP_1)
	v_mul_lo_u32 v18, v8, s65
	v_sub_nc_u32_e32 v18, v20, v18
	s_delay_alu instid0(VALU_DEP_1)
	v_subrev_nc_u32_e32 v19, s65, v18
	s_wait_alu 0xfffe
	s_or_b32 exec_lo, exec_lo, s76
	v_mov_b32_e32 v20, 1
	s_and_saveexec_b32 s76, s75
	s_cbranch_execnz .LBB86_28
	s_branch .LBB86_29
.LBB86_33:                              ;   in Loop: Header=BB86_3 Depth=1
	v_mov_b32_e32 v1, 0
	v_mov_b32_e32 v2, 0
.LBB86_34:                              ;   in Loop: Header=BB86_3 Depth=1
	v_ashrrev_i32_e32 v5, 31, v4
	s_delay_alu instid0(VALU_DEP_1) | instskip(NEXT) | instid1(VALU_DEP_1)
	v_mad_co_i64_i32 v[4:5], null, v9, s36, v[4:5]
	v_mul_lo_u32 v7, v5, s6
	s_delay_alu instid0(VALU_DEP_2) | instskip(SKIP_2) | instid1(VALU_DEP_1)
	v_mul_lo_u32 v8, v4, s7
	v_mad_co_u64_u32 v[5:6], null, v4, s6, 0
	v_ashrrev_i32_e32 v4, 31, v3
	v_lshlrev_b64_e32 v[3:4], 2, v[3:4]
	s_delay_alu instid0(VALU_DEP_3) | instskip(NEXT) | instid1(VALU_DEP_1)
	v_add3_u32 v6, v6, v8, v7
	v_lshlrev_b64_e32 v[5:6], 2, v[5:6]
	s_delay_alu instid0(VALU_DEP_1) | instskip(SKIP_1) | instid1(VALU_DEP_2)
	v_add_co_u32 v5, vcc_lo, s4, v5
	s_wait_alu 0xfffd
	v_add_co_ci_u32_e64 v6, null, s5, v6, vcc_lo
	s_delay_alu instid0(VALU_DEP_2) | instskip(SKIP_1) | instid1(VALU_DEP_2)
	v_add_co_u32 v3, vcc_lo, v5, v3
	s_wait_alu 0xfffd
	v_add_co_ci_u32_e64 v4, null, v6, v4, vcc_lo
	s_and_not1_b32 vcc_lo, exec_lo, s59
	s_wait_alu 0xfffe
	s_cbranch_vccnz .LBB86_2
; %bb.35:                               ;   in Loop: Header=BB86_3 Depth=1
	global_load_b32 v5, v[3:4], off
	s_wait_loadcnt 0x0
	v_cvt_f64_f32_e32 v[5:6], v5
	s_delay_alu instid0(VALU_DEP_1) | instskip(NEXT) | instid1(VALU_DEP_1)
	v_mul_f64_e32 v[5:6], s[26:27], v[5:6]
	v_fma_f64 v[1:2], s[24:25], v[1:2], v[5:6]
	s_branch .LBB86_2
.LBB86_36:
	s_endpgm
	.section	.rodata,"a",@progbits
	.p2align	6, 0x0
	.amdhsa_kernel naive_conv_ab_packed_bwd_ncdhw_float_double_float_1
		.amdhsa_group_segment_fixed_size 0
		.amdhsa_private_segment_fixed_size 0
		.amdhsa_kernarg_size 528
		.amdhsa_user_sgpr_count 2
		.amdhsa_user_sgpr_dispatch_ptr 0
		.amdhsa_user_sgpr_queue_ptr 0
		.amdhsa_user_sgpr_kernarg_segment_ptr 1
		.amdhsa_user_sgpr_dispatch_id 0
		.amdhsa_user_sgpr_private_segment_size 0
		.amdhsa_wavefront_size32 1
		.amdhsa_uses_dynamic_stack 0
		.amdhsa_enable_private_segment 0
		.amdhsa_system_sgpr_workgroup_id_x 1
		.amdhsa_system_sgpr_workgroup_id_y 0
		.amdhsa_system_sgpr_workgroup_id_z 0
		.amdhsa_system_sgpr_workgroup_info 0
		.amdhsa_system_vgpr_workitem_id 0
		.amdhsa_next_free_vgpr 22
		.amdhsa_next_free_sgpr 77
		.amdhsa_reserve_vcc 1
		.amdhsa_float_round_mode_32 0
		.amdhsa_float_round_mode_16_64 0
		.amdhsa_float_denorm_mode_32 3
		.amdhsa_float_denorm_mode_16_64 3
		.amdhsa_fp16_overflow 0
		.amdhsa_workgroup_processor_mode 1
		.amdhsa_memory_ordered 1
		.amdhsa_forward_progress 1
		.amdhsa_inst_pref_size 25
		.amdhsa_round_robin_scheduling 0
		.amdhsa_exception_fp_ieee_invalid_op 0
		.amdhsa_exception_fp_denorm_src 0
		.amdhsa_exception_fp_ieee_div_zero 0
		.amdhsa_exception_fp_ieee_overflow 0
		.amdhsa_exception_fp_ieee_underflow 0
		.amdhsa_exception_fp_ieee_inexact 0
		.amdhsa_exception_int_div_zero 0
	.end_amdhsa_kernel
	.text
.Lfunc_end86:
	.size	naive_conv_ab_packed_bwd_ncdhw_float_double_float_1, .Lfunc_end86-naive_conv_ab_packed_bwd_ncdhw_float_double_float_1
                                        ; -- End function
	.set naive_conv_ab_packed_bwd_ncdhw_float_double_float_1.num_vgpr, 22
	.set naive_conv_ab_packed_bwd_ncdhw_float_double_float_1.num_agpr, 0
	.set naive_conv_ab_packed_bwd_ncdhw_float_double_float_1.numbered_sgpr, 77
	.set naive_conv_ab_packed_bwd_ncdhw_float_double_float_1.num_named_barrier, 0
	.set naive_conv_ab_packed_bwd_ncdhw_float_double_float_1.private_seg_size, 0
	.set naive_conv_ab_packed_bwd_ncdhw_float_double_float_1.uses_vcc, 1
	.set naive_conv_ab_packed_bwd_ncdhw_float_double_float_1.uses_flat_scratch, 0
	.set naive_conv_ab_packed_bwd_ncdhw_float_double_float_1.has_dyn_sized_stack, 0
	.set naive_conv_ab_packed_bwd_ncdhw_float_double_float_1.has_recursion, 0
	.set naive_conv_ab_packed_bwd_ncdhw_float_double_float_1.has_indirect_call, 0
	.section	.AMDGPU.csdata,"",@progbits
; Kernel info:
; codeLenInByte = 3188
; TotalNumSgprs: 79
; NumVgprs: 22
; ScratchSize: 0
; MemoryBound: 0
; FloatMode: 240
; IeeeMode: 1
; LDSByteSize: 0 bytes/workgroup (compile time only)
; SGPRBlocks: 0
; VGPRBlocks: 2
; NumSGPRsForWavesPerEU: 79
; NumVGPRsForWavesPerEU: 22
; Occupancy: 16
; WaveLimiterHint : 1
; COMPUTE_PGM_RSRC2:SCRATCH_EN: 0
; COMPUTE_PGM_RSRC2:USER_SGPR: 2
; COMPUTE_PGM_RSRC2:TRAP_HANDLER: 0
; COMPUTE_PGM_RSRC2:TGID_X_EN: 1
; COMPUTE_PGM_RSRC2:TGID_Y_EN: 0
; COMPUTE_PGM_RSRC2:TGID_Z_EN: 0
; COMPUTE_PGM_RSRC2:TIDIG_COMP_CNT: 0
	.text
	.protected	naive_conv_ab_nonpacked_bwd_ncdhw_float_double_float_1 ; -- Begin function naive_conv_ab_nonpacked_bwd_ncdhw_float_double_float_1
	.globl	naive_conv_ab_nonpacked_bwd_ncdhw_float_double_float_1
	.p2align	8
	.type	naive_conv_ab_nonpacked_bwd_ncdhw_float_double_float_1,@function
naive_conv_ab_nonpacked_bwd_ncdhw_float_double_float_1: ; @naive_conv_ab_nonpacked_bwd_ncdhw_float_double_float_1
; %bb.0:
	s_load_b512 s[4:19], s[0:1], 0xb8
	s_mov_b32 s24, exec_lo
	s_wait_kmcnt 0x0
	s_abs_i32 s3, s9
	s_mul_i32 s84, s6, s5
	s_cvt_f32_u32 s2, s3
	s_delay_alu instid0(SALU_CYCLE_3) | instskip(NEXT) | instid1(TRANS32_DEP_1)
	v_rcp_iflag_f32_e32 v1, s2
	v_readfirstlane_b32 s2, v1
	s_mul_f32 s2, s2, 0x4f7ffffe
	s_wait_alu 0xfffe
	s_delay_alu instid0(SALU_CYCLE_2) | instskip(SKIP_2) | instid1(SALU_CYCLE_1)
	s_cvt_u32_f32 s20, s2
	s_sub_co_i32 s2, 0, s3
	s_wait_alu 0xfffe
	s_mul_i32 s2, s2, s20
	s_wait_alu 0xfffe
	s_mul_hi_u32 s21, s20, s2
	s_abs_i32 s2, ttmp9
	s_add_co_i32 s20, s20, s21
	s_wait_alu 0xfffe
	s_mul_hi_u32 s20, s2, s20
	s_delay_alu instid0(SALU_CYCLE_1) | instskip(SKIP_2) | instid1(SALU_CYCLE_1)
	s_mul_i32 s21, s20, s3
	s_add_co_i32 s22, s20, 1
	s_sub_co_i32 s21, s2, s21
	s_sub_co_i32 s23, s21, s3
	s_cmp_ge_u32 s21, s3
	s_cselect_b32 s20, s22, s20
	s_cselect_b32 s21, s23, s21
	s_add_co_i32 s22, s20, 1
	s_cmp_ge_u32 s21, s3
	s_mul_i32 s21, s9, s7
	s_cselect_b32 s22, s22, s20
	s_abs_i32 s20, s7
	s_abs_i32 s28, s21
	s_cvt_f32_u32 s3, s20
	s_cvt_f32_u32 s7, s28
	s_wait_alu 0xfffe
	s_delay_alu instid0(SALU_CYCLE_1) | instskip(NEXT) | instid1(SALU_CYCLE_1)
	v_rcp_iflag_f32_e32 v1, s3
	v_rcp_iflag_f32_e32 v2, s7
	s_mul_i32 s7, s84, s4
	s_mov_b32 s3, 0
	s_delay_alu instid0(TRANS32_DEP_2) | instskip(NEXT) | instid1(TRANS32_DEP_1)
	v_readfirstlane_b32 s23, v1
	v_readfirstlane_b32 s4, v2
	s_wait_alu 0xfffe
	v_cmpx_gt_i32_e64 s7, v0
	s_cbranch_execz .LBB87_36
; %bb.1:
	s_mul_f32 s23, s23, 0x4f7ffffe
	s_ashr_i32 s26, ttmp9, 31
	s_ashr_i32 s24, s9, 31
	s_mul_f32 s4, s4, 0x4f7ffffe
	s_cvt_u32_f32 s23, s23
	s_sub_co_i32 s25, 0, s20
	s_xor_b32 s24, s26, s24
	s_cvt_u32_f32 s4, s4
	s_xor_b32 s22, s22, s24
	s_mul_i32 s25, s25, s23
	s_sub_co_i32 s27, s22, s24
	s_mul_hi_u32 s24, s23, s25
	s_sub_co_i32 s29, 0, s28
	s_abs_i32 s22, s27
	s_add_co_i32 s24, s23, s24
	s_mov_b32 s23, s3
	s_mov_b32 s25, s3
	s_mul_i32 s29, s29, s4
	s_mul_u64 s[24:25], s[22:23], s[24:25]
	s_mul_hi_u32 s24, s4, s29
	s_ashr_i32 s23, s27, 31
	s_add_co_i32 s24, s4, s24
	s_mul_i32 s4, s25, s20
	s_mul_i32 s27, s27, s9
	s_sub_co_i32 s4, s22, s4
	s_ashr_i32 s21, s21, 31
	s_sub_co_i32 s34, ttmp9, s27
	s_sub_co_i32 s9, s4, s20
	s_cmp_ge_u32 s4, s20
	s_mov_b32 s25, s3
	s_cselect_b32 s4, s9, s4
	s_mul_u64 s[30:31], s[2:3], s[24:25]
	s_sub_co_i32 s9, s4, s20
	s_cmp_ge_u32 s4, s20
	s_load_b512 s[36:51], s[0:1], 0x28
	s_cselect_b32 s4, s9, s4
	s_xor_b32 s33, s26, s21
	s_xor_b32 s4, s4, s23
	s_load_b128 s[52:55], s[0:1], 0xa8
	s_sub_co_i32 s56, s4, s23
	s_mul_i32 s4, s31, s28
	s_load_b256 s[20:27], s[0:1], 0x0
	s_sub_co_i32 s2, s2, s4
	s_add_co_i32 s4, s31, 1
	s_wait_alu 0xfffe
	s_sub_co_i32 s9, s2, s28
	s_cmp_ge_u32 s2, s28
	s_load_b32 s83, s[0:1], 0x11c
	s_cselect_b32 s4, s4, s31
	s_cselect_b32 s2, s9, s2
	s_add_co_i32 s9, s4, 1
	s_wait_alu 0xfffe
	s_cmp_ge_u32 s2, s28
	s_load_b128 s[28:31], s[0:1], 0xf8
	s_cselect_b32 s2, s9, s4
	s_load_b32 s9, s[0:1], 0x108
	s_xor_b32 s2, s2, s33
	s_ashr_i32 s57, s56, 31
	s_wait_alu 0xfffe
	s_sub_co_i32 s68, s2, s33
	s_ashr_i32 s35, s34, 31
	s_ashr_i32 s69, s68, 31
	s_wait_kmcnt 0x0
	s_mul_u64 s[46:47], s[46:47], s[56:57]
	s_mul_u64 s[44:45], s[44:45], s[68:69]
	v_cmp_neq_f64_e64 s2, s[24:25], 1.0
	v_cmp_neq_f64_e64 s82, s[26:27], 0
	s_mul_u64 s[42:43], s[42:43], s[34:35]
	s_mul_u64 s[54:55], s[54:55], s[56:57]
	s_mul_u64 s[52:53], s[52:53], s[68:69]
	s_lshl_b64 s[46:47], s[46:47], 2
	s_lshl_b64 s[44:45], s[44:45], 2
	;; [unrolled: 1-line block ×5, first 2 shown]
	s_cmp_gt_i32 s8, 0
	s_load_b64 s[80:81], s[0:1], 0x20
	s_cselect_b32 s33, -1, 0
	s_cmp_gt_i32 s30, 0
	s_load_b512 s[52:67], s[0:1], 0x68
	s_cselect_b32 s70, -1, 0
	s_cmp_gt_i32 s31, 0
	s_add_nc_u64 s[0:1], s[20:21], s[46:47]
	s_cselect_b32 s71, -1, 0
	s_cmp_gt_i32 s9, 0
	s_add_nc_u64 s[0:1], s[0:1], s[44:45]
	s_cselect_b32 s72, -1, 0
	s_abs_i32 s73, s6
	s_abs_i32 s74, s5
	s_cvt_f32_u32 s4, s73
	s_abs_i32 s75, s84
	s_ashr_i32 s87, s14, 31
	s_ashr_i32 s89, s15, 31
	v_rcp_iflag_f32_e32 v1, s4
	s_cvt_f32_u32 s4, s74
	s_ashr_i32 s84, s84, 31
	s_wait_kmcnt 0x0
	s_add_nc_u64 s[20:21], s[80:81], s[76:77]
	s_abs_i32 s80, s14
	s_add_nc_u64 s[20:21], s[20:21], s[78:79]
	s_abs_i32 s79, s13
	s_and_b32 s77, s83, 0xffff
	s_abs_i32 s83, s15
	s_mul_u64 s[14:15], s[58:59], s[68:69]
	v_readfirstlane_b32 s46, v1
	s_wait_alu 0xfffe
	v_rcp_iflag_f32_e32 v1, s4
	s_add_nc_u64 s[4:5], s[0:1], s[42:43]
	s_cvt_f32_u32 s1, s75
	s_or_b32 s76, s2, s82
	s_mul_f32 s0, s46, 0x4f7ffffe
	s_sub_co_i32 s42, 0, s73
	s_sub_co_i32 s43, 0, s74
	s_lshl_b64 s[14:15], s[14:15], 2
	s_cvt_u32_f32 s0, s0
	s_ashr_i32 s78, s6, 31
	v_readfirstlane_b32 s2, v1
	v_rcp_iflag_f32_e32 v1, s1
	s_mul_i32 s42, s42, s0
	s_ashr_i32 s13, s13, 31
	s_mul_f32 s1, s2, 0x4f7ffffe
	s_mul_hi_u32 s2, s0, s42
	s_cvt_f32_u32 s42, s79
	s_wait_alu 0xfffe
	s_add_co_i32 s81, s0, s2
	s_cvt_u32_f32 s1, s1
	s_cvt_f32_u32 s2, s83
	v_readfirstlane_b32 s44, v1
	v_rcp_iflag_f32_e32 v1, s42
	s_wait_alu 0xfffe
	s_mul_i32 s43, s43, s1
	s_wait_alu 0xfffe
	s_mul_hi_u32 s42, s1, s43
	s_mul_f32 s43, s44, 0x4f7ffffe
	s_cvt_f32_u32 s44, s80
	s_wait_alu 0xfffe
	s_add_co_i32 s82, s1, s42
	s_sub_co_i32 s42, 0, s75
	s_cvt_u32_f32 s0, s43
	v_rcp_iflag_f32_e32 v2, s44
	v_readfirstlane_b32 s1, v1
	v_rcp_iflag_f32_e32 v1, s2
	s_wait_alu 0xfffe
	s_mul_i32 s42, s42, s0
	s_lshl_b64 s[44:45], s[48:49], 2
	s_wait_alu 0xfffe
	s_mul_hi_u32 s2, s0, s42
	s_mul_f32 s1, s1, 0x4f7ffffe
	s_wait_alu 0xfffe
	s_add_co_i32 s85, s0, s2
	v_readfirstlane_b32 s42, v2
	s_cvt_u32_f32 s0, s1
	s_sub_co_i32 s1, 0, s79
	s_mul_f32 s2, s42, 0x4f7ffffe
	v_readfirstlane_b32 s42, v1
	s_wait_alu 0xfffe
	s_mul_i32 s1, s1, s0
	s_wait_alu 0xfffe
	s_mul_hi_u32 s1, s0, s1
	s_cvt_u32_f32 s2, s2
	s_wait_alu 0xfffe
	s_add_co_i32 s86, s0, s1
	s_sub_co_i32 s0, 0, s80
	s_mul_f32 s1, s42, 0x4f7ffffe
	s_wait_alu 0xfffe
	s_mul_i32 s0, s0, s2
	s_wait_alu 0xfffe
	s_mul_hi_u32 s0, s2, s0
	s_cvt_u32_f32 s42, s1
	s_wait_alu 0xfffe
	s_add_co_i32 s88, s2, s0
	s_sub_co_i32 s0, 0, s83
	s_wait_alu 0xfffe
	s_mul_i32 s2, s0, s42
	s_mul_u64 s[0:1], s[54:55], s[34:35]
	s_wait_alu 0xfffe
	s_mul_hi_u32 s2, s42, s2
	s_lshl_b64 s[0:1], s[0:1], 2
	s_wait_alu 0xfffe
	s_add_co_i32 s54, s42, s2
	s_add_nc_u64 s[0:1], s[0:1], s[14:15]
	s_lshl_b64 s[34:35], s[52:53], 2
	s_wait_alu 0xfffe
	s_add_nc_u64 s[14:15], s[22:23], s[0:1]
	s_lshl_b64 s[22:23], s[56:57], 2
	s_lshl_b64 s[42:43], s[50:51], 2
	s_mov_b32 s55, 0
	s_branch .LBB87_3
.LBB87_2:                               ;   in Loop: Header=BB87_3 Depth=1
	s_delay_alu instid0(VALU_DEP_1) | instskip(SKIP_1) | instid1(VALU_DEP_1)
	v_cvt_f32_f64_e32 v1, v[1:2]
	v_add_nc_u32_e32 v0, s77, v0
	v_cmp_le_i32_e32 vcc_lo, s7, v0
	s_or_b32 s55, vcc_lo, s55
	global_store_b32 v[3:4], v1, off
	s_wait_alu 0xfffe
	s_and_not1_b32 exec_lo, exec_lo, s55
	s_cbranch_execz .LBB87_36
.LBB87_3:                               ; =>This Loop Header: Depth=1
                                        ;     Child Loop BB87_6 Depth 2
                                        ;       Child Loop BB87_9 Depth 3
                                        ;         Child Loop BB87_18 Depth 4
                                        ;           Child Loop BB87_25 Depth 5
	v_sub_nc_u32_e32 v1, 0, v0
	s_delay_alu instid0(VALU_DEP_1) | instskip(NEXT) | instid1(VALU_DEP_1)
	v_max_i32_e32 v1, v0, v1
	v_mul_hi_u32 v2, v1, s81
	s_delay_alu instid0(VALU_DEP_1) | instskip(NEXT) | instid1(VALU_DEP_1)
	v_mul_lo_u32 v3, v2, s73
	v_sub_nc_u32_e32 v3, v1, v3
	s_delay_alu instid0(VALU_DEP_1) | instskip(SKIP_2) | instid1(VALU_DEP_2)
	v_subrev_nc_u32_e32 v5, s73, v3
	v_cmp_le_u32_e32 vcc_lo, s73, v3
	s_wait_alu 0xfffd
	v_dual_cndmask_b32 v3, v3, v5 :: v_dual_add_nc_u32 v4, 1, v2
	s_delay_alu instid0(VALU_DEP_1) | instskip(SKIP_1) | instid1(VALU_DEP_3)
	v_cndmask_b32_e32 v2, v2, v4, vcc_lo
	v_ashrrev_i32_e32 v4, 31, v0
	v_cmp_le_u32_e32 vcc_lo, s73, v3
	s_delay_alu instid0(VALU_DEP_3) | instskip(NEXT) | instid1(VALU_DEP_3)
	v_add_nc_u32_e32 v5, 1, v2
	v_xor_b32_e32 v6, s78, v4
	s_wait_alu 0xfffd
	s_delay_alu instid0(VALU_DEP_2) | instskip(SKIP_1) | instid1(VALU_DEP_1)
	v_cndmask_b32_e32 v2, v2, v5, vcc_lo
	v_mul_hi_u32 v5, v1, s85
	v_mul_lo_u32 v7, v5, s75
	s_delay_alu instid0(VALU_DEP_1) | instskip(NEXT) | instid1(VALU_DEP_1)
	v_sub_nc_u32_e32 v1, v1, v7
	v_subrev_nc_u32_e32 v7, s75, v1
	v_cmp_le_u32_e32 vcc_lo, s75, v1
	s_wait_alu 0xfffd
	s_delay_alu instid0(VALU_DEP_2) | instskip(SKIP_2) | instid1(VALU_DEP_2)
	v_cndmask_b32_e32 v1, v1, v7, vcc_lo
	v_xor_b32_e32 v2, v2, v6
	v_xor_b32_e32 v7, s84, v4
	v_sub_nc_u32_e32 v2, v2, v6
	s_delay_alu instid0(VALU_DEP_1) | instskip(NEXT) | instid1(VALU_DEP_1)
	v_sub_nc_u32_e32 v3, 0, v2
	v_max_i32_e32 v3, v2, v3
	s_delay_alu instid0(VALU_DEP_1) | instskip(NEXT) | instid1(VALU_DEP_1)
	v_mul_hi_u32 v6, v3, s82
	v_mul_lo_u32 v6, v6, s74
	s_delay_alu instid0(VALU_DEP_1) | instskip(NEXT) | instid1(VALU_DEP_1)
	v_sub_nc_u32_e32 v3, v3, v6
	v_subrev_nc_u32_e32 v8, s74, v3
	v_cmp_le_u32_e64 s0, s74, v3
	s_wait_alu 0xf1ff
	s_delay_alu instid0(VALU_DEP_1) | instskip(NEXT) | instid1(VALU_DEP_1)
	v_cndmask_b32_e64 v3, v3, v8, s0
	v_subrev_nc_u32_e32 v4, s74, v3
	v_add_nc_u32_e32 v6, 1, v5
	s_delay_alu instid0(VALU_DEP_1) | instskip(SKIP_1) | instid1(VALU_DEP_2)
	v_cndmask_b32_e32 v5, v5, v6, vcc_lo
	v_cmp_le_u32_e32 vcc_lo, s75, v1
	v_add_nc_u32_e32 v6, 1, v5
	s_wait_alu 0xfffd
	s_delay_alu instid0(VALU_DEP_1) | instskip(SKIP_3) | instid1(VALU_DEP_4)
	v_cndmask_b32_e32 v1, v5, v6, vcc_lo
	v_cmp_le_u32_e32 vcc_lo, s74, v3
	v_ashrrev_i32_e32 v5, 31, v2
	v_mul_lo_u32 v2, v2, s6
	v_xor_b32_e32 v1, v1, v7
	s_wait_alu 0xfffd
	v_cndmask_b32_e32 v3, v3, v4, vcc_lo
	s_and_not1_b32 vcc_lo, exec_lo, s33
	s_delay_alu instid0(VALU_DEP_1) | instskip(NEXT) | instid1(VALU_DEP_4)
	v_xor_b32_e32 v4, v3, v5
	v_sub_nc_u32_e32 v3, v0, v2
	s_delay_alu instid0(VALU_DEP_2)
	v_sub_nc_u32_e32 v4, v4, v5
	v_sub_nc_u32_e32 v5, v1, v7
	s_wait_alu 0xfffe
	s_cbranch_vccnz .LBB87_33
; %bb.4:                                ;   in Loop: Header=BB87_3 Depth=1
	s_delay_alu instid0(VALU_DEP_1)
	v_dual_mov_b32 v1, 0 :: v_dual_add_nc_u32 v6, s19, v5
	v_dual_mov_b32 v2, 0 :: v_dual_add_nc_u32 v7, s28, v4
	v_add_nc_u32_e32 v8, s29, v3
	s_mov_b32 s2, 0
	s_mov_b64 s[0:1], s[14:15]
	s_branch .LBB87_6
.LBB87_5:                               ;   in Loop: Header=BB87_6 Depth=2
	s_add_co_i32 s2, s2, 1
	s_add_nc_u64 s[0:1], s[0:1], s[22:23]
	s_wait_alu 0xfffe
	s_cmp_eq_u32 s2, s8
	s_cbranch_scc1 .LBB87_34
.LBB87_6:                               ;   Parent Loop BB87_3 Depth=1
                                        ; =>  This Loop Header: Depth=2
                                        ;       Child Loop BB87_9 Depth 3
                                        ;         Child Loop BB87_18 Depth 4
                                        ;           Child Loop BB87_25 Depth 5
	s_and_not1_b32 vcc_lo, exec_lo, s70
	s_wait_alu 0xfffe
	s_cbranch_vccnz .LBB87_5
; %bb.7:                                ;   in Loop: Header=BB87_6 Depth=2
	s_mul_u64 s[46:47], s[66:67], s[2:3]
	s_mov_b32 s56, 0
	s_wait_alu 0xfffe
	s_lshl_b64 s[46:47], s[46:47], 2
	s_mov_b64 s[48:49], s[0:1]
	s_wait_alu 0xfffe
	s_add_nc_u64 s[46:47], s[20:21], s[46:47]
	s_branch .LBB87_9
.LBB87_8:                               ;   in Loop: Header=BB87_9 Depth=3
	s_add_co_i32 s56, s56, 1
	s_add_nc_u64 s[48:49], s[48:49], s[34:35]
	s_cmp_eq_u32 s56, s30
	s_cbranch_scc1 .LBB87_5
.LBB87_9:                               ;   Parent Loop BB87_3 Depth=1
                                        ;     Parent Loop BB87_6 Depth=2
                                        ; =>    This Loop Header: Depth=3
                                        ;         Child Loop BB87_18 Depth 4
                                        ;           Child Loop BB87_25 Depth 5
	s_mul_i32 s50, s16, s56
	s_mov_b32 s51, exec_lo
	s_wait_alu 0xfffe
	v_subrev_nc_u32_e32 v14, s50, v6
	s_mov_b32 s50, 0
                                        ; implicit-def: $vgpr11
                                        ; implicit-def: $vgpr12
	s_delay_alu instid0(VALU_DEP_1) | instskip(SKIP_1) | instid1(VALU_DEP_2)
	v_sub_nc_u32_e32 v10, 0, v14
	v_ashrrev_i32_e32 v9, 31, v14
	v_max_i32_e32 v13, v14, v10
                                        ; implicit-def: $vgpr10
	v_cmpx_lt_i32_e32 -1, v14
	s_xor_b32 s51, exec_lo, s51
	s_cbranch_execnz .LBB87_13
; %bb.10:                               ;   in Loop: Header=BB87_9 Depth=3
	s_wait_alu 0xfffe
	s_and_not1_saveexec_b32 s51, s51
	s_cbranch_execnz .LBB87_14
.LBB87_11:                              ;   in Loop: Header=BB87_9 Depth=3
	s_wait_alu 0xfffe
	s_or_b32 exec_lo, exec_lo, s51
	v_mov_b32_e32 v13, 1
	s_and_saveexec_b32 s51, s50
	s_cbranch_execnz .LBB87_15
.LBB87_12:                              ;   in Loop: Header=BB87_9 Depth=3
	s_wait_alu 0xfffe
	s_or_b32 exec_lo, exec_lo, s51
	s_delay_alu instid0(SALU_CYCLE_1)
	s_and_not1_b32 vcc_lo, exec_lo, s71
	s_wait_alu 0xfffe
	s_cbranch_vccz .LBB87_16
	s_branch .LBB87_8
.LBB87_13:                              ;   in Loop: Header=BB87_9 Depth=3
	s_delay_alu instid0(VALU_DEP_2) | instskip(NEXT) | instid1(VALU_DEP_1)
	v_mul_hi_u32 v10, v13, s86
	v_mul_lo_u32 v9, v10, s79
	s_delay_alu instid0(VALU_DEP_1) | instskip(SKIP_1) | instid1(VALU_DEP_2)
	v_sub_nc_u32_e32 v11, v13, v9
	v_ashrrev_i32_e32 v9, 31, v14
	v_subrev_nc_u32_e32 v12, s79, v11
	v_cmp_le_u32_e32 vcc_lo, s79, v11
	s_wait_alu 0xfffd
	s_delay_alu instid0(VALU_DEP_2) | instskip(NEXT) | instid1(VALU_DEP_1)
	v_cndmask_b32_e32 v13, v11, v12, vcc_lo
	v_subrev_nc_u32_e32 v15, s79, v13
	v_cmp_le_u32_e32 vcc_lo, s79, v13
	s_wait_alu 0xfffd
	s_delay_alu instid0(VALU_DEP_2) | instskip(NEXT) | instid1(VALU_DEP_1)
	v_cndmask_b32_e32 v13, v13, v15, vcc_lo
	v_xor_b32_e32 v13, v13, v9
	s_delay_alu instid0(VALU_DEP_1) | instskip(NEXT) | instid1(VALU_DEP_1)
	v_sub_nc_u32_e32 v13, v13, v9
	v_cmp_ne_u32_e32 vcc_lo, 0, v13
                                        ; implicit-def: $vgpr13
	s_and_b32 s50, vcc_lo, exec_lo
	s_wait_alu 0xfffe
	s_and_not1_saveexec_b32 s51, s51
	s_cbranch_execz .LBB87_11
.LBB87_14:                              ;   in Loop: Header=BB87_9 Depth=3
	v_mul_hi_u32 v10, v13, s86
	s_or_b32 s50, s50, exec_lo
	s_delay_alu instid0(VALU_DEP_1) | instskip(NEXT) | instid1(VALU_DEP_1)
	v_mul_lo_u32 v11, v10, s79
	v_sub_nc_u32_e32 v11, v13, v11
	s_delay_alu instid0(VALU_DEP_1)
	v_subrev_nc_u32_e32 v12, s79, v11
	s_wait_alu 0xfffe
	s_or_b32 exec_lo, exec_lo, s51
	v_mov_b32_e32 v13, 1
	s_and_saveexec_b32 s51, s50
	s_cbranch_execz .LBB87_12
.LBB87_15:                              ;   in Loop: Header=BB87_9 Depth=3
	v_mov_b32_e32 v13, 0
	s_wait_alu 0xfffe
	s_or_b32 exec_lo, exec_lo, s51
	s_delay_alu instid0(SALU_CYCLE_1)
	s_and_not1_b32 vcc_lo, exec_lo, s71
	s_wait_alu 0xfffe
	s_cbranch_vccnz .LBB87_8
.LBB87_16:                              ;   in Loop: Header=BB87_9 Depth=3
	v_cmp_le_u32_e32 vcc_lo, s79, v11
	v_add_nc_u32_e32 v14, 1, v10
	v_xor_b32_e32 v9, s13, v9
	s_mov_b32 s57, 0
	s_mov_b64 s[50:51], s[48:49]
	s_wait_alu 0xfffd
	v_dual_cndmask_b32 v11, v11, v12 :: v_dual_cndmask_b32 v10, v10, v14
	s_delay_alu instid0(VALU_DEP_1) | instskip(NEXT) | instid1(VALU_DEP_2)
	v_cmp_le_u32_e32 vcc_lo, s79, v11
	v_add_nc_u32_e32 v12, 1, v10
	s_wait_alu 0xfffd
	s_delay_alu instid0(VALU_DEP_1) | instskip(NEXT) | instid1(VALU_DEP_1)
	v_cndmask_b32_e32 v10, v10, v12, vcc_lo
	v_xor_b32_e32 v10, v10, v9
	s_delay_alu instid0(VALU_DEP_1) | instskip(NEXT) | instid1(VALU_DEP_1)
	v_sub_nc_u32_e32 v12, v10, v9
	v_ashrrev_i32_e32 v11, 31, v12
	v_mul_lo_u32 v14, s65, v12
	v_mad_co_u64_u32 v[9:10], null, s64, v12, 0
	v_cmp_gt_i32_e32 vcc_lo, s10, v12
	s_delay_alu instid0(VALU_DEP_4) | instskip(NEXT) | instid1(VALU_DEP_1)
	v_mul_lo_u32 v11, s64, v11
	v_add3_u32 v10, v10, v11, v14
	s_delay_alu instid0(VALU_DEP_1) | instskip(SKIP_2) | instid1(VALU_DEP_2)
	v_lshlrev_b64_e32 v[10:11], 2, v[9:10]
	s_wait_alu 0xfffd
	v_cndmask_b32_e32 v9, 0, v13, vcc_lo
	v_add_co_u32 v10, vcc_lo, s46, v10
	s_wait_alu 0xfffd
	s_delay_alu instid0(VALU_DEP_3)
	v_add_co_ci_u32_e64 v11, null, s47, v11, vcc_lo
	s_branch .LBB87_18
.LBB87_17:                              ;   in Loop: Header=BB87_18 Depth=4
	s_add_co_i32 s57, s57, 1
	s_add_nc_u64 s[50:51], s[50:51], s[42:43]
	s_cmp_eq_u32 s57, s31
	s_cbranch_scc1 .LBB87_8
.LBB87_18:                              ;   Parent Loop BB87_3 Depth=1
                                        ;     Parent Loop BB87_6 Depth=2
                                        ;       Parent Loop BB87_9 Depth=3
                                        ; =>      This Loop Header: Depth=4
                                        ;           Child Loop BB87_25 Depth 5
	s_mul_i32 s52, s17, s57
	s_wait_alu 0xfffe
	v_subrev_nc_u32_e32 v13, s52, v7
	s_delay_alu instid0(VALU_DEP_1) | instskip(SKIP_3) | instid1(VALU_DEP_4)
	v_sub_nc_u32_e32 v14, 0, v13
	v_cmp_gt_i32_e64 s52, 0, v13
	v_cmp_lt_i32_e32 vcc_lo, -1, v13
	v_ashrrev_i32_e32 v12, 31, v13
	v_max_i32_e32 v13, v13, v14
	s_and_saveexec_b32 s53, vcc_lo
	s_cbranch_execnz .LBB87_21
; %bb.19:                               ;   in Loop: Header=BB87_18 Depth=4
	s_wait_alu 0xfffe
	s_or_b32 exec_lo, exec_lo, s53
	v_mov_b32_e32 v14, 1
	s_and_saveexec_b32 s53, s52
	s_cbranch_execnz .LBB87_22
.LBB87_20:                              ;   in Loop: Header=BB87_18 Depth=4
	s_wait_alu 0xfffe
	s_or_b32 exec_lo, exec_lo, s53
	s_delay_alu instid0(SALU_CYCLE_1)
	s_and_not1_b32 vcc_lo, exec_lo, s72
	s_wait_alu 0xfffe
	s_cbranch_vccz .LBB87_23
	s_branch .LBB87_17
.LBB87_21:                              ;   in Loop: Header=BB87_18 Depth=4
	s_delay_alu instid0(VALU_DEP_1) | instskip(SKIP_1) | instid1(VALU_DEP_1)
	v_mul_hi_u32 v14, v13, s88
	s_and_not1_b32 s52, s52, exec_lo
	v_mul_lo_u32 v14, v14, s80
	s_delay_alu instid0(VALU_DEP_1) | instskip(NEXT) | instid1(VALU_DEP_1)
	v_sub_nc_u32_e32 v14, v13, v14
	v_subrev_nc_u32_e32 v15, s80, v14
	v_cmp_le_u32_e32 vcc_lo, s80, v14
	s_wait_alu 0xfffd
	s_delay_alu instid0(VALU_DEP_2) | instskip(NEXT) | instid1(VALU_DEP_1)
	v_cndmask_b32_e32 v14, v14, v15, vcc_lo
	v_subrev_nc_u32_e32 v15, s80, v14
	v_cmp_le_u32_e32 vcc_lo, s80, v14
	s_wait_alu 0xfffd
	s_delay_alu instid0(VALU_DEP_2) | instskip(NEXT) | instid1(VALU_DEP_1)
	v_cndmask_b32_e32 v14, v14, v15, vcc_lo
	v_xor_b32_e32 v14, v14, v12
	s_delay_alu instid0(VALU_DEP_1) | instskip(NEXT) | instid1(VALU_DEP_1)
	v_sub_nc_u32_e32 v14, v14, v12
	v_cmp_ne_u32_e32 vcc_lo, 0, v14
	s_and_b32 s58, vcc_lo, exec_lo
	s_wait_alu 0xfffe
	s_or_b32 s52, s52, s58
	s_or_b32 exec_lo, exec_lo, s53
	v_mov_b32_e32 v14, 1
	s_wait_alu 0xfffe
	s_and_saveexec_b32 s53, s52
	s_cbranch_execz .LBB87_20
.LBB87_22:                              ;   in Loop: Header=BB87_18 Depth=4
	v_mov_b32_e32 v14, 0
	s_wait_alu 0xfffe
	s_or_b32 exec_lo, exec_lo, s53
	s_delay_alu instid0(SALU_CYCLE_1)
	s_and_not1_b32 vcc_lo, exec_lo, s72
	s_wait_alu 0xfffe
	s_cbranch_vccnz .LBB87_17
.LBB87_23:                              ;   in Loop: Header=BB87_18 Depth=4
	v_mul_hi_u32 v15, v13, s88
	v_xor_b32_e32 v12, s87, v12
	s_mov_b64 s[52:53], s[50:51]
	s_mov_b32 s58, s9
	s_delay_alu instid0(VALU_DEP_2) | instskip(NEXT) | instid1(VALU_DEP_1)
	v_mul_lo_u32 v16, v15, s80
	v_sub_nc_u32_e32 v13, v13, v16
	s_delay_alu instid0(VALU_DEP_1) | instskip(SKIP_2) | instid1(VALU_DEP_2)
	v_subrev_nc_u32_e32 v17, s80, v13
	v_cmp_le_u32_e32 vcc_lo, s80, v13
	s_wait_alu 0xfffd
	v_dual_cndmask_b32 v13, v13, v17 :: v_dual_add_nc_u32 v16, 1, v15
	s_delay_alu instid0(VALU_DEP_1) | instskip(NEXT) | instid1(VALU_DEP_2)
	v_cndmask_b32_e32 v15, v15, v16, vcc_lo
	v_cmp_le_u32_e32 vcc_lo, s80, v13
	s_delay_alu instid0(VALU_DEP_2) | instskip(SKIP_1) | instid1(VALU_DEP_1)
	v_add_nc_u32_e32 v16, 1, v15
	s_wait_alu 0xfffd
	v_cndmask_b32_e32 v13, v15, v16, vcc_lo
	s_delay_alu instid0(VALU_DEP_1) | instskip(NEXT) | instid1(VALU_DEP_1)
	v_xor_b32_e32 v13, v13, v12
	v_sub_nc_u32_e32 v15, v13, v12
	s_delay_alu instid0(VALU_DEP_1) | instskip(SKIP_3) | instid1(VALU_DEP_4)
	v_ashrrev_i32_e32 v16, 31, v15
	v_mul_lo_u32 v17, s63, v15
	v_mad_co_u64_u32 v[12:13], null, s62, v15, 0
	v_cmp_gt_i32_e32 vcc_lo, s11, v15
	v_mul_lo_u32 v16, s62, v16
	s_wait_alu 0xfffd
	v_cndmask_b32_e32 v15, 0, v14, vcc_lo
	s_delay_alu instid0(VALU_DEP_2) | instskip(NEXT) | instid1(VALU_DEP_1)
	v_add3_u32 v13, v13, v16, v17
	v_lshlrev_b64_e32 v[13:14], 2, v[12:13]
	s_delay_alu instid0(VALU_DEP_3) | instskip(NEXT) | instid1(VALU_DEP_2)
	v_dual_mov_b32 v15, v8 :: v_dual_and_b32 v12, v15, v9
	v_add_co_u32 v13, vcc_lo, v10, v13
	s_wait_alu 0xfffd
	s_delay_alu instid0(VALU_DEP_3)
	v_add_co_ci_u32_e64 v14, null, v11, v14, vcc_lo
	s_branch .LBB87_25
.LBB87_24:                              ;   in Loop: Header=BB87_25 Depth=5
	s_or_b32 exec_lo, exec_lo, s59
	v_subrev_nc_u32_e32 v15, s18, v15
	s_add_co_i32 s58, s58, -1
	s_wait_alu 0xfffe
	s_add_nc_u64 s[52:53], s[52:53], s[44:45]
	s_cmp_eq_u32 s58, 0
	s_cbranch_scc1 .LBB87_17
.LBB87_25:                              ;   Parent Loop BB87_3 Depth=1
                                        ;     Parent Loop BB87_6 Depth=2
                                        ;       Parent Loop BB87_9 Depth=3
                                        ;         Parent Loop BB87_18 Depth=4
                                        ; =>        This Inner Loop Header: Depth=5
	v_sub_nc_u32_e32 v17, 0, v15
	v_ashrrev_i32_e32 v16, 31, v15
	s_mov_b32 s59, 0
	s_mov_b32 s68, exec_lo
                                        ; implicit-def: $vgpr18
                                        ; implicit-def: $vgpr19
	s_delay_alu instid0(VALU_DEP_2)
	v_max_i32_e32 v20, v15, v17
                                        ; implicit-def: $vgpr17
	v_cmpx_lt_i32_e32 -1, v15
	s_wait_alu 0xfffe
	s_xor_b32 s68, exec_lo, s68
	s_cbranch_execnz .LBB87_31
; %bb.26:                               ;   in Loop: Header=BB87_25 Depth=5
	s_wait_alu 0xfffe
	s_and_not1_saveexec_b32 s68, s68
	s_cbranch_execnz .LBB87_32
.LBB87_27:                              ;   in Loop: Header=BB87_25 Depth=5
	s_wait_alu 0xfffe
	s_or_b32 exec_lo, exec_lo, s68
	v_mov_b32_e32 v20, 1
	s_and_saveexec_b32 s68, s59
.LBB87_28:                              ;   in Loop: Header=BB87_25 Depth=5
	v_mov_b32_e32 v20, 0
.LBB87_29:                              ;   in Loop: Header=BB87_25 Depth=5
	s_wait_alu 0xfffe
	s_or_b32 exec_lo, exec_lo, s68
	v_cmp_le_u32_e32 vcc_lo, s83, v18
	v_add_nc_u32_e32 v21, 1, v17
	v_xor_b32_e32 v16, s89, v16
	s_mov_b32 s59, exec_lo
	s_wait_alu 0xfffd
	s_delay_alu instid0(VALU_DEP_2) | instskip(NEXT) | instid1(VALU_DEP_1)
	v_dual_cndmask_b32 v18, v18, v19 :: v_dual_cndmask_b32 v17, v17, v21
	v_cmp_le_u32_e32 vcc_lo, s83, v18
	s_delay_alu instid0(VALU_DEP_2) | instskip(SKIP_1) | instid1(VALU_DEP_1)
	v_add_nc_u32_e32 v19, 1, v17
	s_wait_alu 0xfffd
	v_cndmask_b32_e32 v17, v17, v19, vcc_lo
	s_delay_alu instid0(VALU_DEP_1) | instskip(NEXT) | instid1(VALU_DEP_1)
	v_xor_b32_e32 v17, v17, v16
	v_sub_nc_u32_e32 v16, v17, v16
	s_delay_alu instid0(VALU_DEP_1) | instskip(SKIP_2) | instid1(VALU_DEP_1)
	v_cmp_gt_i32_e32 vcc_lo, s12, v16
	s_wait_alu 0xfffd
	v_cndmask_b32_e32 v17, 0, v20, vcc_lo
	v_and_b32_e32 v17, v12, v17
	s_delay_alu instid0(VALU_DEP_1) | instskip(NEXT) | instid1(VALU_DEP_1)
	v_and_b32_e32 v17, 1, v17
	v_cmpx_eq_u32_e32 1, v17
	s_cbranch_execz .LBB87_24
; %bb.30:                               ;   in Loop: Header=BB87_25 Depth=5
	v_ashrrev_i32_e32 v18, 31, v16
	v_mul_lo_u32 v19, s61, v16
	v_mad_co_u64_u32 v[16:17], null, s60, v16, 0
	s_load_b32 s68, s[52:53], 0x0
	v_mul_lo_u32 v18, s60, v18
	s_delay_alu instid0(VALU_DEP_1) | instskip(NEXT) | instid1(VALU_DEP_1)
	v_add3_u32 v17, v17, v18, v19
	v_lshlrev_b64_e32 v[16:17], 2, v[16:17]
	s_wait_kmcnt 0x0
	s_and_b32 s68, s68, 0xffffe000
	s_delay_alu instid0(VALU_DEP_1) | instskip(SKIP_1) | instid1(VALU_DEP_2)
	v_add_co_u32 v16, vcc_lo, v13, v16
	s_wait_alu 0xfffd
	v_add_co_ci_u32_e64 v17, null, v14, v17, vcc_lo
	s_wait_alu 0xfffe
	v_cvt_f64_f32_e32 v[18:19], s68
	global_load_b32 v16, v[16:17], off
	s_wait_loadcnt 0x0
	v_and_b32_e32 v16, 0xffffe000, v16
	s_delay_alu instid0(VALU_DEP_1) | instskip(NEXT) | instid1(VALU_DEP_1)
	v_cvt_f64_f32_e32 v[16:17], v16
	v_fma_f64 v[1:2], v[16:17], v[18:19], v[1:2]
	s_branch .LBB87_24
.LBB87_31:                              ;   in Loop: Header=BB87_25 Depth=5
	v_mul_hi_u32 v17, v20, s54
	s_delay_alu instid0(VALU_DEP_1) | instskip(NEXT) | instid1(VALU_DEP_1)
	v_mul_lo_u32 v16, v17, s83
	v_sub_nc_u32_e32 v18, v20, v16
	v_ashrrev_i32_e32 v16, 31, v15
	s_delay_alu instid0(VALU_DEP_2) | instskip(SKIP_2) | instid1(VALU_DEP_2)
	v_subrev_nc_u32_e32 v19, s83, v18
	v_cmp_le_u32_e32 vcc_lo, s83, v18
	s_wait_alu 0xfffd
	v_cndmask_b32_e32 v20, v18, v19, vcc_lo
	s_delay_alu instid0(VALU_DEP_1) | instskip(SKIP_2) | instid1(VALU_DEP_2)
	v_subrev_nc_u32_e32 v21, s83, v20
	v_cmp_le_u32_e32 vcc_lo, s83, v20
	s_wait_alu 0xfffd
	v_cndmask_b32_e32 v20, v20, v21, vcc_lo
	s_delay_alu instid0(VALU_DEP_1) | instskip(NEXT) | instid1(VALU_DEP_1)
	v_xor_b32_e32 v20, v20, v16
	v_sub_nc_u32_e32 v20, v20, v16
	s_delay_alu instid0(VALU_DEP_1)
	v_cmp_ne_u32_e32 vcc_lo, 0, v20
                                        ; implicit-def: $vgpr20
	s_and_b32 s59, vcc_lo, exec_lo
	s_wait_alu 0xfffe
	s_and_not1_saveexec_b32 s68, s68
	s_cbranch_execz .LBB87_27
.LBB87_32:                              ;   in Loop: Header=BB87_25 Depth=5
	v_mul_hi_u32 v17, v20, s54
	s_or_b32 s59, s59, exec_lo
	s_delay_alu instid0(VALU_DEP_1) | instskip(NEXT) | instid1(VALU_DEP_1)
	v_mul_lo_u32 v18, v17, s83
	v_sub_nc_u32_e32 v18, v20, v18
	s_delay_alu instid0(VALU_DEP_1)
	v_subrev_nc_u32_e32 v19, s83, v18
	s_wait_alu 0xfffe
	s_or_b32 exec_lo, exec_lo, s68
	v_mov_b32_e32 v20, 1
	s_and_saveexec_b32 s68, s59
	s_cbranch_execnz .LBB87_28
	s_branch .LBB87_29
.LBB87_33:                              ;   in Loop: Header=BB87_3 Depth=1
	v_mov_b32_e32 v1, 0
	v_mov_b32_e32 v2, 0
.LBB87_34:                              ;   in Loop: Header=BB87_3 Depth=1
	v_ashrrev_i32_e32 v7, 31, v5
	v_mul_lo_u32 v9, s41, v5
	v_mad_co_u64_u32 v[5:6], null, s40, v5, 0
	v_ashrrev_i32_e32 v11, 31, v4
	s_delay_alu instid0(VALU_DEP_4)
	v_mul_lo_u32 v10, s40, v7
	v_mul_lo_u32 v12, s39, v4
	v_mad_co_u64_u32 v[7:8], null, s38, v4, 0
	v_ashrrev_i32_e32 v13, 31, v3
	v_mul_lo_u32 v11, s38, v11
	v_mul_lo_u32 v14, s37, v3
	v_mad_co_u64_u32 v[3:4], null, s36, v3, 0
	v_add3_u32 v6, v6, v10, v9
	v_mul_lo_u32 v9, s36, v13
	v_add3_u32 v8, v8, v11, v12
	s_delay_alu instid0(VALU_DEP_3) | instskip(NEXT) | instid1(VALU_DEP_2)
	v_lshlrev_b64_e32 v[5:6], 2, v[5:6]
	v_lshlrev_b64_e32 v[7:8], 2, v[7:8]
	s_delay_alu instid0(VALU_DEP_4) | instskip(NEXT) | instid1(VALU_DEP_3)
	v_add3_u32 v4, v4, v9, v14
	v_add_co_u32 v5, vcc_lo, s4, v5
	s_wait_alu 0xfffd
	s_delay_alu instid0(VALU_DEP_4) | instskip(NEXT) | instid1(VALU_DEP_3)
	v_add_co_ci_u32_e64 v6, null, s5, v6, vcc_lo
	v_lshlrev_b64_e32 v[3:4], 2, v[3:4]
	s_delay_alu instid0(VALU_DEP_3) | instskip(SKIP_1) | instid1(VALU_DEP_3)
	v_add_co_u32 v5, vcc_lo, v5, v7
	s_wait_alu 0xfffd
	v_add_co_ci_u32_e64 v6, null, v6, v8, vcc_lo
	s_delay_alu instid0(VALU_DEP_2) | instskip(SKIP_1) | instid1(VALU_DEP_2)
	v_add_co_u32 v3, vcc_lo, v5, v3
	s_wait_alu 0xfffd
	v_add_co_ci_u32_e64 v4, null, v6, v4, vcc_lo
	s_and_not1_b32 vcc_lo, exec_lo, s76
	s_wait_alu 0xfffe
	s_cbranch_vccnz .LBB87_2
; %bb.35:                               ;   in Loop: Header=BB87_3 Depth=1
	global_load_b32 v5, v[3:4], off
	s_wait_loadcnt 0x0
	v_cvt_f64_f32_e32 v[5:6], v5
	s_delay_alu instid0(VALU_DEP_1) | instskip(NEXT) | instid1(VALU_DEP_1)
	v_mul_f64_e32 v[5:6], s[26:27], v[5:6]
	v_fma_f64 v[1:2], s[24:25], v[1:2], v[5:6]
	s_branch .LBB87_2
.LBB87_36:
	s_endpgm
	.section	.rodata,"a",@progbits
	.p2align	6, 0x0
	.amdhsa_kernel naive_conv_ab_nonpacked_bwd_ncdhw_float_double_float_1
		.amdhsa_group_segment_fixed_size 0
		.amdhsa_private_segment_fixed_size 0
		.amdhsa_kernarg_size 528
		.amdhsa_user_sgpr_count 2
		.amdhsa_user_sgpr_dispatch_ptr 0
		.amdhsa_user_sgpr_queue_ptr 0
		.amdhsa_user_sgpr_kernarg_segment_ptr 1
		.amdhsa_user_sgpr_dispatch_id 0
		.amdhsa_user_sgpr_private_segment_size 0
		.amdhsa_wavefront_size32 1
		.amdhsa_uses_dynamic_stack 0
		.amdhsa_enable_private_segment 0
		.amdhsa_system_sgpr_workgroup_id_x 1
		.amdhsa_system_sgpr_workgroup_id_y 0
		.amdhsa_system_sgpr_workgroup_id_z 0
		.amdhsa_system_sgpr_workgroup_info 0
		.amdhsa_system_vgpr_workitem_id 0
		.amdhsa_next_free_vgpr 22
		.amdhsa_next_free_sgpr 90
		.amdhsa_reserve_vcc 1
		.amdhsa_float_round_mode_32 0
		.amdhsa_float_round_mode_16_64 0
		.amdhsa_float_denorm_mode_32 3
		.amdhsa_float_denorm_mode_16_64 3
		.amdhsa_fp16_overflow 0
		.amdhsa_workgroup_processor_mode 1
		.amdhsa_memory_ordered 1
		.amdhsa_forward_progress 1
		.amdhsa_inst_pref_size 26
		.amdhsa_round_robin_scheduling 0
		.amdhsa_exception_fp_ieee_invalid_op 0
		.amdhsa_exception_fp_denorm_src 0
		.amdhsa_exception_fp_ieee_div_zero 0
		.amdhsa_exception_fp_ieee_overflow 0
		.amdhsa_exception_fp_ieee_underflow 0
		.amdhsa_exception_fp_ieee_inexact 0
		.amdhsa_exception_int_div_zero 0
	.end_amdhsa_kernel
	.text
.Lfunc_end87:
	.size	naive_conv_ab_nonpacked_bwd_ncdhw_float_double_float_1, .Lfunc_end87-naive_conv_ab_nonpacked_bwd_ncdhw_float_double_float_1
                                        ; -- End function
	.set naive_conv_ab_nonpacked_bwd_ncdhw_float_double_float_1.num_vgpr, 22
	.set naive_conv_ab_nonpacked_bwd_ncdhw_float_double_float_1.num_agpr, 0
	.set naive_conv_ab_nonpacked_bwd_ncdhw_float_double_float_1.numbered_sgpr, 90
	.set naive_conv_ab_nonpacked_bwd_ncdhw_float_double_float_1.num_named_barrier, 0
	.set naive_conv_ab_nonpacked_bwd_ncdhw_float_double_float_1.private_seg_size, 0
	.set naive_conv_ab_nonpacked_bwd_ncdhw_float_double_float_1.uses_vcc, 1
	.set naive_conv_ab_nonpacked_bwd_ncdhw_float_double_float_1.uses_flat_scratch, 0
	.set naive_conv_ab_nonpacked_bwd_ncdhw_float_double_float_1.has_dyn_sized_stack, 0
	.set naive_conv_ab_nonpacked_bwd_ncdhw_float_double_float_1.has_recursion, 0
	.set naive_conv_ab_nonpacked_bwd_ncdhw_float_double_float_1.has_indirect_call, 0
	.section	.AMDGPU.csdata,"",@progbits
; Kernel info:
; codeLenInByte = 3216
; TotalNumSgprs: 92
; NumVgprs: 22
; ScratchSize: 0
; MemoryBound: 0
; FloatMode: 240
; IeeeMode: 1
; LDSByteSize: 0 bytes/workgroup (compile time only)
; SGPRBlocks: 0
; VGPRBlocks: 2
; NumSGPRsForWavesPerEU: 92
; NumVGPRsForWavesPerEU: 22
; Occupancy: 16
; WaveLimiterHint : 1
; COMPUTE_PGM_RSRC2:SCRATCH_EN: 0
; COMPUTE_PGM_RSRC2:USER_SGPR: 2
; COMPUTE_PGM_RSRC2:TRAP_HANDLER: 0
; COMPUTE_PGM_RSRC2:TGID_X_EN: 1
; COMPUTE_PGM_RSRC2:TGID_Y_EN: 0
; COMPUTE_PGM_RSRC2:TGID_Z_EN: 0
; COMPUTE_PGM_RSRC2:TIDIG_COMP_CNT: 0
	.text
	.protected	naive_conv_ab_packed_bwd_ncdhw_half_double_half_0 ; -- Begin function naive_conv_ab_packed_bwd_ncdhw_half_double_half_0
	.globl	naive_conv_ab_packed_bwd_ncdhw_half_double_half_0
	.p2align	8
	.type	naive_conv_ab_packed_bwd_ncdhw_half_double_half_0,@function
naive_conv_ab_packed_bwd_ncdhw_half_double_half_0: ; @naive_conv_ab_packed_bwd_ncdhw_half_double_half_0
; %bb.0:
	s_load_b512 s[4:19], s[0:1], 0xb8
	s_mov_b32 s25, exec_lo
	s_wait_kmcnt 0x0
	s_abs_i32 s3, s9
	s_mul_i32 s50, s6, s5
	s_cvt_f32_u32 s2, s3
	s_mul_i32 s33, s50, s4
	s_delay_alu instid0(SALU_CYCLE_2) | instskip(NEXT) | instid1(TRANS32_DEP_1)
	v_rcp_iflag_f32_e32 v1, s2
	v_readfirstlane_b32 s2, v1
	s_mul_f32 s2, s2, 0x4f7ffffe
	s_wait_alu 0xfffe
	s_delay_alu instid0(SALU_CYCLE_2) | instskip(SKIP_2) | instid1(SALU_CYCLE_1)
	s_cvt_u32_f32 s20, s2
	s_sub_co_i32 s2, 0, s3
	s_wait_alu 0xfffe
	s_mul_i32 s2, s2, s20
	s_wait_alu 0xfffe
	s_mul_hi_u32 s21, s20, s2
	s_abs_i32 s2, ttmp9
	s_add_co_i32 s20, s20, s21
	s_wait_alu 0xfffe
	s_mul_hi_u32 s20, s2, s20
	s_delay_alu instid0(SALU_CYCLE_1) | instskip(SKIP_2) | instid1(SALU_CYCLE_1)
	s_mul_i32 s21, s20, s3
	s_add_co_i32 s22, s20, 1
	s_sub_co_i32 s21, s2, s21
	s_sub_co_i32 s23, s21, s3
	s_cmp_ge_u32 s21, s3
	s_cselect_b32 s20, s22, s20
	s_cselect_b32 s21, s23, s21
	s_add_co_i32 s22, s20, 1
	s_cmp_ge_u32 s21, s3
	s_mul_i32 s21, s9, s7
	s_cselect_b32 s22, s22, s20
	s_abs_i32 s20, s7
	s_abs_i32 s7, s21
	s_cvt_f32_u32 s3, s20
	s_cvt_f32_u32 s23, s7
	s_wait_alu 0xfffe
	s_delay_alu instid0(SALU_CYCLE_1) | instskip(NEXT) | instid1(SALU_CYCLE_1)
	v_rcp_iflag_f32_e32 v1, s3
	v_rcp_iflag_f32_e32 v2, s23
	s_mov_b32 s3, 0
	s_delay_alu instid0(TRANS32_DEP_2) | instskip(NEXT) | instid1(TRANS32_DEP_1)
	v_readfirstlane_b32 s24, v1
	v_readfirstlane_b32 s23, v2
	v_cmpx_gt_i32_e64 s33, v0
	s_cbranch_execz .LBB88_38
; %bb.1:
	s_mul_f32 s24, s24, 0x4f7ffffe
	s_ashr_i32 s26, ttmp9, 31
	s_ashr_i32 s47, s9, 31
	s_mul_f32 s28, s23, 0x4f7ffffe
	s_cvt_u32_f32 s24, s24
	s_sub_co_i32 s25, 0, s20
	s_xor_b32 s27, s26, s47
	s_cvt_u32_f32 s28, s28
	s_xor_b32 s22, s22, s27
	s_mul_i32 s25, s25, s24
	s_wait_alu 0xfffe
	s_sub_co_i32 s27, s22, s27
	s_mul_hi_u32 s23, s24, s25
	s_sub_co_i32 s29, 0, s7
	s_abs_i32 s22, s27
	s_wait_alu 0xfffe
	s_add_co_i32 s24, s24, s23
	s_mov_b32 s23, s3
	s_mov_b32 s25, s3
	s_mul_i32 s29, s29, s28
	s_wait_alu 0xfffe
	s_mul_u64 s[24:25], s[22:23], s[24:25]
	s_mul_hi_u32 s23, s28, s29
	s_ashr_i32 s30, s27, 31
	s_wait_alu 0xfffe
	s_add_co_i32 s24, s28, s23
	s_mul_i32 s23, s25, s20
	s_mul_i32 s27, s27, s9
	s_wait_alu 0xfffe
	s_sub_co_i32 s22, s22, s23
	s_ashr_i32 s21, s21, 31
	s_sub_co_i32 s48, ttmp9, s27
	s_wait_alu 0xfffe
	s_sub_co_i32 s23, s22, s20
	s_cmp_ge_u32 s22, s20
	s_mov_b32 s25, s3
	s_wait_alu 0xfffe
	s_cselect_b32 s27, s23, s22
	s_mul_u64 s[22:23], s[2:3], s[24:25]
	s_clause 0x1
	s_load_b64 s[34:35], s[0:1], 0x108
	s_load_b32 s51, s[0:1], 0x11c
	s_sub_co_i32 s22, s27, s20
	s_cmp_ge_u32 s27, s20
	s_mov_b32 s36, s5
	s_wait_alu 0xfffe
	s_cselect_b32 s20, s22, s27
	s_xor_b32 s22, s26, s21
	s_xor_b32 s20, s20, s30
	s_mov_b32 s46, s9
	s_sub_co_i32 s42, s20, s30
	s_mul_i32 s20, s23, s7
	s_clause 0x1
	s_load_b128 s[28:31], s[0:1], 0xf8
	s_load_b64 s[62:63], s[0:1], 0x20
	s_sub_co_i32 s2, s2, s20
	s_add_co_i32 s20, s23, 1
	s_wait_alu 0xfffe
	s_sub_co_i32 s21, s2, s7
	s_cmp_ge_u32 s2, s7
	v_dual_mov_b32 v9, 0 :: v_dual_mov_b32 v10, 0x7e00
	s_cselect_b32 s20, s20, s23
	s_cselect_b32 s2, s21, s2
	s_add_co_i32 s21, s20, 1
	s_wait_alu 0xfffe
	s_cmp_ge_u32 s2, s7
	s_cselect_b32 s2, s21, s20
	s_wait_kmcnt 0x0
	s_mul_i32 s20, s35, s9
	s_ashr_i32 s43, s42, 31
	s_ashr_i32 s21, s20, 31
	s_wait_alu 0xfffe
	s_xor_b32 s2, s2, s22
	s_mul_u64 s[40:41], s[42:43], s[20:21]
	s_ashr_i32 s21, s4, 31
	s_mov_b32 s20, s4
	s_ashr_i32 s37, s5, 31
	s_wait_alu 0xfffe
	s_sub_co_i32 s38, s2, s22
	s_mul_u64 s[52:53], s[36:37], s[20:21]
	s_load_b256 s[20:27], s[0:1], 0x0
	s_ashr_i32 s39, s38, 31
	s_ashr_i32 s49, s48, 31
	s_mul_u64 s[44:45], s[38:39], s[46:47]
	s_add_nc_u64 s[40:41], s[40:41], s[48:49]
	s_ashr_i32 s7, s6, 31
	s_add_nc_u64 s[40:41], s[40:41], s[44:45]
	s_mul_u64 s[44:45], s[52:53], s[6:7]
	s_mul_i32 s52, s35, s8
	s_mul_u64 s[40:41], s[44:45], s[40:41]
	s_ashr_i32 s53, s52, 31
	s_ashr_i32 s9, s8, 31
	s_mul_u64 s[44:45], s[42:43], s[52:53]
	s_ashr_i32 s43, s12, 31
	s_mov_b32 s42, s12
	s_lshl_b64 s[58:59], s[40:41], 1
	s_mul_u64 s[60:61], s[38:39], s[8:9]
	s_ashr_i32 s39, s10, 31
	s_mov_b32 s38, s10
	s_ashr_i32 s41, s11, 31
	s_wait_kmcnt 0x0
	v_cmp_neq_f64_e64 s2, s[24:25], 1.0
	v_cmp_neq_f64_e64 s12, s[26:27], 0
	s_mov_b32 s40, s11
	s_add_nc_u64 s[54:55], s[60:61], s[44:45]
	s_mul_u64 s[52:53], s[40:41], s[38:39]
	s_ashr_i32 s11, s30, 31
	s_mul_u64 s[52:53], s[52:53], s[42:43]
	s_ashr_i32 s45, s31, 31
	;; [unrolled: 2-line block ×3, first 2 shown]
	s_lshl_b64 s[52:53], s[52:53], 1
	s_cmp_gt_i32 s8, 0
	s_mov_b32 s44, s31
	s_cselect_b32 s9, -1, 0
	s_cmp_gt_i32 s30, 0
	s_mov_b32 s10, s30
	s_cselect_b32 s37, -1, 0
	s_cmp_gt_i32 s31, 0
	s_cselect_b32 s54, -1, 0
	s_cmp_gt_i32 s34, 0
	s_cselect_b32 s55, -1, 0
	s_abs_i32 s56, s6
	s_abs_i32 s57, s5
	s_cvt_f32_u32 s0, s56
	s_add_nc_u64 s[4:5], s[20:21], s[58:59]
	s_abs_i32 s58, s50
	s_add_nc_u64 s[20:21], s[62:63], s[52:53]
	v_rcp_iflag_f32_e32 v1, s0
	s_cvt_f32_u32 s0, s57
	s_cvt_f32_u32 s31, s58
	s_abs_i32 s62, s14
	s_abs_i32 s65, s15
	s_wait_alu 0xfffe
	v_rcp_iflag_f32_e32 v2, s0
	s_mul_u64 s[0:1], s[60:61], s[46:47]
	s_abs_i32 s61, s13
	s_and_b32 s60, s51, 0xffff
	s_sub_co_i32 s51, 0, s57
	v_readfirstlane_b32 s30, v1
	v_rcp_iflag_f32_e32 v1, s31
	s_or_b32 s59, s2, s12
	s_cvt_f32_u32 s31, s61
	s_ashr_i32 s68, s13, 31
	v_readfirstlane_b32 s12, v2
	s_mul_f32 s2, s30, 0x4f7ffffe
	s_sub_co_i32 s30, 0, s56
	s_ashr_i32 s70, s14, 31
	s_wait_alu 0xfffe
	s_add_nc_u64 s[0:1], s[0:1], s[48:49]
	s_mul_f32 s12, s12, 0x4f7ffffe
	v_readfirstlane_b32 s52, v1
	v_rcp_iflag_f32_e32 v1, s31
	s_cvt_f32_u32 s31, s62
	s_cvt_u32_f32 s12, s12
	s_cvt_u32_f32 s2, s2
	s_mul_f32 s52, s52, 0x4f7ffffe
	s_wait_alu 0xfffe
	v_rcp_iflag_f32_e32 v2, s31
	s_mul_i32 s51, s51, s12
	s_mul_i32 s30, s30, s2
	s_mul_hi_u32 s51, s12, s51
	s_cvt_f32_u32 s31, s65
	s_wait_alu 0xfffe
	s_mul_hi_u32 s30, s2, s30
	s_add_co_i32 s64, s12, s51
	v_readfirstlane_b32 s12, v1
	s_wait_alu 0xfffe
	s_add_co_i32 s63, s2, s30
	s_cvt_u32_f32 s2, s52
	v_rcp_iflag_f32_e32 v1, s31
	s_sub_co_i32 s30, 0, s58
	s_mul_f32 s12, s12, 0x4f7ffffe
	s_wait_alu 0xfffe
	s_mul_i32 s30, s30, s2
	v_readfirstlane_b32 s51, v2
	s_wait_alu 0xfffe
	s_mul_hi_u32 s30, s2, s30
	s_sub_co_i32 s31, 0, s62
	s_wait_alu 0xfffe
	s_add_co_i32 s67, s2, s30
	s_cvt_u32_f32 s2, s12
	s_mul_f32 s12, s51, 0x4f7ffffe
	s_sub_co_i32 s30, 0, s61
	v_readfirstlane_b32 s13, v1
	s_wait_alu 0xfffe
	s_mul_i32 s30, s30, s2
	s_cvt_u32_f32 s12, s12
	s_wait_alu 0xfffe
	s_mul_hi_u32 s30, s2, s30
	s_ashr_i32 s66, s50, 31
	s_wait_alu 0xfffe
	s_add_co_i32 s69, s2, s30
	s_mul_f32 s2, s13, 0x4f7ffffe
	s_mul_i32 s31, s31, s12
	s_wait_alu 0xfffe
	s_mul_hi_u32 s13, s12, s31
	s_cvt_u32_f32 s2, s2
	s_add_co_i32 s71, s12, s13
	s_mul_u64 s[30:31], s[34:35], s[44:45]
	s_sub_co_i32 s12, 0, s65
	s_ashr_i32 s45, s15, 31
	s_wait_alu 0xfffe
	s_mul_i32 s14, s12, s2
	s_mul_u64 s[12:13], s[30:31], s[10:11]
	s_mul_hi_u32 s11, s2, s14
	s_mul_u64 s[0:1], s[12:13], s[0:1]
	s_mul_u64 s[14:15], s[12:13], s[46:47]
	s_wait_alu 0xfffe
	s_lshl_b64 s[0:1], s[0:1], 1
	s_add_co_i32 s11, s2, s11
	s_wait_alu 0xfffe
	s_add_nc_u64 s[12:13], s[22:23], s[0:1]
	s_lshl_b64 s[14:15], s[14:15], 1
	s_lshl_b64 s[22:23], s[30:31], 1
	;; [unrolled: 1-line block ×3, first 2 shown]
	s_mov_b32 s35, 0
	s_branch .LBB88_3
.LBB88_2:                               ;   in Loop: Header=BB88_3 Depth=1
	v_add_nc_u32_e32 v0, s60, v0
	s_delay_alu instid0(VALU_DEP_1) | instskip(SKIP_1) | instid1(SALU_CYCLE_1)
	v_cmp_le_i32_e32 vcc_lo, s33, v0
	s_or_b32 s35, vcc_lo, s35
	s_and_not1_b32 exec_lo, exec_lo, s35
	s_cbranch_execz .LBB88_38
.LBB88_3:                               ; =>This Loop Header: Depth=1
                                        ;     Child Loop BB88_6 Depth 2
                                        ;       Child Loop BB88_9 Depth 3
                                        ;         Child Loop BB88_18 Depth 4
                                        ;           Child Loop BB88_25 Depth 5
	v_sub_nc_u32_e32 v1, 0, v0
	s_delay_alu instid0(VALU_DEP_1) | instskip(NEXT) | instid1(VALU_DEP_1)
	v_max_i32_e32 v1, v0, v1
	v_mul_hi_u32 v2, v1, s63
	s_delay_alu instid0(VALU_DEP_1) | instskip(NEXT) | instid1(VALU_DEP_1)
	v_mul_lo_u32 v3, v2, s56
	v_sub_nc_u32_e32 v3, v1, v3
	s_delay_alu instid0(VALU_DEP_1) | instskip(SKIP_2) | instid1(VALU_DEP_2)
	v_subrev_nc_u32_e32 v5, s56, v3
	v_cmp_le_u32_e32 vcc_lo, s56, v3
	s_wait_alu 0xfffd
	v_dual_cndmask_b32 v3, v3, v5 :: v_dual_add_nc_u32 v4, 1, v2
	s_delay_alu instid0(VALU_DEP_1) | instskip(SKIP_1) | instid1(VALU_DEP_3)
	v_cndmask_b32_e32 v2, v2, v4, vcc_lo
	v_ashrrev_i32_e32 v4, 31, v0
	v_cmp_le_u32_e32 vcc_lo, s56, v3
	s_delay_alu instid0(VALU_DEP_3) | instskip(NEXT) | instid1(VALU_DEP_3)
	v_add_nc_u32_e32 v5, 1, v2
	v_xor_b32_e32 v6, s7, v4
	s_wait_alu 0xfffd
	s_delay_alu instid0(VALU_DEP_2) | instskip(SKIP_1) | instid1(VALU_DEP_1)
	v_cndmask_b32_e32 v2, v2, v5, vcc_lo
	v_mul_hi_u32 v5, v1, s67
	v_mul_lo_u32 v7, v5, s58
	s_delay_alu instid0(VALU_DEP_1) | instskip(NEXT) | instid1(VALU_DEP_1)
	v_sub_nc_u32_e32 v1, v1, v7
	v_subrev_nc_u32_e32 v7, s58, v1
	v_cmp_le_u32_e32 vcc_lo, s58, v1
	s_wait_alu 0xfffd
	s_delay_alu instid0(VALU_DEP_2) | instskip(SKIP_2) | instid1(VALU_DEP_2)
	v_cndmask_b32_e32 v1, v1, v7, vcc_lo
	v_xor_b32_e32 v2, v2, v6
	v_xor_b32_e32 v7, s66, v4
	v_sub_nc_u32_e32 v2, v2, v6
	s_delay_alu instid0(VALU_DEP_1) | instskip(NEXT) | instid1(VALU_DEP_1)
	v_sub_nc_u32_e32 v3, 0, v2
	v_max_i32_e32 v3, v2, v3
	s_delay_alu instid0(VALU_DEP_1) | instskip(NEXT) | instid1(VALU_DEP_1)
	v_mul_hi_u32 v6, v3, s64
	v_mul_lo_u32 v6, v6, s57
	s_delay_alu instid0(VALU_DEP_1) | instskip(NEXT) | instid1(VALU_DEP_1)
	v_sub_nc_u32_e32 v3, v3, v6
	v_subrev_nc_u32_e32 v8, s57, v3
	v_cmp_le_u32_e64 s0, s57, v3
	s_wait_alu 0xf1ff
	s_delay_alu instid0(VALU_DEP_1) | instskip(NEXT) | instid1(VALU_DEP_1)
	v_cndmask_b32_e64 v3, v3, v8, s0
	v_subrev_nc_u32_e32 v4, s57, v3
	v_add_nc_u32_e32 v6, 1, v5
	s_delay_alu instid0(VALU_DEP_1) | instskip(SKIP_1) | instid1(VALU_DEP_2)
	v_cndmask_b32_e32 v5, v5, v6, vcc_lo
	v_cmp_le_u32_e32 vcc_lo, s58, v1
	v_add_nc_u32_e32 v6, 1, v5
	s_wait_alu 0xfffd
	s_delay_alu instid0(VALU_DEP_1) | instskip(SKIP_3) | instid1(VALU_DEP_4)
	v_cndmask_b32_e32 v1, v5, v6, vcc_lo
	v_cmp_le_u32_e32 vcc_lo, s57, v3
	v_ashrrev_i32_e32 v5, 31, v2
	v_mul_lo_u32 v2, v2, s6
	v_xor_b32_e32 v1, v1, v7
	s_wait_alu 0xfffd
	v_cndmask_b32_e32 v3, v3, v4, vcc_lo
	s_and_not1_b32 vcc_lo, exec_lo, s9
	s_delay_alu instid0(VALU_DEP_2) | instskip(NEXT) | instid1(VALU_DEP_2)
	v_sub_nc_u32_e32 v11, v1, v7
	v_xor_b32_e32 v4, v3, v5
	v_sub_nc_u32_e32 v3, v0, v2
	s_delay_alu instid0(VALU_DEP_2)
	v_sub_nc_u32_e32 v4, v4, v5
	s_wait_alu 0xfffe
	s_cbranch_vccnz .LBB88_33
; %bb.4:                                ;   in Loop: Header=BB88_3 Depth=1
	v_dual_mov_b32 v1, 0 :: v_dual_add_nc_u32 v12, s19, v11
	s_delay_alu instid0(VALU_DEP_2)
	v_dual_mov_b32 v2, 0 :: v_dual_add_nc_u32 v13, s28, v4
	v_add_nc_u32_e32 v14, s29, v3
	s_mov_b32 s2, 0
	s_mov_b64 s[0:1], s[12:13]
	s_branch .LBB88_6
.LBB88_5:                               ;   in Loop: Header=BB88_6 Depth=2
	s_add_co_i32 s2, s2, 1
	s_add_nc_u64 s[0:1], s[0:1], s[14:15]
	s_wait_alu 0xfffe
	s_cmp_eq_u32 s2, s8
	s_cbranch_scc1 .LBB88_34
.LBB88_6:                               ;   Parent Loop BB88_3 Depth=1
                                        ; =>  This Loop Header: Depth=2
                                        ;       Child Loop BB88_9 Depth 3
                                        ;         Child Loop BB88_18 Depth 4
                                        ;           Child Loop BB88_25 Depth 5
	s_and_not1_b32 vcc_lo, exec_lo, s37
	s_wait_alu 0xfffe
	s_cbranch_vccnz .LBB88_5
; %bb.7:                                ;   in Loop: Header=BB88_6 Depth=2
	s_mul_u64 s[46:47], s[2:3], s[38:39]
	s_mov_b32 s72, 0
	s_mov_b64 s[48:49], s[0:1]
	s_branch .LBB88_9
.LBB88_8:                               ;   in Loop: Header=BB88_9 Depth=3
	s_add_co_i32 s72, s72, 1
	s_add_nc_u64 s[48:49], s[48:49], s[22:23]
	s_cmp_eq_u32 s72, s10
	s_cbranch_scc1 .LBB88_5
.LBB88_9:                               ;   Parent Loop BB88_3 Depth=1
                                        ;     Parent Loop BB88_6 Depth=2
                                        ; =>    This Loop Header: Depth=3
                                        ;         Child Loop BB88_18 Depth 4
                                        ;           Child Loop BB88_25 Depth 5
	s_mul_i32 s50, s16, s72
	s_mov_b32 s51, exec_lo
	s_wait_alu 0xfffe
	v_subrev_nc_u32_e32 v16, s50, v12
	s_mov_b32 s50, 0
                                        ; implicit-def: $vgpr7
                                        ; implicit-def: $vgpr8
	s_delay_alu instid0(VALU_DEP_1) | instskip(SKIP_1) | instid1(VALU_DEP_2)
	v_sub_nc_u32_e32 v6, 0, v16
	v_ashrrev_i32_e32 v5, 31, v16
	v_max_i32_e32 v15, v16, v6
                                        ; implicit-def: $vgpr6
	v_cmpx_lt_i32_e32 -1, v16
	s_xor_b32 s51, exec_lo, s51
	s_cbranch_execnz .LBB88_13
; %bb.10:                               ;   in Loop: Header=BB88_9 Depth=3
	s_wait_alu 0xfffe
	s_and_not1_saveexec_b32 s51, s51
	s_cbranch_execnz .LBB88_14
.LBB88_11:                              ;   in Loop: Header=BB88_9 Depth=3
	s_wait_alu 0xfffe
	s_or_b32 exec_lo, exec_lo, s51
	v_mov_b32_e32 v15, 1
	s_and_saveexec_b32 s51, s50
	s_cbranch_execnz .LBB88_15
.LBB88_12:                              ;   in Loop: Header=BB88_9 Depth=3
	s_wait_alu 0xfffe
	s_or_b32 exec_lo, exec_lo, s51
	s_delay_alu instid0(SALU_CYCLE_1)
	s_and_not1_b32 vcc_lo, exec_lo, s54
	s_wait_alu 0xfffe
	s_cbranch_vccz .LBB88_16
	s_branch .LBB88_8
.LBB88_13:                              ;   in Loop: Header=BB88_9 Depth=3
	s_delay_alu instid0(VALU_DEP_2) | instskip(NEXT) | instid1(VALU_DEP_1)
	v_mul_hi_u32 v6, v15, s69
	v_mul_lo_u32 v5, v6, s61
	s_delay_alu instid0(VALU_DEP_1) | instskip(SKIP_1) | instid1(VALU_DEP_2)
	v_sub_nc_u32_e32 v7, v15, v5
	v_ashrrev_i32_e32 v5, 31, v16
	v_subrev_nc_u32_e32 v8, s61, v7
	v_cmp_le_u32_e32 vcc_lo, s61, v7
	s_wait_alu 0xfffd
	s_delay_alu instid0(VALU_DEP_2) | instskip(NEXT) | instid1(VALU_DEP_1)
	v_cndmask_b32_e32 v15, v7, v8, vcc_lo
	v_subrev_nc_u32_e32 v17, s61, v15
	v_cmp_le_u32_e32 vcc_lo, s61, v15
	s_wait_alu 0xfffd
	s_delay_alu instid0(VALU_DEP_2) | instskip(NEXT) | instid1(VALU_DEP_1)
	v_cndmask_b32_e32 v15, v15, v17, vcc_lo
	v_xor_b32_e32 v15, v15, v5
	s_delay_alu instid0(VALU_DEP_1) | instskip(NEXT) | instid1(VALU_DEP_1)
	v_sub_nc_u32_e32 v15, v15, v5
	v_cmp_ne_u32_e32 vcc_lo, 0, v15
                                        ; implicit-def: $vgpr15
	s_and_b32 s50, vcc_lo, exec_lo
	s_wait_alu 0xfffe
	s_and_not1_saveexec_b32 s51, s51
	s_cbranch_execz .LBB88_11
.LBB88_14:                              ;   in Loop: Header=BB88_9 Depth=3
	v_mul_hi_u32 v6, v15, s69
	s_or_b32 s50, s50, exec_lo
	s_delay_alu instid0(VALU_DEP_1) | instskip(NEXT) | instid1(VALU_DEP_1)
	v_mul_lo_u32 v7, v6, s61
	v_sub_nc_u32_e32 v7, v15, v7
	s_delay_alu instid0(VALU_DEP_1)
	v_subrev_nc_u32_e32 v8, s61, v7
	s_wait_alu 0xfffe
	s_or_b32 exec_lo, exec_lo, s51
	v_mov_b32_e32 v15, 1
	s_and_saveexec_b32 s51, s50
	s_cbranch_execz .LBB88_12
.LBB88_15:                              ;   in Loop: Header=BB88_9 Depth=3
	v_mov_b32_e32 v15, 0
	s_wait_alu 0xfffe
	s_or_b32 exec_lo, exec_lo, s51
	s_delay_alu instid0(SALU_CYCLE_1)
	s_and_not1_b32 vcc_lo, exec_lo, s54
	s_wait_alu 0xfffe
	s_cbranch_vccnz .LBB88_8
.LBB88_16:                              ;   in Loop: Header=BB88_9 Depth=3
	v_cmp_le_u32_e32 vcc_lo, s61, v7
	v_add_nc_u32_e32 v16, 1, v6
	v_xor_b32_e32 v5, s68, v5
	s_mov_b32 s73, 0
	s_mov_b64 s[50:51], s[48:49]
	s_wait_alu 0xfffd
	v_cndmask_b32_e32 v7, v7, v8, vcc_lo
	v_cndmask_b32_e32 v6, v6, v16, vcc_lo
	s_delay_alu instid0(VALU_DEP_2) | instskip(NEXT) | instid1(VALU_DEP_2)
	v_cmp_le_u32_e32 vcc_lo, s61, v7
	v_add_nc_u32_e32 v8, 1, v6
	s_wait_alu 0xfffd
	s_delay_alu instid0(VALU_DEP_1) | instskip(NEXT) | instid1(VALU_DEP_1)
	v_cndmask_b32_e32 v6, v6, v8, vcc_lo
	v_xor_b32_e32 v6, v6, v5
	s_delay_alu instid0(VALU_DEP_1) | instskip(NEXT) | instid1(VALU_DEP_1)
	v_sub_nc_u32_e32 v7, v6, v5
	v_ashrrev_i32_e32 v5, 31, v7
	v_add_co_u32 v6, vcc_lo, s46, v7
	s_wait_alu 0xfffd
	s_delay_alu instid0(VALU_DEP_2) | instskip(NEXT) | instid1(VALU_DEP_2)
	v_add_co_ci_u32_e64 v5, null, s47, v5, vcc_lo
	v_mul_lo_u32 v8, v6, s41
	v_cmp_gt_i32_e32 vcc_lo, s38, v7
	s_delay_alu instid0(VALU_DEP_3) | instskip(SKIP_3) | instid1(VALU_DEP_2)
	v_mul_lo_u32 v16, v5, s40
	v_mad_co_u64_u32 v[5:6], null, v6, s40, 0
	s_wait_alu 0xfffd
	v_cndmask_b32_e32 v15, 0, v15, vcc_lo
	v_add3_u32 v6, v6, v8, v16
	s_branch .LBB88_18
.LBB88_17:                              ;   in Loop: Header=BB88_18 Depth=4
	s_add_co_i32 s73, s73, 1
	s_add_nc_u64 s[50:51], s[50:51], s[30:31]
	s_cmp_eq_u32 s73, s44
	s_cbranch_scc1 .LBB88_8
.LBB88_18:                              ;   Parent Loop BB88_3 Depth=1
                                        ;     Parent Loop BB88_6 Depth=2
                                        ;       Parent Loop BB88_9 Depth=3
                                        ; =>      This Loop Header: Depth=4
                                        ;           Child Loop BB88_25 Depth 5
	s_mul_i32 s52, s17, s73
	s_wait_alu 0xfffe
	v_subrev_nc_u32_e32 v8, s52, v13
	s_delay_alu instid0(VALU_DEP_1) | instskip(SKIP_3) | instid1(VALU_DEP_4)
	v_sub_nc_u32_e32 v16, 0, v8
	v_cmp_gt_i32_e64 s52, 0, v8
	v_cmp_lt_i32_e32 vcc_lo, -1, v8
	v_ashrrev_i32_e32 v7, 31, v8
	v_max_i32_e32 v8, v8, v16
	s_and_saveexec_b32 s53, vcc_lo
	s_cbranch_execnz .LBB88_21
; %bb.19:                               ;   in Loop: Header=BB88_18 Depth=4
	s_wait_alu 0xfffe
	s_or_b32 exec_lo, exec_lo, s53
	v_mov_b32_e32 v16, 1
	s_and_saveexec_b32 s53, s52
	s_cbranch_execnz .LBB88_22
.LBB88_20:                              ;   in Loop: Header=BB88_18 Depth=4
	s_wait_alu 0xfffe
	s_or_b32 exec_lo, exec_lo, s53
	s_delay_alu instid0(SALU_CYCLE_1)
	s_and_not1_b32 vcc_lo, exec_lo, s55
	s_wait_alu 0xfffe
	s_cbranch_vccz .LBB88_23
	s_branch .LBB88_17
.LBB88_21:                              ;   in Loop: Header=BB88_18 Depth=4
	s_delay_alu instid0(VALU_DEP_1) | instskip(SKIP_1) | instid1(VALU_DEP_1)
	v_mul_hi_u32 v16, v8, s71
	s_and_not1_b32 s52, s52, exec_lo
	v_mul_lo_u32 v16, v16, s62
	s_delay_alu instid0(VALU_DEP_1) | instskip(NEXT) | instid1(VALU_DEP_1)
	v_sub_nc_u32_e32 v16, v8, v16
	v_subrev_nc_u32_e32 v17, s62, v16
	v_cmp_le_u32_e32 vcc_lo, s62, v16
	s_wait_alu 0xfffd
	s_delay_alu instid0(VALU_DEP_2) | instskip(NEXT) | instid1(VALU_DEP_1)
	v_cndmask_b32_e32 v16, v16, v17, vcc_lo
	v_subrev_nc_u32_e32 v17, s62, v16
	v_cmp_le_u32_e32 vcc_lo, s62, v16
	s_wait_alu 0xfffd
	s_delay_alu instid0(VALU_DEP_2) | instskip(NEXT) | instid1(VALU_DEP_1)
	v_cndmask_b32_e32 v16, v16, v17, vcc_lo
	v_xor_b32_e32 v16, v16, v7
	s_delay_alu instid0(VALU_DEP_1) | instskip(NEXT) | instid1(VALU_DEP_1)
	v_sub_nc_u32_e32 v16, v16, v7
	v_cmp_ne_u32_e32 vcc_lo, 0, v16
	s_and_b32 s74, vcc_lo, exec_lo
	s_wait_alu 0xfffe
	s_or_b32 s52, s52, s74
	s_or_b32 exec_lo, exec_lo, s53
	v_mov_b32_e32 v16, 1
	s_wait_alu 0xfffe
	s_and_saveexec_b32 s53, s52
	s_cbranch_execz .LBB88_20
.LBB88_22:                              ;   in Loop: Header=BB88_18 Depth=4
	v_mov_b32_e32 v16, 0
	s_wait_alu 0xfffe
	s_or_b32 exec_lo, exec_lo, s53
	s_delay_alu instid0(SALU_CYCLE_1)
	s_and_not1_b32 vcc_lo, exec_lo, s55
	s_wait_alu 0xfffe
	s_cbranch_vccnz .LBB88_17
.LBB88_23:                              ;   in Loop: Header=BB88_18 Depth=4
	v_mul_hi_u32 v17, v8, s71
	v_xor_b32_e32 v7, s70, v7
	s_mov_b64 s[52:53], s[50:51]
	s_mov_b32 s74, s34
	s_delay_alu instid0(VALU_DEP_2) | instskip(NEXT) | instid1(VALU_DEP_1)
	v_mul_lo_u32 v18, v17, s62
	v_sub_nc_u32_e32 v8, v8, v18
	v_add_nc_u32_e32 v18, 1, v17
	s_delay_alu instid0(VALU_DEP_2) | instskip(SKIP_2) | instid1(VALU_DEP_2)
	v_subrev_nc_u32_e32 v19, s62, v8
	v_cmp_le_u32_e32 vcc_lo, s62, v8
	s_wait_alu 0xfffd
	v_dual_cndmask_b32 v17, v17, v18 :: v_dual_cndmask_b32 v8, v8, v19
	s_delay_alu instid0(VALU_DEP_1) | instskip(NEXT) | instid1(VALU_DEP_2)
	v_add_nc_u32_e32 v18, 1, v17
	v_cmp_le_u32_e32 vcc_lo, s62, v8
	s_wait_alu 0xfffd
	s_delay_alu instid0(VALU_DEP_2) | instskip(NEXT) | instid1(VALU_DEP_1)
	v_cndmask_b32_e32 v8, v17, v18, vcc_lo
	v_xor_b32_e32 v8, v8, v7
	s_delay_alu instid0(VALU_DEP_1) | instskip(NEXT) | instid1(VALU_DEP_1)
	v_sub_nc_u32_e32 v17, v8, v7
	v_ashrrev_i32_e32 v7, 31, v17
	v_add_co_u32 v8, vcc_lo, v5, v17
	s_wait_alu 0xfffd
	s_delay_alu instid0(VALU_DEP_2) | instskip(NEXT) | instid1(VALU_DEP_2)
	v_add_co_ci_u32_e64 v18, null, v6, v7, vcc_lo
	v_mul_lo_u32 v19, v8, s43
	v_mad_co_u64_u32 v[7:8], null, v8, s42, 0
	s_delay_alu instid0(VALU_DEP_3) | instskip(SKIP_3) | instid1(VALU_DEP_3)
	v_mul_lo_u32 v18, v18, s42
	v_cmp_gt_i32_e32 vcc_lo, s40, v17
	s_wait_alu 0xfffd
	v_cndmask_b32_e32 v16, 0, v16, vcc_lo
	v_add3_u32 v8, v8, v19, v18
	s_delay_alu instid0(VALU_DEP_2) | instskip(NEXT) | instid1(VALU_DEP_2)
	v_dual_mov_b32 v19, v14 :: v_dual_and_b32 v16, v16, v15
	v_lshlrev_b64_e32 v[7:8], 1, v[7:8]
	s_delay_alu instid0(VALU_DEP_1) | instskip(SKIP_1) | instid1(VALU_DEP_2)
	v_add_co_u32 v17, vcc_lo, s20, v7
	s_wait_alu 0xfffd
	v_add_co_ci_u32_e64 v18, null, s21, v8, vcc_lo
	s_branch .LBB88_25
.LBB88_24:                              ;   in Loop: Header=BB88_25 Depth=5
	s_or_b32 exec_lo, exec_lo, s75
	v_subrev_nc_u32_e32 v19, s18, v19
	s_add_co_i32 s74, s74, -1
	s_wait_alu 0xfffe
	s_add_nc_u64 s[52:53], s[52:53], 2
	s_cmp_eq_u32 s74, 0
	s_cbranch_scc1 .LBB88_17
.LBB88_25:                              ;   Parent Loop BB88_3 Depth=1
                                        ;     Parent Loop BB88_6 Depth=2
                                        ;       Parent Loop BB88_9 Depth=3
                                        ;         Parent Loop BB88_18 Depth=4
                                        ; =>        This Inner Loop Header: Depth=5
	v_sub_nc_u32_e32 v8, 0, v19
	v_ashrrev_i32_e32 v7, 31, v19
	s_mov_b32 s75, 0
	s_mov_b32 s76, exec_lo
                                        ; implicit-def: $vgpr20
                                        ; implicit-def: $vgpr21
	s_delay_alu instid0(VALU_DEP_2)
	v_max_i32_e32 v22, v19, v8
                                        ; implicit-def: $vgpr8
	v_cmpx_lt_i32_e32 -1, v19
	s_xor_b32 s76, exec_lo, s76
	s_cbranch_execnz .LBB88_31
; %bb.26:                               ;   in Loop: Header=BB88_25 Depth=5
	s_and_not1_saveexec_b32 s76, s76
	s_cbranch_execnz .LBB88_32
.LBB88_27:                              ;   in Loop: Header=BB88_25 Depth=5
	s_or_b32 exec_lo, exec_lo, s76
	v_mov_b32_e32 v22, 1
	s_and_saveexec_b32 s76, s75
.LBB88_28:                              ;   in Loop: Header=BB88_25 Depth=5
	v_mov_b32_e32 v22, 0
.LBB88_29:                              ;   in Loop: Header=BB88_25 Depth=5
	s_or_b32 exec_lo, exec_lo, s76
	v_cmp_le_u32_e32 vcc_lo, s65, v20
	v_add_nc_u32_e32 v23, 1, v8
	v_xor_b32_e32 v7, s45, v7
	s_mov_b32 s75, exec_lo
	s_wait_alu 0xfffd
	v_cndmask_b32_e32 v20, v20, v21, vcc_lo
	v_cndmask_b32_e32 v8, v8, v23, vcc_lo
	s_delay_alu instid0(VALU_DEP_2) | instskip(NEXT) | instid1(VALU_DEP_2)
	v_cmp_le_u32_e32 vcc_lo, s65, v20
	v_add_nc_u32_e32 v21, 1, v8
	s_wait_alu 0xfffd
	s_delay_alu instid0(VALU_DEP_1) | instskip(NEXT) | instid1(VALU_DEP_1)
	v_cndmask_b32_e32 v8, v8, v21, vcc_lo
	v_xor_b32_e32 v8, v8, v7
	s_delay_alu instid0(VALU_DEP_1) | instskip(NEXT) | instid1(VALU_DEP_1)
	v_sub_nc_u32_e32 v7, v8, v7
	v_cmp_gt_i32_e32 vcc_lo, s42, v7
	s_wait_alu 0xfffd
	v_cndmask_b32_e32 v8, 0, v22, vcc_lo
	s_delay_alu instid0(VALU_DEP_1) | instskip(NEXT) | instid1(VALU_DEP_1)
	v_and_b32_e32 v8, v16, v8
	v_and_b32_e32 v8, 1, v8
	s_delay_alu instid0(VALU_DEP_1)
	v_cmpx_eq_u32_e32 1, v8
	s_cbranch_execz .LBB88_24
; %bb.30:                               ;   in Loop: Header=BB88_25 Depth=5
	v_ashrrev_i32_e32 v8, 31, v7
	s_delay_alu instid0(VALU_DEP_1) | instskip(NEXT) | instid1(VALU_DEP_1)
	v_lshlrev_b64_e32 v[7:8], 1, v[7:8]
	v_add_co_u32 v7, vcc_lo, v17, v7
	s_wait_alu 0xfffd
	s_delay_alu instid0(VALU_DEP_2)
	v_add_co_ci_u32_e64 v8, null, v18, v8, vcc_lo
	global_load_u16 v7, v[7:8], off
	global_load_u16 v8, v9, s[52:53]
	s_wait_loadcnt 0x1
	v_cvt_f32_f16_e32 v7, v7
	s_wait_loadcnt 0x0
	v_cvt_f32_f16_e32 v20, v8
	s_delay_alu instid0(VALU_DEP_2) | instskip(NEXT) | instid1(VALU_DEP_2)
	v_cvt_f64_f32_e32 v[7:8], v7
	v_cvt_f64_f32_e32 v[20:21], v20
	s_delay_alu instid0(VALU_DEP_1)
	v_fma_f64 v[1:2], v[7:8], v[20:21], v[1:2]
	s_branch .LBB88_24
.LBB88_31:                              ;   in Loop: Header=BB88_25 Depth=5
	s_delay_alu instid0(VALU_DEP_2) | instskip(NEXT) | instid1(VALU_DEP_1)
	v_mul_hi_u32 v8, v22, s11
	v_mul_lo_u32 v7, v8, s65
	s_delay_alu instid0(VALU_DEP_1) | instskip(SKIP_1) | instid1(VALU_DEP_2)
	v_sub_nc_u32_e32 v20, v22, v7
	v_ashrrev_i32_e32 v7, 31, v19
	v_subrev_nc_u32_e32 v21, s65, v20
	v_cmp_le_u32_e32 vcc_lo, s65, v20
	s_wait_alu 0xfffd
	s_delay_alu instid0(VALU_DEP_2) | instskip(NEXT) | instid1(VALU_DEP_1)
	v_cndmask_b32_e32 v22, v20, v21, vcc_lo
	v_subrev_nc_u32_e32 v23, s65, v22
	v_cmp_le_u32_e32 vcc_lo, s65, v22
	s_wait_alu 0xfffd
	s_delay_alu instid0(VALU_DEP_2) | instskip(NEXT) | instid1(VALU_DEP_1)
	v_cndmask_b32_e32 v22, v22, v23, vcc_lo
	v_xor_b32_e32 v22, v22, v7
	s_delay_alu instid0(VALU_DEP_1) | instskip(NEXT) | instid1(VALU_DEP_1)
	v_sub_nc_u32_e32 v22, v22, v7
	v_cmp_ne_u32_e32 vcc_lo, 0, v22
                                        ; implicit-def: $vgpr22
	s_and_b32 s75, vcc_lo, exec_lo
	s_and_not1_saveexec_b32 s76, s76
	s_cbranch_execz .LBB88_27
.LBB88_32:                              ;   in Loop: Header=BB88_25 Depth=5
	v_mul_hi_u32 v8, v22, s11
	s_or_b32 s75, s75, exec_lo
	s_delay_alu instid0(VALU_DEP_1) | instskip(NEXT) | instid1(VALU_DEP_1)
	v_mul_lo_u32 v20, v8, s65
	v_sub_nc_u32_e32 v20, v22, v20
	s_delay_alu instid0(VALU_DEP_1)
	v_subrev_nc_u32_e32 v21, s65, v20
	s_or_b32 exec_lo, exec_lo, s76
	v_mov_b32_e32 v22, 1
	s_and_saveexec_b32 s76, s75
	s_cbranch_execnz .LBB88_28
	s_branch .LBB88_29
.LBB88_33:                              ;   in Loop: Header=BB88_3 Depth=1
	v_mov_b32_e32 v1, 0
	v_mov_b32_e32 v2, 0
.LBB88_34:                              ;   in Loop: Header=BB88_3 Depth=1
	v_ashrrev_i32_e32 v5, 31, v4
	s_and_b32 vcc_lo, exec_lo, s59
	s_mov_b32 s0, -1
	s_delay_alu instid0(VALU_DEP_1) | instskip(SKIP_1) | instid1(VALU_DEP_1)
	v_mad_co_i64_i32 v[5:6], null, v11, s36, v[4:5]
	v_ashrrev_i32_e32 v4, 31, v3
	v_mad_co_u64_u32 v[3:4], null, v5, s6, v[3:4]
	v_mul_lo_u32 v5, v5, s7
	s_delay_alu instid0(VALU_DEP_4) | instskip(NEXT) | instid1(VALU_DEP_1)
	v_mul_lo_u32 v6, v6, s6
	v_add3_u32 v4, v6, v4, v5
	s_delay_alu instid0(VALU_DEP_1)
	v_lshlrev_b64_e32 v[3:4], 1, v[3:4]
	s_wait_alu 0xfffe
	s_cbranch_vccz .LBB88_36
; %bb.35:                               ;   in Loop: Header=BB88_3 Depth=1
	s_delay_alu instid0(VALU_DEP_1) | instskip(SKIP_1) | instid1(VALU_DEP_2)
	v_add_co_u32 v5, vcc_lo, s4, v3
	s_wait_alu 0xfffd
	v_add_co_ci_u32_e64 v6, null, s5, v4, vcc_lo
	s_mov_b32 s0, 0
	global_load_u16 v7, v[5:6], off
	s_wait_loadcnt 0x0
	v_cvt_f32_f16_e32 v7, v7
	s_delay_alu instid0(VALU_DEP_1) | instskip(NEXT) | instid1(VALU_DEP_1)
	v_cvt_f64_f32_e32 v[7:8], v7
	v_mul_f64_e32 v[7:8], s[26:27], v[7:8]
	s_delay_alu instid0(VALU_DEP_1) | instskip(NEXT) | instid1(VALU_DEP_1)
	v_fma_f64 v[7:8], s[24:25], v[1:2], v[7:8]
	v_and_or_b32 v7, 0x1ff, v8, v7
	v_lshrrev_b32_e32 v11, 8, v8
	v_bfe_u32 v12, v8, 20, 11
	v_lshrrev_b32_e32 v8, 16, v8
	s_delay_alu instid0(VALU_DEP_4) | instskip(NEXT) | instid1(VALU_DEP_3)
	v_cmp_ne_u32_e32 vcc_lo, 0, v7
	v_sub_nc_u32_e32 v13, 0x3f1, v12
	s_wait_alu 0xfffd
	v_cndmask_b32_e64 v7, 0, 1, vcc_lo
	s_delay_alu instid0(VALU_DEP_1) | instskip(NEXT) | instid1(VALU_DEP_3)
	v_and_or_b32 v7, 0xffe, v11, v7
	v_med3_i32 v11, v13, 0, 13
	s_delay_alu instid0(VALU_DEP_2) | instskip(NEXT) | instid1(VALU_DEP_1)
	v_or_b32_e32 v13, 0x1000, v7
	v_lshrrev_b32_e32 v14, v11, v13
	s_delay_alu instid0(VALU_DEP_1) | instskip(NEXT) | instid1(VALU_DEP_1)
	v_lshlrev_b32_e32 v11, v11, v14
	v_cmp_ne_u32_e32 vcc_lo, v11, v13
	s_wait_alu 0xfffd
	v_cndmask_b32_e64 v11, 0, 1, vcc_lo
	s_delay_alu instid0(VALU_DEP_1) | instskip(SKIP_1) | instid1(VALU_DEP_1)
	v_or_b32_e32 v11, v14, v11
	v_add_nc_u32_e32 v12, 0xfffffc10, v12
	v_lshl_or_b32 v13, v12, 12, v7
	v_cmp_gt_i32_e32 vcc_lo, 1, v12
	s_wait_alu 0xfffd
	s_delay_alu instid0(VALU_DEP_2) | instskip(NEXT) | instid1(VALU_DEP_1)
	v_cndmask_b32_e32 v11, v13, v11, vcc_lo
	v_and_b32_e32 v13, 7, v11
	v_lshrrev_b32_e32 v11, 2, v11
	s_delay_alu instid0(VALU_DEP_2)
	v_cmp_lt_i32_e32 vcc_lo, 5, v13
	s_wait_alu 0xfffd
	v_cndmask_b32_e64 v14, 0, 1, vcc_lo
	v_cmp_eq_u32_e32 vcc_lo, 3, v13
	s_wait_alu 0xfffd
	v_cndmask_b32_e64 v13, 0, 1, vcc_lo
	v_cmp_ne_u32_e32 vcc_lo, 0, v7
	s_delay_alu instid0(VALU_DEP_2) | instskip(SKIP_3) | instid1(VALU_DEP_3)
	v_or_b32_e32 v13, v13, v14
	s_wait_alu 0xfffd
	v_cndmask_b32_e32 v7, 0x7c00, v10, vcc_lo
	v_cmp_gt_i32_e32 vcc_lo, 31, v12
	v_add_nc_u32_e32 v11, v11, v13
	s_wait_alu 0xfffd
	s_delay_alu instid0(VALU_DEP_1) | instskip(SKIP_2) | instid1(VALU_DEP_2)
	v_cndmask_b32_e32 v11, 0x7c00, v11, vcc_lo
	v_cmp_eq_u32_e32 vcc_lo, 0x40f, v12
	s_wait_alu 0xfffd
	v_cndmask_b32_e32 v7, v11, v7, vcc_lo
	s_delay_alu instid0(VALU_DEP_1)
	v_and_or_b32 v7, 0x8000, v8, v7
	global_store_b16 v[5:6], v7, off
.LBB88_36:                              ;   in Loop: Header=BB88_3 Depth=1
	s_wait_alu 0xfffe
	s_and_not1_b32 vcc_lo, exec_lo, s0
	s_wait_alu 0xfffe
	s_cbranch_vccnz .LBB88_2
; %bb.37:                               ;   in Loop: Header=BB88_3 Depth=1
	v_and_or_b32 v1, 0x1ff, v2, v1
	v_lshrrev_b32_e32 v5, 8, v2
	v_bfe_u32 v6, v2, 20, 11
	v_lshrrev_b32_e32 v2, 16, v2
	s_delay_alu instid0(VALU_DEP_4) | instskip(NEXT) | instid1(VALU_DEP_3)
	v_cmp_ne_u32_e32 vcc_lo, 0, v1
	v_sub_nc_u32_e32 v7, 0x3f1, v6
	s_wait_alu 0xfffd
	v_cndmask_b32_e64 v1, 0, 1, vcc_lo
	s_delay_alu instid0(VALU_DEP_1) | instskip(NEXT) | instid1(VALU_DEP_3)
	v_and_or_b32 v1, 0xffe, v5, v1
	v_med3_i32 v5, v7, 0, 13
	s_delay_alu instid0(VALU_DEP_2) | instskip(NEXT) | instid1(VALU_DEP_1)
	v_or_b32_e32 v7, 0x1000, v1
	v_lshrrev_b32_e32 v8, v5, v7
	s_delay_alu instid0(VALU_DEP_1) | instskip(NEXT) | instid1(VALU_DEP_1)
	v_lshlrev_b32_e32 v5, v5, v8
	v_cmp_ne_u32_e32 vcc_lo, v5, v7
	s_wait_alu 0xfffd
	v_cndmask_b32_e64 v5, 0, 1, vcc_lo
	s_delay_alu instid0(VALU_DEP_1) | instskip(SKIP_1) | instid1(VALU_DEP_1)
	v_or_b32_e32 v5, v8, v5
	v_add_nc_u32_e32 v6, 0xfffffc10, v6
	v_lshl_or_b32 v7, v6, 12, v1
	v_cmp_gt_i32_e32 vcc_lo, 1, v6
	s_wait_alu 0xfffd
	s_delay_alu instid0(VALU_DEP_2) | instskip(NEXT) | instid1(VALU_DEP_1)
	v_cndmask_b32_e32 v5, v7, v5, vcc_lo
	v_and_b32_e32 v7, 7, v5
	v_lshrrev_b32_e32 v5, 2, v5
	s_delay_alu instid0(VALU_DEP_2)
	v_cmp_lt_i32_e32 vcc_lo, 5, v7
	s_wait_alu 0xfffd
	v_cndmask_b32_e64 v8, 0, 1, vcc_lo
	v_cmp_eq_u32_e32 vcc_lo, 3, v7
	s_wait_alu 0xfffd
	v_cndmask_b32_e64 v7, 0, 1, vcc_lo
	v_cmp_ne_u32_e32 vcc_lo, 0, v1
	s_delay_alu instid0(VALU_DEP_2) | instskip(SKIP_3) | instid1(VALU_DEP_3)
	v_or_b32_e32 v7, v7, v8
	s_wait_alu 0xfffd
	v_cndmask_b32_e32 v1, 0x7c00, v10, vcc_lo
	v_cmp_gt_i32_e32 vcc_lo, 31, v6
	v_add_nc_u32_e32 v5, v5, v7
	s_wait_alu 0xfffd
	s_delay_alu instid0(VALU_DEP_1) | instskip(SKIP_2) | instid1(VALU_DEP_2)
	v_cndmask_b32_e32 v5, 0x7c00, v5, vcc_lo
	v_cmp_eq_u32_e32 vcc_lo, 0x40f, v6
	s_wait_alu 0xfffd
	v_cndmask_b32_e32 v1, v5, v1, vcc_lo
	s_delay_alu instid0(VALU_DEP_1)
	v_and_or_b32 v5, 0x8000, v2, v1
	v_add_co_u32 v1, vcc_lo, s4, v3
	s_wait_alu 0xfffd
	v_add_co_ci_u32_e64 v2, null, s5, v4, vcc_lo
	global_store_b16 v[1:2], v5, off
	s_branch .LBB88_2
.LBB88_38:
	s_endpgm
	.section	.rodata,"a",@progbits
	.p2align	6, 0x0
	.amdhsa_kernel naive_conv_ab_packed_bwd_ncdhw_half_double_half_0
		.amdhsa_group_segment_fixed_size 0
		.amdhsa_private_segment_fixed_size 0
		.amdhsa_kernarg_size 528
		.amdhsa_user_sgpr_count 2
		.amdhsa_user_sgpr_dispatch_ptr 0
		.amdhsa_user_sgpr_queue_ptr 0
		.amdhsa_user_sgpr_kernarg_segment_ptr 1
		.amdhsa_user_sgpr_dispatch_id 0
		.amdhsa_user_sgpr_private_segment_size 0
		.amdhsa_wavefront_size32 1
		.amdhsa_uses_dynamic_stack 0
		.amdhsa_enable_private_segment 0
		.amdhsa_system_sgpr_workgroup_id_x 1
		.amdhsa_system_sgpr_workgroup_id_y 0
		.amdhsa_system_sgpr_workgroup_id_z 0
		.amdhsa_system_sgpr_workgroup_info 0
		.amdhsa_system_vgpr_workitem_id 0
		.amdhsa_next_free_vgpr 24
		.amdhsa_next_free_sgpr 77
		.amdhsa_reserve_vcc 1
		.amdhsa_float_round_mode_32 0
		.amdhsa_float_round_mode_16_64 0
		.amdhsa_float_denorm_mode_32 3
		.amdhsa_float_denorm_mode_16_64 3
		.amdhsa_fp16_overflow 0
		.amdhsa_workgroup_processor_mode 1
		.amdhsa_memory_ordered 1
		.amdhsa_forward_progress 1
		.amdhsa_inst_pref_size 30
		.amdhsa_round_robin_scheduling 0
		.amdhsa_exception_fp_ieee_invalid_op 0
		.amdhsa_exception_fp_denorm_src 0
		.amdhsa_exception_fp_ieee_div_zero 0
		.amdhsa_exception_fp_ieee_overflow 0
		.amdhsa_exception_fp_ieee_underflow 0
		.amdhsa_exception_fp_ieee_inexact 0
		.amdhsa_exception_int_div_zero 0
	.end_amdhsa_kernel
	.text
.Lfunc_end88:
	.size	naive_conv_ab_packed_bwd_ncdhw_half_double_half_0, .Lfunc_end88-naive_conv_ab_packed_bwd_ncdhw_half_double_half_0
                                        ; -- End function
	.set naive_conv_ab_packed_bwd_ncdhw_half_double_half_0.num_vgpr, 24
	.set naive_conv_ab_packed_bwd_ncdhw_half_double_half_0.num_agpr, 0
	.set naive_conv_ab_packed_bwd_ncdhw_half_double_half_0.numbered_sgpr, 77
	.set naive_conv_ab_packed_bwd_ncdhw_half_double_half_0.num_named_barrier, 0
	.set naive_conv_ab_packed_bwd_ncdhw_half_double_half_0.private_seg_size, 0
	.set naive_conv_ab_packed_bwd_ncdhw_half_double_half_0.uses_vcc, 1
	.set naive_conv_ab_packed_bwd_ncdhw_half_double_half_0.uses_flat_scratch, 0
	.set naive_conv_ab_packed_bwd_ncdhw_half_double_half_0.has_dyn_sized_stack, 0
	.set naive_conv_ab_packed_bwd_ncdhw_half_double_half_0.has_recursion, 0
	.set naive_conv_ab_packed_bwd_ncdhw_half_double_half_0.has_indirect_call, 0
	.section	.AMDGPU.csdata,"",@progbits
; Kernel info:
; codeLenInByte = 3772
; TotalNumSgprs: 79
; NumVgprs: 24
; ScratchSize: 0
; MemoryBound: 0
; FloatMode: 240
; IeeeMode: 1
; LDSByteSize: 0 bytes/workgroup (compile time only)
; SGPRBlocks: 0
; VGPRBlocks: 2
; NumSGPRsForWavesPerEU: 79
; NumVGPRsForWavesPerEU: 24
; Occupancy: 16
; WaveLimiterHint : 1
; COMPUTE_PGM_RSRC2:SCRATCH_EN: 0
; COMPUTE_PGM_RSRC2:USER_SGPR: 2
; COMPUTE_PGM_RSRC2:TRAP_HANDLER: 0
; COMPUTE_PGM_RSRC2:TGID_X_EN: 1
; COMPUTE_PGM_RSRC2:TGID_Y_EN: 0
; COMPUTE_PGM_RSRC2:TGID_Z_EN: 0
; COMPUTE_PGM_RSRC2:TIDIG_COMP_CNT: 0
	.text
	.protected	naive_conv_ab_nonpacked_bwd_ncdhw_half_double_half_0 ; -- Begin function naive_conv_ab_nonpacked_bwd_ncdhw_half_double_half_0
	.globl	naive_conv_ab_nonpacked_bwd_ncdhw_half_double_half_0
	.p2align	8
	.type	naive_conv_ab_nonpacked_bwd_ncdhw_half_double_half_0,@function
naive_conv_ab_nonpacked_bwd_ncdhw_half_double_half_0: ; @naive_conv_ab_nonpacked_bwd_ncdhw_half_double_half_0
; %bb.0:
	s_load_b512 s[4:19], s[0:1], 0xb8
	s_mov_b32 s24, exec_lo
	s_wait_kmcnt 0x0
	s_abs_i32 s3, s9
	s_mul_i32 s84, s6, s5
	s_cvt_f32_u32 s2, s3
	s_delay_alu instid0(SALU_CYCLE_3) | instskip(NEXT) | instid1(TRANS32_DEP_1)
	v_rcp_iflag_f32_e32 v1, s2
	v_readfirstlane_b32 s2, v1
	s_mul_f32 s2, s2, 0x4f7ffffe
	s_wait_alu 0xfffe
	s_delay_alu instid0(SALU_CYCLE_2) | instskip(SKIP_2) | instid1(SALU_CYCLE_1)
	s_cvt_u32_f32 s20, s2
	s_sub_co_i32 s2, 0, s3
	s_wait_alu 0xfffe
	s_mul_i32 s2, s2, s20
	s_wait_alu 0xfffe
	s_mul_hi_u32 s21, s20, s2
	s_abs_i32 s2, ttmp9
	s_add_co_i32 s20, s20, s21
	s_wait_alu 0xfffe
	s_mul_hi_u32 s20, s2, s20
	s_delay_alu instid0(SALU_CYCLE_1) | instskip(SKIP_2) | instid1(SALU_CYCLE_1)
	s_mul_i32 s21, s20, s3
	s_add_co_i32 s22, s20, 1
	s_sub_co_i32 s21, s2, s21
	s_sub_co_i32 s23, s21, s3
	s_cmp_ge_u32 s21, s3
	s_cselect_b32 s20, s22, s20
	s_cselect_b32 s21, s23, s21
	s_add_co_i32 s22, s20, 1
	s_cmp_ge_u32 s21, s3
	s_mul_i32 s21, s9, s7
	s_cselect_b32 s22, s22, s20
	s_abs_i32 s20, s7
	s_abs_i32 s28, s21
	s_cvt_f32_u32 s3, s20
	s_cvt_f32_u32 s7, s28
	s_wait_alu 0xfffe
	s_delay_alu instid0(SALU_CYCLE_1) | instskip(NEXT) | instid1(SALU_CYCLE_1)
	v_rcp_iflag_f32_e32 v1, s3
	v_rcp_iflag_f32_e32 v2, s7
	s_mul_i32 s7, s84, s4
	s_mov_b32 s3, 0
	s_delay_alu instid0(TRANS32_DEP_2) | instskip(NEXT) | instid1(TRANS32_DEP_1)
	v_readfirstlane_b32 s23, v1
	v_readfirstlane_b32 s4, v2
	s_wait_alu 0xfffe
	v_cmpx_gt_i32_e64 s7, v0
	s_cbranch_execz .LBB89_38
; %bb.1:
	s_mul_f32 s23, s23, 0x4f7ffffe
	s_ashr_i32 s26, ttmp9, 31
	s_ashr_i32 s24, s9, 31
	s_mul_f32 s4, s4, 0x4f7ffffe
	s_cvt_u32_f32 s23, s23
	s_sub_co_i32 s25, 0, s20
	s_xor_b32 s24, s26, s24
	s_cvt_u32_f32 s4, s4
	s_xor_b32 s22, s22, s24
	s_mul_i32 s25, s25, s23
	s_sub_co_i32 s27, s22, s24
	s_mul_hi_u32 s24, s23, s25
	s_sub_co_i32 s29, 0, s28
	s_abs_i32 s22, s27
	s_add_co_i32 s24, s23, s24
	s_mov_b32 s23, s3
	s_mov_b32 s25, s3
	s_mul_i32 s29, s29, s4
	s_mul_u64 s[24:25], s[22:23], s[24:25]
	s_mul_hi_u32 s24, s4, s29
	s_ashr_i32 s23, s27, 31
	s_add_co_i32 s24, s4, s24
	s_mul_i32 s4, s25, s20
	s_mul_i32 s27, s27, s9
	s_sub_co_i32 s4, s22, s4
	s_ashr_i32 s21, s21, 31
	s_sub_co_i32 s34, ttmp9, s27
	s_sub_co_i32 s9, s4, s20
	s_cmp_ge_u32 s4, s20
	s_mov_b32 s25, s3
	s_cselect_b32 s4, s9, s4
	s_mul_u64 s[30:31], s[2:3], s[24:25]
	s_sub_co_i32 s9, s4, s20
	s_cmp_ge_u32 s4, s20
	s_load_b512 s[36:51], s[0:1], 0x28
	s_cselect_b32 s4, s9, s4
	s_xor_b32 s33, s26, s21
	s_xor_b32 s4, s4, s23
	s_load_b128 s[52:55], s[0:1], 0xa8
	s_sub_co_i32 s56, s4, s23
	s_mul_i32 s4, s31, s28
	s_load_b256 s[20:27], s[0:1], 0x0
	s_sub_co_i32 s2, s2, s4
	s_add_co_i32 s4, s31, 1
	s_wait_alu 0xfffe
	s_sub_co_i32 s9, s2, s28
	s_cmp_ge_u32 s2, s28
	s_load_b32 s83, s[0:1], 0x11c
	s_cselect_b32 s4, s4, s31
	s_cselect_b32 s2, s9, s2
	s_add_co_i32 s9, s4, 1
	s_wait_alu 0xfffe
	s_cmp_ge_u32 s2, s28
	s_load_b128 s[28:31], s[0:1], 0xf8
	s_cselect_b32 s2, s9, s4
	s_load_b32 s9, s[0:1], 0x108
	s_xor_b32 s2, s2, s33
	s_ashr_i32 s57, s56, 31
	s_wait_alu 0xfffe
	s_sub_co_i32 s68, s2, s33
	s_ashr_i32 s35, s34, 31
	s_ashr_i32 s69, s68, 31
	s_wait_kmcnt 0x0
	s_mul_u64 s[46:47], s[46:47], s[56:57]
	s_mul_u64 s[44:45], s[44:45], s[68:69]
	v_cmp_neq_f64_e64 s2, s[24:25], 1.0
	v_cmp_neq_f64_e64 s82, s[26:27], 0
	s_mul_u64 s[42:43], s[42:43], s[34:35]
	s_mul_u64 s[54:55], s[54:55], s[56:57]
	;; [unrolled: 1-line block ×3, first 2 shown]
	s_lshl_b64 s[46:47], s[46:47], 1
	s_lshl_b64 s[44:45], s[44:45], 1
	s_lshl_b64 s[42:43], s[42:43], 1
	s_lshl_b64 s[76:77], s[54:55], 1
	s_lshl_b64 s[78:79], s[52:53], 1
	s_cmp_gt_i32 s8, 0
	s_load_b64 s[80:81], s[0:1], 0x20
	s_cselect_b32 s33, -1, 0
	s_cmp_gt_i32 s30, 0
	s_load_b512 s[52:67], s[0:1], 0x68
	s_cselect_b32 s70, -1, 0
	s_cmp_gt_i32 s31, 0
	s_add_nc_u64 s[0:1], s[20:21], s[46:47]
	s_cselect_b32 s71, -1, 0
	s_cmp_gt_i32 s9, 0
	s_add_nc_u64 s[0:1], s[0:1], s[44:45]
	s_cselect_b32 s72, -1, 0
	s_abs_i32 s73, s6
	s_abs_i32 s74, s5
	s_cvt_f32_u32 s4, s73
	s_abs_i32 s75, s84
	s_ashr_i32 s87, s14, 31
	s_ashr_i32 s89, s15, 31
	v_rcp_iflag_f32_e32 v1, s4
	s_cvt_f32_u32 s4, s74
	v_dual_mov_b32 v5, 0 :: v_dual_mov_b32 v6, 0x7e00
	s_wait_kmcnt 0x0
	s_add_nc_u64 s[20:21], s[80:81], s[76:77]
	s_abs_i32 s80, s14
	s_add_nc_u64 s[20:21], s[20:21], s[78:79]
	s_abs_i32 s79, s13
	s_and_b32 s77, s83, 0xffff
	s_abs_i32 s83, s15
	v_readfirstlane_b32 s46, v1
	s_wait_alu 0xfffe
	v_rcp_iflag_f32_e32 v1, s4
	s_add_nc_u64 s[4:5], s[0:1], s[42:43]
	s_cvt_f32_u32 s1, s75
	s_or_b32 s76, s2, s82
	s_mul_f32 s0, s46, 0x4f7ffffe
	s_sub_co_i32 s42, 0, s73
	s_sub_co_i32 s43, 0, s74
	s_mul_u64 s[14:15], s[58:59], s[68:69]
	s_cvt_u32_f32 s0, s0
	s_lshl_b64 s[14:15], s[14:15], 1
	v_readfirstlane_b32 s2, v1
	v_rcp_iflag_f32_e32 v1, s1
	s_mul_i32 s42, s42, s0
	s_ashr_i32 s78, s6, 31
	s_ashr_i32 s84, s84, 31
	s_mul_f32 s1, s2, 0x4f7ffffe
	s_mul_hi_u32 s2, s0, s42
	s_cvt_f32_u32 s42, s79
	s_wait_alu 0xfffe
	s_add_co_i32 s81, s0, s2
	s_cvt_u32_f32 s1, s1
	s_cvt_f32_u32 s2, s83
	v_readfirstlane_b32 s44, v1
	v_rcp_iflag_f32_e32 v1, s42
	s_wait_alu 0xfffe
	s_mul_i32 s43, s43, s1
	s_ashr_i32 s13, s13, 31
	s_wait_alu 0xfffe
	s_mul_hi_u32 s42, s1, s43
	s_mul_f32 s43, s44, 0x4f7ffffe
	s_cvt_f32_u32 s44, s80
	s_wait_alu 0xfffe
	s_add_co_i32 s82, s1, s42
	s_sub_co_i32 s42, 0, s75
	s_cvt_u32_f32 s0, s43
	v_rcp_iflag_f32_e32 v2, s44
	v_readfirstlane_b32 s1, v1
	v_rcp_iflag_f32_e32 v1, s2
	s_wait_alu 0xfffe
	s_mul_i32 s42, s42, s0
	s_lshl_b64 s[44:45], s[48:49], 1
	s_wait_alu 0xfffe
	s_mul_hi_u32 s2, s0, s42
	s_mul_f32 s1, s1, 0x4f7ffffe
	s_wait_alu 0xfffe
	s_add_co_i32 s85, s0, s2
	v_readfirstlane_b32 s42, v2
	s_cvt_u32_f32 s0, s1
	s_sub_co_i32 s1, 0, s79
	s_mul_f32 s2, s42, 0x4f7ffffe
	v_readfirstlane_b32 s42, v1
	s_wait_alu 0xfffe
	s_mul_i32 s1, s1, s0
	s_wait_alu 0xfffe
	s_mul_hi_u32 s1, s0, s1
	s_cvt_u32_f32 s2, s2
	s_wait_alu 0xfffe
	s_add_co_i32 s86, s0, s1
	s_sub_co_i32 s0, 0, s80
	s_mul_f32 s1, s42, 0x4f7ffffe
	s_wait_alu 0xfffe
	s_mul_i32 s0, s0, s2
	s_wait_alu 0xfffe
	s_mul_hi_u32 s0, s2, s0
	s_cvt_u32_f32 s42, s1
	s_wait_alu 0xfffe
	s_add_co_i32 s88, s2, s0
	s_sub_co_i32 s0, 0, s83
	s_wait_alu 0xfffe
	s_mul_i32 s2, s0, s42
	s_mul_u64 s[0:1], s[54:55], s[34:35]
	s_wait_alu 0xfffe
	s_mul_hi_u32 s2, s42, s2
	s_lshl_b64 s[0:1], s[0:1], 1
	s_wait_alu 0xfffe
	s_add_co_i32 s54, s42, s2
	s_add_nc_u64 s[0:1], s[0:1], s[14:15]
	s_lshl_b64 s[34:35], s[52:53], 1
	s_wait_alu 0xfffe
	s_add_nc_u64 s[14:15], s[22:23], s[0:1]
	s_lshl_b64 s[22:23], s[56:57], 1
	s_lshl_b64 s[42:43], s[50:51], 1
	s_mov_b32 s55, 0
	s_branch .LBB89_3
.LBB89_2:                               ;   in Loop: Header=BB89_3 Depth=1
	v_add_nc_u32_e32 v0, s77, v0
	s_delay_alu instid0(VALU_DEP_1)
	v_cmp_le_i32_e32 vcc_lo, s7, v0
	s_or_b32 s55, vcc_lo, s55
	s_wait_alu 0xfffe
	s_and_not1_b32 exec_lo, exec_lo, s55
	s_cbranch_execz .LBB89_38
.LBB89_3:                               ; =>This Loop Header: Depth=1
                                        ;     Child Loop BB89_6 Depth 2
                                        ;       Child Loop BB89_9 Depth 3
                                        ;         Child Loop BB89_18 Depth 4
                                        ;           Child Loop BB89_25 Depth 5
	v_sub_nc_u32_e32 v1, 0, v0
	s_delay_alu instid0(VALU_DEP_1) | instskip(NEXT) | instid1(VALU_DEP_1)
	v_max_i32_e32 v1, v0, v1
	v_mul_hi_u32 v2, v1, s81
	s_delay_alu instid0(VALU_DEP_1) | instskip(NEXT) | instid1(VALU_DEP_1)
	v_mul_lo_u32 v3, v2, s73
	v_sub_nc_u32_e32 v3, v1, v3
	s_delay_alu instid0(VALU_DEP_1) | instskip(SKIP_2) | instid1(VALU_DEP_2)
	v_subrev_nc_u32_e32 v7, s73, v3
	v_cmp_le_u32_e32 vcc_lo, s73, v3
	s_wait_alu 0xfffd
	v_dual_cndmask_b32 v3, v3, v7 :: v_dual_add_nc_u32 v4, 1, v2
	s_delay_alu instid0(VALU_DEP_1) | instskip(SKIP_1) | instid1(VALU_DEP_3)
	v_cndmask_b32_e32 v2, v2, v4, vcc_lo
	v_ashrrev_i32_e32 v4, 31, v0
	v_cmp_le_u32_e32 vcc_lo, s73, v3
	s_delay_alu instid0(VALU_DEP_3) | instskip(NEXT) | instid1(VALU_DEP_3)
	v_add_nc_u32_e32 v7, 1, v2
	v_xor_b32_e32 v8, s78, v4
	s_wait_alu 0xfffd
	s_delay_alu instid0(VALU_DEP_2) | instskip(SKIP_1) | instid1(VALU_DEP_2)
	v_cndmask_b32_e32 v2, v2, v7, vcc_lo
	v_mul_hi_u32 v7, v1, s85
	v_xor_b32_e32 v2, v2, v8
	s_delay_alu instid0(VALU_DEP_2) | instskip(NEXT) | instid1(VALU_DEP_2)
	v_mul_lo_u32 v9, v7, s75
	v_sub_nc_u32_e32 v2, v2, v8
	s_delay_alu instid0(VALU_DEP_1) | instskip(NEXT) | instid1(VALU_DEP_3)
	v_sub_nc_u32_e32 v3, 0, v2
	v_sub_nc_u32_e32 v1, v1, v9
	s_delay_alu instid0(VALU_DEP_2) | instskip(NEXT) | instid1(VALU_DEP_2)
	v_max_i32_e32 v3, v2, v3
	v_subrev_nc_u32_e32 v9, s75, v1
	v_cmp_le_u32_e32 vcc_lo, s75, v1
	s_delay_alu instid0(VALU_DEP_3) | instskip(SKIP_1) | instid1(VALU_DEP_3)
	v_mul_hi_u32 v8, v3, s82
	s_wait_alu 0xfffd
	v_cndmask_b32_e32 v1, v1, v9, vcc_lo
	v_xor_b32_e32 v9, s84, v4
	s_delay_alu instid0(VALU_DEP_3) | instskip(NEXT) | instid1(VALU_DEP_1)
	v_mul_lo_u32 v8, v8, s74
	v_sub_nc_u32_e32 v3, v3, v8
	s_delay_alu instid0(VALU_DEP_1) | instskip(SKIP_2) | instid1(VALU_DEP_1)
	v_subrev_nc_u32_e32 v10, s74, v3
	v_cmp_le_u32_e64 s0, s74, v3
	s_wait_alu 0xf1ff
	v_cndmask_b32_e64 v3, v3, v10, s0
	s_delay_alu instid0(VALU_DEP_1) | instskip(SKIP_1) | instid1(VALU_DEP_1)
	v_subrev_nc_u32_e32 v4, s74, v3
	v_add_nc_u32_e32 v8, 1, v7
	v_cndmask_b32_e32 v7, v7, v8, vcc_lo
	v_cmp_le_u32_e32 vcc_lo, s75, v1
	s_delay_alu instid0(VALU_DEP_2) | instskip(SKIP_1) | instid1(VALU_DEP_1)
	v_add_nc_u32_e32 v8, 1, v7
	s_wait_alu 0xfffd
	v_cndmask_b32_e32 v1, v7, v8, vcc_lo
	v_cmp_le_u32_e32 vcc_lo, s74, v3
	v_ashrrev_i32_e32 v8, 31, v2
	v_mul_lo_u32 v2, v2, s6
	s_delay_alu instid0(VALU_DEP_4) | instskip(SKIP_3) | instid1(VALU_DEP_1)
	v_xor_b32_e32 v1, v1, v9
	s_wait_alu 0xfffd
	v_cndmask_b32_e32 v3, v3, v4, vcc_lo
	s_and_not1_b32 vcc_lo, exec_lo, s33
	v_xor_b32_e32 v3, v3, v8
	s_delay_alu instid0(VALU_DEP_4) | instskip(NEXT) | instid1(VALU_DEP_2)
	v_sub_nc_u32_e32 v7, v0, v2
	v_sub_nc_u32_e32 v4, v3, v8
	;; [unrolled: 1-line block ×3, first 2 shown]
	s_wait_alu 0xfffe
	s_cbranch_vccnz .LBB89_33
; %bb.4:                                ;   in Loop: Header=BB89_3 Depth=1
	s_delay_alu instid0(VALU_DEP_1)
	v_dual_mov_b32 v1, 0 :: v_dual_add_nc_u32 v8, s19, v3
	v_dual_mov_b32 v2, 0 :: v_dual_add_nc_u32 v9, s28, v4
	v_add_nc_u32_e32 v10, s29, v7
	s_mov_b32 s2, 0
	s_mov_b64 s[0:1], s[14:15]
	s_branch .LBB89_6
.LBB89_5:                               ;   in Loop: Header=BB89_6 Depth=2
	s_add_co_i32 s2, s2, 1
	s_add_nc_u64 s[0:1], s[0:1], s[22:23]
	s_wait_alu 0xfffe
	s_cmp_eq_u32 s2, s8
	s_cbranch_scc1 .LBB89_34
.LBB89_6:                               ;   Parent Loop BB89_3 Depth=1
                                        ; =>  This Loop Header: Depth=2
                                        ;       Child Loop BB89_9 Depth 3
                                        ;         Child Loop BB89_18 Depth 4
                                        ;           Child Loop BB89_25 Depth 5
	s_and_not1_b32 vcc_lo, exec_lo, s70
	s_wait_alu 0xfffe
	s_cbranch_vccnz .LBB89_5
; %bb.7:                                ;   in Loop: Header=BB89_6 Depth=2
	s_mul_u64 s[46:47], s[66:67], s[2:3]
	s_mov_b32 s56, 0
	s_wait_alu 0xfffe
	s_lshl_b64 s[46:47], s[46:47], 1
	s_mov_b64 s[48:49], s[0:1]
	s_wait_alu 0xfffe
	s_add_nc_u64 s[46:47], s[20:21], s[46:47]
	s_branch .LBB89_9
.LBB89_8:                               ;   in Loop: Header=BB89_9 Depth=3
	s_add_co_i32 s56, s56, 1
	s_add_nc_u64 s[48:49], s[48:49], s[34:35]
	s_cmp_eq_u32 s56, s30
	s_cbranch_scc1 .LBB89_5
.LBB89_9:                               ;   Parent Loop BB89_3 Depth=1
                                        ;     Parent Loop BB89_6 Depth=2
                                        ; =>    This Loop Header: Depth=3
                                        ;         Child Loop BB89_18 Depth 4
                                        ;           Child Loop BB89_25 Depth 5
	s_mul_i32 s50, s16, s56
	s_mov_b32 s51, exec_lo
	s_wait_alu 0xfffe
	v_subrev_nc_u32_e32 v16, s50, v8
	s_mov_b32 s50, 0
                                        ; implicit-def: $vgpr13
                                        ; implicit-def: $vgpr14
	s_delay_alu instid0(VALU_DEP_1) | instskip(SKIP_1) | instid1(VALU_DEP_2)
	v_sub_nc_u32_e32 v12, 0, v16
	v_ashrrev_i32_e32 v11, 31, v16
	v_max_i32_e32 v15, v16, v12
                                        ; implicit-def: $vgpr12
	v_cmpx_lt_i32_e32 -1, v16
	s_xor_b32 s51, exec_lo, s51
	s_cbranch_execnz .LBB89_13
; %bb.10:                               ;   in Loop: Header=BB89_9 Depth=3
	s_wait_alu 0xfffe
	s_and_not1_saveexec_b32 s51, s51
	s_cbranch_execnz .LBB89_14
.LBB89_11:                              ;   in Loop: Header=BB89_9 Depth=3
	s_wait_alu 0xfffe
	s_or_b32 exec_lo, exec_lo, s51
	v_mov_b32_e32 v15, 1
	s_and_saveexec_b32 s51, s50
	s_cbranch_execnz .LBB89_15
.LBB89_12:                              ;   in Loop: Header=BB89_9 Depth=3
	s_wait_alu 0xfffe
	s_or_b32 exec_lo, exec_lo, s51
	s_delay_alu instid0(SALU_CYCLE_1)
	s_and_not1_b32 vcc_lo, exec_lo, s71
	s_wait_alu 0xfffe
	s_cbranch_vccz .LBB89_16
	s_branch .LBB89_8
.LBB89_13:                              ;   in Loop: Header=BB89_9 Depth=3
	s_delay_alu instid0(VALU_DEP_2) | instskip(NEXT) | instid1(VALU_DEP_1)
	v_mul_hi_u32 v12, v15, s86
	v_mul_lo_u32 v11, v12, s79
	s_delay_alu instid0(VALU_DEP_1) | instskip(SKIP_1) | instid1(VALU_DEP_2)
	v_sub_nc_u32_e32 v13, v15, v11
	v_ashrrev_i32_e32 v11, 31, v16
	v_subrev_nc_u32_e32 v14, s79, v13
	v_cmp_le_u32_e32 vcc_lo, s79, v13
	s_wait_alu 0xfffd
	s_delay_alu instid0(VALU_DEP_2) | instskip(NEXT) | instid1(VALU_DEP_1)
	v_cndmask_b32_e32 v15, v13, v14, vcc_lo
	v_subrev_nc_u32_e32 v17, s79, v15
	v_cmp_le_u32_e32 vcc_lo, s79, v15
	s_wait_alu 0xfffd
	s_delay_alu instid0(VALU_DEP_2) | instskip(NEXT) | instid1(VALU_DEP_1)
	v_cndmask_b32_e32 v15, v15, v17, vcc_lo
	v_xor_b32_e32 v15, v15, v11
	s_delay_alu instid0(VALU_DEP_1) | instskip(NEXT) | instid1(VALU_DEP_1)
	v_sub_nc_u32_e32 v15, v15, v11
	v_cmp_ne_u32_e32 vcc_lo, 0, v15
                                        ; implicit-def: $vgpr15
	s_and_b32 s50, vcc_lo, exec_lo
	s_wait_alu 0xfffe
	s_and_not1_saveexec_b32 s51, s51
	s_cbranch_execz .LBB89_11
.LBB89_14:                              ;   in Loop: Header=BB89_9 Depth=3
	v_mul_hi_u32 v12, v15, s86
	s_or_b32 s50, s50, exec_lo
	s_delay_alu instid0(VALU_DEP_1) | instskip(NEXT) | instid1(VALU_DEP_1)
	v_mul_lo_u32 v13, v12, s79
	v_sub_nc_u32_e32 v13, v15, v13
	s_delay_alu instid0(VALU_DEP_1)
	v_subrev_nc_u32_e32 v14, s79, v13
	s_wait_alu 0xfffe
	s_or_b32 exec_lo, exec_lo, s51
	v_mov_b32_e32 v15, 1
	s_and_saveexec_b32 s51, s50
	s_cbranch_execz .LBB89_12
.LBB89_15:                              ;   in Loop: Header=BB89_9 Depth=3
	v_mov_b32_e32 v15, 0
	s_wait_alu 0xfffe
	s_or_b32 exec_lo, exec_lo, s51
	s_delay_alu instid0(SALU_CYCLE_1)
	s_and_not1_b32 vcc_lo, exec_lo, s71
	s_wait_alu 0xfffe
	s_cbranch_vccnz .LBB89_8
.LBB89_16:                              ;   in Loop: Header=BB89_9 Depth=3
	v_cmp_le_u32_e32 vcc_lo, s79, v13
	v_add_nc_u32_e32 v16, 1, v12
	v_xor_b32_e32 v11, s13, v11
	s_mov_b32 s57, 0
	s_mov_b64 s[50:51], s[48:49]
	s_wait_alu 0xfffd
	v_dual_cndmask_b32 v13, v13, v14 :: v_dual_cndmask_b32 v12, v12, v16
	s_delay_alu instid0(VALU_DEP_1) | instskip(NEXT) | instid1(VALU_DEP_2)
	v_cmp_le_u32_e32 vcc_lo, s79, v13
	v_add_nc_u32_e32 v14, 1, v12
	s_wait_alu 0xfffd
	s_delay_alu instid0(VALU_DEP_1) | instskip(NEXT) | instid1(VALU_DEP_1)
	v_cndmask_b32_e32 v12, v12, v14, vcc_lo
	v_xor_b32_e32 v12, v12, v11
	s_delay_alu instid0(VALU_DEP_1) | instskip(NEXT) | instid1(VALU_DEP_1)
	v_sub_nc_u32_e32 v14, v12, v11
	v_ashrrev_i32_e32 v13, 31, v14
	v_mul_lo_u32 v16, s65, v14
	v_mad_co_u64_u32 v[11:12], null, s64, v14, 0
	v_cmp_gt_i32_e32 vcc_lo, s10, v14
	s_delay_alu instid0(VALU_DEP_4) | instskip(NEXT) | instid1(VALU_DEP_1)
	v_mul_lo_u32 v13, s64, v13
	v_add3_u32 v12, v12, v13, v16
	s_delay_alu instid0(VALU_DEP_1) | instskip(SKIP_2) | instid1(VALU_DEP_2)
	v_lshlrev_b64_e32 v[12:13], 1, v[11:12]
	s_wait_alu 0xfffd
	v_cndmask_b32_e32 v11, 0, v15, vcc_lo
	v_add_co_u32 v12, vcc_lo, s46, v12
	s_wait_alu 0xfffd
	s_delay_alu instid0(VALU_DEP_3)
	v_add_co_ci_u32_e64 v13, null, s47, v13, vcc_lo
	s_branch .LBB89_18
.LBB89_17:                              ;   in Loop: Header=BB89_18 Depth=4
	s_add_co_i32 s57, s57, 1
	s_add_nc_u64 s[50:51], s[50:51], s[42:43]
	s_cmp_eq_u32 s57, s31
	s_cbranch_scc1 .LBB89_8
.LBB89_18:                              ;   Parent Loop BB89_3 Depth=1
                                        ;     Parent Loop BB89_6 Depth=2
                                        ;       Parent Loop BB89_9 Depth=3
                                        ; =>      This Loop Header: Depth=4
                                        ;           Child Loop BB89_25 Depth 5
	s_mul_i32 s52, s17, s57
	s_wait_alu 0xfffe
	v_subrev_nc_u32_e32 v15, s52, v9
	s_delay_alu instid0(VALU_DEP_1) | instskip(SKIP_3) | instid1(VALU_DEP_4)
	v_sub_nc_u32_e32 v16, 0, v15
	v_cmp_gt_i32_e64 s52, 0, v15
	v_cmp_lt_i32_e32 vcc_lo, -1, v15
	v_ashrrev_i32_e32 v14, 31, v15
	v_max_i32_e32 v15, v15, v16
	s_and_saveexec_b32 s53, vcc_lo
	s_cbranch_execnz .LBB89_21
; %bb.19:                               ;   in Loop: Header=BB89_18 Depth=4
	s_wait_alu 0xfffe
	s_or_b32 exec_lo, exec_lo, s53
	v_mov_b32_e32 v16, 1
	s_and_saveexec_b32 s53, s52
	s_cbranch_execnz .LBB89_22
.LBB89_20:                              ;   in Loop: Header=BB89_18 Depth=4
	s_wait_alu 0xfffe
	s_or_b32 exec_lo, exec_lo, s53
	s_delay_alu instid0(SALU_CYCLE_1)
	s_and_not1_b32 vcc_lo, exec_lo, s72
	s_wait_alu 0xfffe
	s_cbranch_vccz .LBB89_23
	s_branch .LBB89_17
.LBB89_21:                              ;   in Loop: Header=BB89_18 Depth=4
	s_delay_alu instid0(VALU_DEP_1) | instskip(SKIP_1) | instid1(VALU_DEP_1)
	v_mul_hi_u32 v16, v15, s88
	s_and_not1_b32 s52, s52, exec_lo
	v_mul_lo_u32 v16, v16, s80
	s_delay_alu instid0(VALU_DEP_1) | instskip(NEXT) | instid1(VALU_DEP_1)
	v_sub_nc_u32_e32 v16, v15, v16
	v_subrev_nc_u32_e32 v17, s80, v16
	v_cmp_le_u32_e32 vcc_lo, s80, v16
	s_wait_alu 0xfffd
	s_delay_alu instid0(VALU_DEP_2) | instskip(NEXT) | instid1(VALU_DEP_1)
	v_cndmask_b32_e32 v16, v16, v17, vcc_lo
	v_subrev_nc_u32_e32 v17, s80, v16
	v_cmp_le_u32_e32 vcc_lo, s80, v16
	s_wait_alu 0xfffd
	s_delay_alu instid0(VALU_DEP_2) | instskip(NEXT) | instid1(VALU_DEP_1)
	v_cndmask_b32_e32 v16, v16, v17, vcc_lo
	v_xor_b32_e32 v16, v16, v14
	s_delay_alu instid0(VALU_DEP_1) | instskip(NEXT) | instid1(VALU_DEP_1)
	v_sub_nc_u32_e32 v16, v16, v14
	v_cmp_ne_u32_e32 vcc_lo, 0, v16
	s_and_b32 s58, vcc_lo, exec_lo
	s_wait_alu 0xfffe
	s_or_b32 s52, s52, s58
	s_or_b32 exec_lo, exec_lo, s53
	v_mov_b32_e32 v16, 1
	s_wait_alu 0xfffe
	s_and_saveexec_b32 s53, s52
	s_cbranch_execz .LBB89_20
.LBB89_22:                              ;   in Loop: Header=BB89_18 Depth=4
	v_mov_b32_e32 v16, 0
	s_wait_alu 0xfffe
	s_or_b32 exec_lo, exec_lo, s53
	s_delay_alu instid0(SALU_CYCLE_1)
	s_and_not1_b32 vcc_lo, exec_lo, s72
	s_wait_alu 0xfffe
	s_cbranch_vccnz .LBB89_17
.LBB89_23:                              ;   in Loop: Header=BB89_18 Depth=4
	v_mul_hi_u32 v17, v15, s88
	v_xor_b32_e32 v14, s87, v14
	s_mov_b64 s[52:53], s[50:51]
	s_mov_b32 s58, s9
	s_delay_alu instid0(VALU_DEP_2) | instskip(NEXT) | instid1(VALU_DEP_1)
	v_mul_lo_u32 v18, v17, s80
	v_sub_nc_u32_e32 v15, v15, v18
	s_delay_alu instid0(VALU_DEP_1) | instskip(SKIP_2) | instid1(VALU_DEP_2)
	v_subrev_nc_u32_e32 v19, s80, v15
	v_cmp_le_u32_e32 vcc_lo, s80, v15
	s_wait_alu 0xfffd
	v_dual_cndmask_b32 v15, v15, v19 :: v_dual_add_nc_u32 v18, 1, v17
	s_delay_alu instid0(VALU_DEP_1) | instskip(NEXT) | instid1(VALU_DEP_2)
	v_cndmask_b32_e32 v17, v17, v18, vcc_lo
	v_cmp_le_u32_e32 vcc_lo, s80, v15
	s_delay_alu instid0(VALU_DEP_2) | instskip(SKIP_1) | instid1(VALU_DEP_1)
	v_add_nc_u32_e32 v18, 1, v17
	s_wait_alu 0xfffd
	v_cndmask_b32_e32 v15, v17, v18, vcc_lo
	s_delay_alu instid0(VALU_DEP_1) | instskip(NEXT) | instid1(VALU_DEP_1)
	v_xor_b32_e32 v15, v15, v14
	v_sub_nc_u32_e32 v17, v15, v14
	s_delay_alu instid0(VALU_DEP_1) | instskip(SKIP_3) | instid1(VALU_DEP_4)
	v_ashrrev_i32_e32 v18, 31, v17
	v_mul_lo_u32 v19, s63, v17
	v_mad_co_u64_u32 v[14:15], null, s62, v17, 0
	v_cmp_gt_i32_e32 vcc_lo, s11, v17
	v_mul_lo_u32 v18, s62, v18
	s_wait_alu 0xfffd
	v_cndmask_b32_e32 v17, 0, v16, vcc_lo
	s_delay_alu instid0(VALU_DEP_2) | instskip(NEXT) | instid1(VALU_DEP_1)
	v_add3_u32 v15, v15, v18, v19
	v_lshlrev_b64_e32 v[15:16], 1, v[14:15]
	s_delay_alu instid0(VALU_DEP_3) | instskip(NEXT) | instid1(VALU_DEP_2)
	v_dual_mov_b32 v17, v10 :: v_dual_and_b32 v14, v17, v11
	v_add_co_u32 v15, vcc_lo, v12, v15
	s_wait_alu 0xfffd
	s_delay_alu instid0(VALU_DEP_3)
	v_add_co_ci_u32_e64 v16, null, v13, v16, vcc_lo
	s_branch .LBB89_25
.LBB89_24:                              ;   in Loop: Header=BB89_25 Depth=5
	s_or_b32 exec_lo, exec_lo, s59
	v_subrev_nc_u32_e32 v17, s18, v17
	s_add_co_i32 s58, s58, -1
	s_wait_alu 0xfffe
	s_add_nc_u64 s[52:53], s[52:53], s[44:45]
	s_cmp_eq_u32 s58, 0
	s_cbranch_scc1 .LBB89_17
.LBB89_25:                              ;   Parent Loop BB89_3 Depth=1
                                        ;     Parent Loop BB89_6 Depth=2
                                        ;       Parent Loop BB89_9 Depth=3
                                        ;         Parent Loop BB89_18 Depth=4
                                        ; =>        This Inner Loop Header: Depth=5
	v_sub_nc_u32_e32 v19, 0, v17
	v_ashrrev_i32_e32 v18, 31, v17
	s_mov_b32 s59, 0
	s_mov_b32 s68, exec_lo
                                        ; implicit-def: $vgpr20
                                        ; implicit-def: $vgpr21
	s_delay_alu instid0(VALU_DEP_2)
	v_max_i32_e32 v22, v17, v19
                                        ; implicit-def: $vgpr19
	v_cmpx_lt_i32_e32 -1, v17
	s_xor_b32 s68, exec_lo, s68
	s_cbranch_execnz .LBB89_31
; %bb.26:                               ;   in Loop: Header=BB89_25 Depth=5
	s_and_not1_saveexec_b32 s68, s68
	s_cbranch_execnz .LBB89_32
.LBB89_27:                              ;   in Loop: Header=BB89_25 Depth=5
	s_or_b32 exec_lo, exec_lo, s68
	v_mov_b32_e32 v22, 1
	s_and_saveexec_b32 s68, s59
.LBB89_28:                              ;   in Loop: Header=BB89_25 Depth=5
	v_mov_b32_e32 v22, 0
.LBB89_29:                              ;   in Loop: Header=BB89_25 Depth=5
	s_or_b32 exec_lo, exec_lo, s68
	v_cmp_le_u32_e32 vcc_lo, s83, v20
	v_add_nc_u32_e32 v23, 1, v19
	v_xor_b32_e32 v18, s89, v18
	s_mov_b32 s59, exec_lo
	s_wait_alu 0xfffd
	s_delay_alu instid0(VALU_DEP_2) | instskip(NEXT) | instid1(VALU_DEP_1)
	v_dual_cndmask_b32 v20, v20, v21 :: v_dual_cndmask_b32 v19, v19, v23
	v_cmp_le_u32_e32 vcc_lo, s83, v20
	s_delay_alu instid0(VALU_DEP_2) | instskip(SKIP_1) | instid1(VALU_DEP_1)
	v_add_nc_u32_e32 v21, 1, v19
	s_wait_alu 0xfffd
	v_cndmask_b32_e32 v19, v19, v21, vcc_lo
	s_delay_alu instid0(VALU_DEP_1) | instskip(NEXT) | instid1(VALU_DEP_1)
	v_xor_b32_e32 v19, v19, v18
	v_sub_nc_u32_e32 v18, v19, v18
	s_delay_alu instid0(VALU_DEP_1) | instskip(SKIP_2) | instid1(VALU_DEP_1)
	v_cmp_gt_i32_e32 vcc_lo, s12, v18
	s_wait_alu 0xfffd
	v_cndmask_b32_e32 v19, 0, v22, vcc_lo
	v_and_b32_e32 v19, v14, v19
	s_delay_alu instid0(VALU_DEP_1) | instskip(NEXT) | instid1(VALU_DEP_1)
	v_and_b32_e32 v19, 1, v19
	v_cmpx_eq_u32_e32 1, v19
	s_cbranch_execz .LBB89_24
; %bb.30:                               ;   in Loop: Header=BB89_25 Depth=5
	v_ashrrev_i32_e32 v20, 31, v18
	v_mul_lo_u32 v21, s61, v18
	v_mad_co_u64_u32 v[18:19], null, s60, v18, 0
	s_delay_alu instid0(VALU_DEP_3) | instskip(NEXT) | instid1(VALU_DEP_1)
	v_mul_lo_u32 v20, s60, v20
	v_add3_u32 v19, v19, v20, v21
	s_delay_alu instid0(VALU_DEP_1) | instskip(NEXT) | instid1(VALU_DEP_1)
	v_lshlrev_b64_e32 v[18:19], 1, v[18:19]
	v_add_co_u32 v18, vcc_lo, v15, v18
	s_wait_alu 0xfffd
	s_delay_alu instid0(VALU_DEP_2)
	v_add_co_ci_u32_e64 v19, null, v16, v19, vcc_lo
	global_load_u16 v18, v[18:19], off
	global_load_u16 v19, v5, s[52:53]
	s_wait_loadcnt 0x1
	v_cvt_f32_f16_e32 v18, v18
	s_wait_loadcnt 0x0
	v_cvt_f32_f16_e32 v20, v19
	s_delay_alu instid0(VALU_DEP_2) | instskip(NEXT) | instid1(VALU_DEP_2)
	v_cvt_f64_f32_e32 v[18:19], v18
	v_cvt_f64_f32_e32 v[20:21], v20
	s_delay_alu instid0(VALU_DEP_1)
	v_fma_f64 v[1:2], v[18:19], v[20:21], v[1:2]
	s_branch .LBB89_24
.LBB89_31:                              ;   in Loop: Header=BB89_25 Depth=5
	s_delay_alu instid0(VALU_DEP_2) | instskip(NEXT) | instid1(VALU_DEP_1)
	v_mul_hi_u32 v19, v22, s54
	v_mul_lo_u32 v18, v19, s83
	s_delay_alu instid0(VALU_DEP_1) | instskip(SKIP_1) | instid1(VALU_DEP_2)
	v_sub_nc_u32_e32 v20, v22, v18
	v_ashrrev_i32_e32 v18, 31, v17
	v_subrev_nc_u32_e32 v21, s83, v20
	v_cmp_le_u32_e32 vcc_lo, s83, v20
	s_wait_alu 0xfffd
	s_delay_alu instid0(VALU_DEP_2) | instskip(NEXT) | instid1(VALU_DEP_1)
	v_cndmask_b32_e32 v22, v20, v21, vcc_lo
	v_subrev_nc_u32_e32 v23, s83, v22
	v_cmp_le_u32_e32 vcc_lo, s83, v22
	s_wait_alu 0xfffd
	s_delay_alu instid0(VALU_DEP_2) | instskip(NEXT) | instid1(VALU_DEP_1)
	v_cndmask_b32_e32 v22, v22, v23, vcc_lo
	v_xor_b32_e32 v22, v22, v18
	s_delay_alu instid0(VALU_DEP_1) | instskip(NEXT) | instid1(VALU_DEP_1)
	v_sub_nc_u32_e32 v22, v22, v18
	v_cmp_ne_u32_e32 vcc_lo, 0, v22
                                        ; implicit-def: $vgpr22
	s_and_b32 s59, vcc_lo, exec_lo
	s_and_not1_saveexec_b32 s68, s68
	s_cbranch_execz .LBB89_27
.LBB89_32:                              ;   in Loop: Header=BB89_25 Depth=5
	v_mul_hi_u32 v19, v22, s54
	s_or_b32 s59, s59, exec_lo
	s_delay_alu instid0(VALU_DEP_1) | instskip(NEXT) | instid1(VALU_DEP_1)
	v_mul_lo_u32 v20, v19, s83
	v_sub_nc_u32_e32 v20, v22, v20
	s_delay_alu instid0(VALU_DEP_1)
	v_subrev_nc_u32_e32 v21, s83, v20
	s_or_b32 exec_lo, exec_lo, s68
	v_mov_b32_e32 v22, 1
	s_and_saveexec_b32 s68, s59
	s_cbranch_execnz .LBB89_28
	s_branch .LBB89_29
.LBB89_33:                              ;   in Loop: Header=BB89_3 Depth=1
	v_mov_b32_e32 v1, 0
	v_mov_b32_e32 v2, 0
.LBB89_34:                              ;   in Loop: Header=BB89_3 Depth=1
	v_ashrrev_i32_e32 v9, 31, v7
	v_mul_lo_u32 v10, s37, v7
	v_mad_co_u64_u32 v[7:8], null, s36, v7, 0
	v_ashrrev_i32_e32 v11, 31, v4
	s_delay_alu instid0(VALU_DEP_4) | instskip(SKIP_2) | instid1(VALU_DEP_1)
	v_mul_lo_u32 v9, s36, v9
	s_and_b32 vcc_lo, exec_lo, s76
	s_mov_b32 s0, -1
	v_add3_u32 v8, v8, v9, v10
	v_mul_lo_u32 v9, s39, v4
	v_mul_lo_u32 v10, s38, v11
	s_delay_alu instid0(VALU_DEP_3) | instskip(NEXT) | instid1(VALU_DEP_1)
	v_mad_co_u64_u32 v[7:8], null, s38, v4, v[7:8]
	v_add3_u32 v8, v9, v8, v10
	v_ashrrev_i32_e32 v9, 31, v3
	v_mul_lo_u32 v10, s41, v3
	s_delay_alu instid0(VALU_DEP_3) | instskip(NEXT) | instid1(VALU_DEP_3)
	v_mad_co_u64_u32 v[3:4], null, s40, v3, v[7:8]
	v_mul_lo_u32 v7, s40, v9
	s_delay_alu instid0(VALU_DEP_1) | instskip(NEXT) | instid1(VALU_DEP_1)
	v_add3_u32 v4, v10, v4, v7
	v_lshlrev_b64_e32 v[3:4], 1, v[3:4]
	s_wait_alu 0xfffe
	s_cbranch_vccz .LBB89_36
; %bb.35:                               ;   in Loop: Header=BB89_3 Depth=1
	s_delay_alu instid0(VALU_DEP_1) | instskip(SKIP_1) | instid1(VALU_DEP_2)
	v_add_co_u32 v7, vcc_lo, s4, v3
	s_wait_alu 0xfffd
	v_add_co_ci_u32_e64 v8, null, s5, v4, vcc_lo
	s_mov_b32 s0, 0
	global_load_u16 v9, v[7:8], off
	s_wait_loadcnt 0x0
	v_cvt_f32_f16_e32 v9, v9
	s_delay_alu instid0(VALU_DEP_1) | instskip(NEXT) | instid1(VALU_DEP_1)
	v_cvt_f64_f32_e32 v[9:10], v9
	v_mul_f64_e32 v[9:10], s[26:27], v[9:10]
	s_delay_alu instid0(VALU_DEP_1) | instskip(NEXT) | instid1(VALU_DEP_1)
	v_fma_f64 v[9:10], s[24:25], v[1:2], v[9:10]
	v_and_or_b32 v9, 0x1ff, v10, v9
	v_lshrrev_b32_e32 v11, 8, v10
	v_bfe_u32 v12, v10, 20, 11
	v_lshrrev_b32_e32 v10, 16, v10
	s_delay_alu instid0(VALU_DEP_4) | instskip(NEXT) | instid1(VALU_DEP_3)
	v_cmp_ne_u32_e32 vcc_lo, 0, v9
	v_sub_nc_u32_e32 v13, 0x3f1, v12
	s_wait_alu 0xfffd
	v_cndmask_b32_e64 v9, 0, 1, vcc_lo
	s_delay_alu instid0(VALU_DEP_1) | instskip(NEXT) | instid1(VALU_DEP_3)
	v_and_or_b32 v9, 0xffe, v11, v9
	v_med3_i32 v11, v13, 0, 13
	s_delay_alu instid0(VALU_DEP_2) | instskip(NEXT) | instid1(VALU_DEP_1)
	v_or_b32_e32 v13, 0x1000, v9
	v_lshrrev_b32_e32 v14, v11, v13
	s_delay_alu instid0(VALU_DEP_1) | instskip(NEXT) | instid1(VALU_DEP_1)
	v_lshlrev_b32_e32 v11, v11, v14
	v_cmp_ne_u32_e32 vcc_lo, v11, v13
	s_wait_alu 0xfffd
	v_cndmask_b32_e64 v11, 0, 1, vcc_lo
	s_delay_alu instid0(VALU_DEP_1) | instskip(SKIP_1) | instid1(VALU_DEP_1)
	v_or_b32_e32 v11, v14, v11
	v_add_nc_u32_e32 v12, 0xfffffc10, v12
	v_lshl_or_b32 v13, v12, 12, v9
	v_cmp_gt_i32_e32 vcc_lo, 1, v12
	s_wait_alu 0xfffd
	s_delay_alu instid0(VALU_DEP_2) | instskip(NEXT) | instid1(VALU_DEP_1)
	v_cndmask_b32_e32 v11, v13, v11, vcc_lo
	v_and_b32_e32 v13, 7, v11
	v_lshrrev_b32_e32 v11, 2, v11
	s_delay_alu instid0(VALU_DEP_2)
	v_cmp_lt_i32_e32 vcc_lo, 5, v13
	s_wait_alu 0xfffd
	v_cndmask_b32_e64 v14, 0, 1, vcc_lo
	v_cmp_eq_u32_e32 vcc_lo, 3, v13
	s_wait_alu 0xfffd
	v_cndmask_b32_e64 v13, 0, 1, vcc_lo
	v_cmp_ne_u32_e32 vcc_lo, 0, v9
	s_delay_alu instid0(VALU_DEP_2) | instskip(SKIP_3) | instid1(VALU_DEP_3)
	v_or_b32_e32 v13, v13, v14
	s_wait_alu 0xfffd
	v_cndmask_b32_e32 v9, 0x7c00, v6, vcc_lo
	v_cmp_gt_i32_e32 vcc_lo, 31, v12
	v_add_nc_u32_e32 v11, v11, v13
	s_wait_alu 0xfffd
	s_delay_alu instid0(VALU_DEP_1) | instskip(SKIP_2) | instid1(VALU_DEP_2)
	v_cndmask_b32_e32 v11, 0x7c00, v11, vcc_lo
	v_cmp_eq_u32_e32 vcc_lo, 0x40f, v12
	s_wait_alu 0xfffd
	v_cndmask_b32_e32 v9, v11, v9, vcc_lo
	s_delay_alu instid0(VALU_DEP_1)
	v_and_or_b32 v9, 0x8000, v10, v9
	global_store_b16 v[7:8], v9, off
.LBB89_36:                              ;   in Loop: Header=BB89_3 Depth=1
	s_wait_alu 0xfffe
	s_and_not1_b32 vcc_lo, exec_lo, s0
	s_wait_alu 0xfffe
	s_cbranch_vccnz .LBB89_2
; %bb.37:                               ;   in Loop: Header=BB89_3 Depth=1
	v_and_or_b32 v1, 0x1ff, v2, v1
	v_lshrrev_b32_e32 v7, 8, v2
	v_bfe_u32 v8, v2, 20, 11
	v_lshrrev_b32_e32 v2, 16, v2
	s_delay_alu instid0(VALU_DEP_4) | instskip(NEXT) | instid1(VALU_DEP_3)
	v_cmp_ne_u32_e32 vcc_lo, 0, v1
	v_sub_nc_u32_e32 v9, 0x3f1, v8
	s_wait_alu 0xfffd
	v_cndmask_b32_e64 v1, 0, 1, vcc_lo
	s_delay_alu instid0(VALU_DEP_1) | instskip(NEXT) | instid1(VALU_DEP_3)
	v_and_or_b32 v1, 0xffe, v7, v1
	v_med3_i32 v7, v9, 0, 13
	s_delay_alu instid0(VALU_DEP_2) | instskip(NEXT) | instid1(VALU_DEP_1)
	v_or_b32_e32 v9, 0x1000, v1
	v_lshrrev_b32_e32 v10, v7, v9
	s_delay_alu instid0(VALU_DEP_1) | instskip(NEXT) | instid1(VALU_DEP_1)
	v_lshlrev_b32_e32 v7, v7, v10
	v_cmp_ne_u32_e32 vcc_lo, v7, v9
	s_wait_alu 0xfffd
	v_cndmask_b32_e64 v7, 0, 1, vcc_lo
	s_delay_alu instid0(VALU_DEP_1) | instskip(SKIP_1) | instid1(VALU_DEP_1)
	v_or_b32_e32 v7, v10, v7
	v_add_nc_u32_e32 v8, 0xfffffc10, v8
	v_lshl_or_b32 v9, v8, 12, v1
	v_cmp_gt_i32_e32 vcc_lo, 1, v8
	s_wait_alu 0xfffd
	s_delay_alu instid0(VALU_DEP_2) | instskip(NEXT) | instid1(VALU_DEP_1)
	v_cndmask_b32_e32 v7, v9, v7, vcc_lo
	v_and_b32_e32 v9, 7, v7
	v_lshrrev_b32_e32 v7, 2, v7
	s_delay_alu instid0(VALU_DEP_2)
	v_cmp_lt_i32_e32 vcc_lo, 5, v9
	s_wait_alu 0xfffd
	v_cndmask_b32_e64 v10, 0, 1, vcc_lo
	v_cmp_eq_u32_e32 vcc_lo, 3, v9
	s_wait_alu 0xfffd
	v_cndmask_b32_e64 v9, 0, 1, vcc_lo
	v_cmp_ne_u32_e32 vcc_lo, 0, v1
	s_delay_alu instid0(VALU_DEP_2) | instskip(SKIP_3) | instid1(VALU_DEP_3)
	v_or_b32_e32 v9, v9, v10
	s_wait_alu 0xfffd
	v_cndmask_b32_e32 v1, 0x7c00, v6, vcc_lo
	v_cmp_gt_i32_e32 vcc_lo, 31, v8
	v_add_nc_u32_e32 v7, v7, v9
	s_wait_alu 0xfffd
	s_delay_alu instid0(VALU_DEP_1) | instskip(SKIP_2) | instid1(VALU_DEP_2)
	v_cndmask_b32_e32 v7, 0x7c00, v7, vcc_lo
	v_cmp_eq_u32_e32 vcc_lo, 0x40f, v8
	s_wait_alu 0xfffd
	v_cndmask_b32_e32 v1, v7, v1, vcc_lo
	s_delay_alu instid0(VALU_DEP_1)
	v_and_or_b32 v7, 0x8000, v2, v1
	v_add_co_u32 v1, vcc_lo, s4, v3
	s_wait_alu 0xfffd
	v_add_co_ci_u32_e64 v2, null, s5, v4, vcc_lo
	global_store_b16 v[1:2], v7, off
	s_branch .LBB89_2
.LBB89_38:
	s_endpgm
	.section	.rodata,"a",@progbits
	.p2align	6, 0x0
	.amdhsa_kernel naive_conv_ab_nonpacked_bwd_ncdhw_half_double_half_0
		.amdhsa_group_segment_fixed_size 0
		.amdhsa_private_segment_fixed_size 0
		.amdhsa_kernarg_size 528
		.amdhsa_user_sgpr_count 2
		.amdhsa_user_sgpr_dispatch_ptr 0
		.amdhsa_user_sgpr_queue_ptr 0
		.amdhsa_user_sgpr_kernarg_segment_ptr 1
		.amdhsa_user_sgpr_dispatch_id 0
		.amdhsa_user_sgpr_private_segment_size 0
		.amdhsa_wavefront_size32 1
		.amdhsa_uses_dynamic_stack 0
		.amdhsa_enable_private_segment 0
		.amdhsa_system_sgpr_workgroup_id_x 1
		.amdhsa_system_sgpr_workgroup_id_y 0
		.amdhsa_system_sgpr_workgroup_id_z 0
		.amdhsa_system_sgpr_workgroup_info 0
		.amdhsa_system_vgpr_workitem_id 0
		.amdhsa_next_free_vgpr 24
		.amdhsa_next_free_sgpr 90
		.amdhsa_reserve_vcc 1
		.amdhsa_float_round_mode_32 0
		.amdhsa_float_round_mode_16_64 0
		.amdhsa_float_denorm_mode_32 3
		.amdhsa_float_denorm_mode_16_64 3
		.amdhsa_fp16_overflow 0
		.amdhsa_workgroup_processor_mode 1
		.amdhsa_memory_ordered 1
		.amdhsa_forward_progress 1
		.amdhsa_inst_pref_size 30
		.amdhsa_round_robin_scheduling 0
		.amdhsa_exception_fp_ieee_invalid_op 0
		.amdhsa_exception_fp_denorm_src 0
		.amdhsa_exception_fp_ieee_div_zero 0
		.amdhsa_exception_fp_ieee_overflow 0
		.amdhsa_exception_fp_ieee_underflow 0
		.amdhsa_exception_fp_ieee_inexact 0
		.amdhsa_exception_int_div_zero 0
	.end_amdhsa_kernel
	.text
.Lfunc_end89:
	.size	naive_conv_ab_nonpacked_bwd_ncdhw_half_double_half_0, .Lfunc_end89-naive_conv_ab_nonpacked_bwd_ncdhw_half_double_half_0
                                        ; -- End function
	.set naive_conv_ab_nonpacked_bwd_ncdhw_half_double_half_0.num_vgpr, 24
	.set naive_conv_ab_nonpacked_bwd_ncdhw_half_double_half_0.num_agpr, 0
	.set naive_conv_ab_nonpacked_bwd_ncdhw_half_double_half_0.numbered_sgpr, 90
	.set naive_conv_ab_nonpacked_bwd_ncdhw_half_double_half_0.num_named_barrier, 0
	.set naive_conv_ab_nonpacked_bwd_ncdhw_half_double_half_0.private_seg_size, 0
	.set naive_conv_ab_nonpacked_bwd_ncdhw_half_double_half_0.uses_vcc, 1
	.set naive_conv_ab_nonpacked_bwd_ncdhw_half_double_half_0.uses_flat_scratch, 0
	.set naive_conv_ab_nonpacked_bwd_ncdhw_half_double_half_0.has_dyn_sized_stack, 0
	.set naive_conv_ab_nonpacked_bwd_ncdhw_half_double_half_0.has_recursion, 0
	.set naive_conv_ab_nonpacked_bwd_ncdhw_half_double_half_0.has_indirect_call, 0
	.section	.AMDGPU.csdata,"",@progbits
; Kernel info:
; codeLenInByte = 3780
; TotalNumSgprs: 92
; NumVgprs: 24
; ScratchSize: 0
; MemoryBound: 0
; FloatMode: 240
; IeeeMode: 1
; LDSByteSize: 0 bytes/workgroup (compile time only)
; SGPRBlocks: 0
; VGPRBlocks: 2
; NumSGPRsForWavesPerEU: 92
; NumVGPRsForWavesPerEU: 24
; Occupancy: 16
; WaveLimiterHint : 1
; COMPUTE_PGM_RSRC2:SCRATCH_EN: 0
; COMPUTE_PGM_RSRC2:USER_SGPR: 2
; COMPUTE_PGM_RSRC2:TRAP_HANDLER: 0
; COMPUTE_PGM_RSRC2:TGID_X_EN: 1
; COMPUTE_PGM_RSRC2:TGID_Y_EN: 0
; COMPUTE_PGM_RSRC2:TGID_Z_EN: 0
; COMPUTE_PGM_RSRC2:TIDIG_COMP_CNT: 0
	.text
	.protected	naive_conv_ab_packed_bwd_ncdhw_ushort_double_ushort_0 ; -- Begin function naive_conv_ab_packed_bwd_ncdhw_ushort_double_ushort_0
	.globl	naive_conv_ab_packed_bwd_ncdhw_ushort_double_ushort_0
	.p2align	8
	.type	naive_conv_ab_packed_bwd_ncdhw_ushort_double_ushort_0,@function
naive_conv_ab_packed_bwd_ncdhw_ushort_double_ushort_0: ; @naive_conv_ab_packed_bwd_ncdhw_ushort_double_ushort_0
; %bb.0:
	s_load_b512 s[4:19], s[0:1], 0xb8
	s_mov_b32 s25, exec_lo
	s_wait_kmcnt 0x0
	s_abs_i32 s3, s9
	s_mul_i32 s50, s6, s5
	s_cvt_f32_u32 s2, s3
	s_mul_i32 s33, s50, s4
	s_delay_alu instid0(SALU_CYCLE_2) | instskip(NEXT) | instid1(TRANS32_DEP_1)
	v_rcp_iflag_f32_e32 v1, s2
	v_readfirstlane_b32 s2, v1
	s_mul_f32 s2, s2, 0x4f7ffffe
	s_wait_alu 0xfffe
	s_delay_alu instid0(SALU_CYCLE_2) | instskip(SKIP_2) | instid1(SALU_CYCLE_1)
	s_cvt_u32_f32 s20, s2
	s_sub_co_i32 s2, 0, s3
	s_wait_alu 0xfffe
	s_mul_i32 s2, s2, s20
	s_wait_alu 0xfffe
	s_mul_hi_u32 s21, s20, s2
	s_abs_i32 s2, ttmp9
	s_add_co_i32 s20, s20, s21
	s_wait_alu 0xfffe
	s_mul_hi_u32 s20, s2, s20
	s_delay_alu instid0(SALU_CYCLE_1) | instskip(SKIP_2) | instid1(SALU_CYCLE_1)
	s_mul_i32 s21, s20, s3
	s_add_co_i32 s22, s20, 1
	s_sub_co_i32 s21, s2, s21
	s_sub_co_i32 s23, s21, s3
	s_cmp_ge_u32 s21, s3
	s_cselect_b32 s20, s22, s20
	s_cselect_b32 s21, s23, s21
	s_add_co_i32 s22, s20, 1
	s_cmp_ge_u32 s21, s3
	s_mul_i32 s21, s9, s7
	s_cselect_b32 s22, s22, s20
	s_abs_i32 s20, s7
	s_abs_i32 s7, s21
	s_cvt_f32_u32 s3, s20
	s_cvt_f32_u32 s23, s7
	s_wait_alu 0xfffe
	s_delay_alu instid0(SALU_CYCLE_1) | instskip(NEXT) | instid1(SALU_CYCLE_1)
	v_rcp_iflag_f32_e32 v1, s3
	v_rcp_iflag_f32_e32 v2, s23
	s_mov_b32 s3, 0
	s_delay_alu instid0(TRANS32_DEP_2) | instskip(NEXT) | instid1(TRANS32_DEP_1)
	v_readfirstlane_b32 s24, v1
	v_readfirstlane_b32 s23, v2
	v_cmpx_gt_i32_e64 s33, v0
	s_cbranch_execz .LBB90_38
; %bb.1:
	s_mul_f32 s24, s24, 0x4f7ffffe
	s_ashr_i32 s26, ttmp9, 31
	s_ashr_i32 s47, s9, 31
	s_mul_f32 s28, s23, 0x4f7ffffe
	s_cvt_u32_f32 s24, s24
	s_sub_co_i32 s25, 0, s20
	s_xor_b32 s27, s26, s47
	s_cvt_u32_f32 s28, s28
	s_xor_b32 s22, s22, s27
	s_mul_i32 s25, s25, s24
	s_wait_alu 0xfffe
	s_sub_co_i32 s27, s22, s27
	s_mul_hi_u32 s23, s24, s25
	s_sub_co_i32 s29, 0, s7
	s_abs_i32 s22, s27
	s_wait_alu 0xfffe
	s_add_co_i32 s24, s24, s23
	s_mov_b32 s23, s3
	s_mov_b32 s25, s3
	s_mul_i32 s29, s29, s28
	s_wait_alu 0xfffe
	s_mul_u64 s[24:25], s[22:23], s[24:25]
	s_mul_hi_u32 s23, s28, s29
	s_ashr_i32 s30, s27, 31
	s_wait_alu 0xfffe
	s_add_co_i32 s24, s28, s23
	s_mul_i32 s23, s25, s20
	s_mul_i32 s27, s27, s9
	s_wait_alu 0xfffe
	s_sub_co_i32 s22, s22, s23
	s_ashr_i32 s21, s21, 31
	s_sub_co_i32 s48, ttmp9, s27
	s_wait_alu 0xfffe
	s_sub_co_i32 s23, s22, s20
	s_cmp_ge_u32 s22, s20
	s_mov_b32 s25, s3
	s_wait_alu 0xfffe
	s_cselect_b32 s27, s23, s22
	s_mul_u64 s[22:23], s[2:3], s[24:25]
	s_clause 0x1
	s_load_b64 s[34:35], s[0:1], 0x108
	s_load_b32 s51, s[0:1], 0x11c
	s_sub_co_i32 s22, s27, s20
	s_cmp_ge_u32 s27, s20
	s_mov_b32 s36, s5
	s_wait_alu 0xfffe
	s_cselect_b32 s20, s22, s27
	s_xor_b32 s22, s26, s21
	s_xor_b32 s20, s20, s30
	s_mov_b32 s46, s9
	s_sub_co_i32 s42, s20, s30
	s_mul_i32 s20, s23, s7
	s_clause 0x1
	s_load_b128 s[28:31], s[0:1], 0xf8
	s_load_b64 s[62:63], s[0:1], 0x20
	s_sub_co_i32 s2, s2, s20
	s_add_co_i32 s20, s23, 1
	s_wait_alu 0xfffe
	s_sub_co_i32 s21, s2, s7
	s_cmp_ge_u32 s2, s7
	s_cselect_b32 s20, s20, s23
	s_cselect_b32 s2, s21, s2
	s_add_co_i32 s21, s20, 1
	s_wait_alu 0xfffe
	s_cmp_ge_u32 s2, s7
	s_cselect_b32 s2, s21, s20
	s_wait_kmcnt 0x0
	s_mul_i32 s20, s35, s9
	s_ashr_i32 s43, s42, 31
	s_ashr_i32 s21, s20, 31
	s_wait_alu 0xfffe
	s_xor_b32 s2, s2, s22
	s_mul_u64 s[40:41], s[42:43], s[20:21]
	s_ashr_i32 s21, s4, 31
	s_mov_b32 s20, s4
	s_ashr_i32 s37, s5, 31
	s_wait_alu 0xfffe
	s_sub_co_i32 s38, s2, s22
	s_mul_u64 s[52:53], s[36:37], s[20:21]
	s_load_b256 s[20:27], s[0:1], 0x0
	s_ashr_i32 s39, s38, 31
	s_ashr_i32 s49, s48, 31
	s_mul_u64 s[44:45], s[38:39], s[46:47]
	s_add_nc_u64 s[40:41], s[40:41], s[48:49]
	s_ashr_i32 s7, s6, 31
	s_add_nc_u64 s[40:41], s[40:41], s[44:45]
	s_mul_u64 s[44:45], s[52:53], s[6:7]
	s_mul_i32 s52, s35, s8
	s_mul_u64 s[40:41], s[44:45], s[40:41]
	s_ashr_i32 s53, s52, 31
	s_ashr_i32 s9, s8, 31
	s_mul_u64 s[44:45], s[42:43], s[52:53]
	s_ashr_i32 s43, s12, 31
	s_mov_b32 s42, s12
	s_lshl_b64 s[58:59], s[40:41], 1
	s_mul_u64 s[60:61], s[38:39], s[8:9]
	s_ashr_i32 s39, s10, 31
	s_mov_b32 s38, s10
	s_ashr_i32 s41, s11, 31
	s_wait_kmcnt 0x0
	v_cmp_neq_f64_e64 s2, s[24:25], 1.0
	v_cmp_neq_f64_e64 s12, s[26:27], 0
	s_mov_b32 s40, s11
	s_add_nc_u64 s[54:55], s[60:61], s[44:45]
	s_mul_u64 s[52:53], s[40:41], s[38:39]
	s_ashr_i32 s11, s30, 31
	s_mul_u64 s[52:53], s[52:53], s[42:43]
	s_ashr_i32 s45, s31, 31
	;; [unrolled: 2-line block ×3, first 2 shown]
	s_lshl_b64 s[52:53], s[52:53], 1
	s_cmp_gt_i32 s8, 0
	s_mov_b32 s44, s31
	s_cselect_b32 s9, -1, 0
	s_cmp_gt_i32 s30, 0
	s_mov_b32 s10, s30
	s_cselect_b32 s37, -1, 0
	s_cmp_gt_i32 s31, 0
	s_cselect_b32 s54, -1, 0
	s_cmp_gt_i32 s34, 0
	s_cselect_b32 s55, -1, 0
	s_abs_i32 s56, s6
	s_abs_i32 s57, s5
	s_cvt_f32_u32 s0, s56
	s_add_nc_u64 s[4:5], s[20:21], s[58:59]
	s_abs_i32 s58, s50
	s_add_nc_u64 s[20:21], s[62:63], s[52:53]
	v_rcp_iflag_f32_e32 v1, s0
	s_cvt_f32_u32 s0, s57
	s_cvt_f32_u32 s31, s58
	s_abs_i32 s62, s14
	s_abs_i32 s65, s15
	s_wait_alu 0xfffe
	v_rcp_iflag_f32_e32 v2, s0
	s_mul_u64 s[0:1], s[60:61], s[46:47]
	s_abs_i32 s61, s13
	s_and_b32 s60, s51, 0xffff
	s_sub_co_i32 s51, 0, s57
	v_readfirstlane_b32 s30, v1
	v_rcp_iflag_f32_e32 v1, s31
	s_or_b32 s59, s2, s12
	s_cvt_f32_u32 s31, s61
	s_ashr_i32 s68, s13, 31
	v_readfirstlane_b32 s12, v2
	s_mul_f32 s2, s30, 0x4f7ffffe
	s_sub_co_i32 s30, 0, s56
	s_ashr_i32 s70, s14, 31
	s_wait_alu 0xfffe
	s_add_nc_u64 s[0:1], s[0:1], s[48:49]
	s_mul_f32 s12, s12, 0x4f7ffffe
	v_readfirstlane_b32 s52, v1
	v_rcp_iflag_f32_e32 v1, s31
	s_cvt_f32_u32 s31, s62
	s_cvt_u32_f32 s12, s12
	s_cvt_u32_f32 s2, s2
	s_mul_f32 s52, s52, 0x4f7ffffe
	s_wait_alu 0xfffe
	v_rcp_iflag_f32_e32 v2, s31
	s_mul_i32 s51, s51, s12
	s_mul_i32 s30, s30, s2
	s_mul_hi_u32 s51, s12, s51
	s_cvt_f32_u32 s31, s65
	s_wait_alu 0xfffe
	s_mul_hi_u32 s30, s2, s30
	s_add_co_i32 s64, s12, s51
	v_readfirstlane_b32 s12, v1
	s_wait_alu 0xfffe
	s_add_co_i32 s63, s2, s30
	s_cvt_u32_f32 s2, s52
	v_rcp_iflag_f32_e32 v1, s31
	s_sub_co_i32 s30, 0, s58
	s_mul_f32 s12, s12, 0x4f7ffffe
	s_wait_alu 0xfffe
	s_mul_i32 s30, s30, s2
	v_readfirstlane_b32 s51, v2
	s_wait_alu 0xfffe
	s_mul_hi_u32 s30, s2, s30
	s_sub_co_i32 s31, 0, s62
	s_wait_alu 0xfffe
	s_add_co_i32 s67, s2, s30
	s_cvt_u32_f32 s2, s12
	s_mul_f32 s12, s51, 0x4f7ffffe
	s_sub_co_i32 s30, 0, s61
	v_readfirstlane_b32 s13, v1
	s_wait_alu 0xfffe
	s_mul_i32 s30, s30, s2
	s_cvt_u32_f32 s12, s12
	s_wait_alu 0xfffe
	s_mul_hi_u32 s30, s2, s30
	s_ashr_i32 s66, s50, 31
	s_wait_alu 0xfffe
	s_add_co_i32 s69, s2, s30
	s_mul_f32 s2, s13, 0x4f7ffffe
	s_mul_i32 s31, s31, s12
	s_wait_alu 0xfffe
	s_mul_hi_u32 s13, s12, s31
	s_cvt_u32_f32 s2, s2
	s_add_co_i32 s71, s12, s13
	s_mul_u64 s[30:31], s[34:35], s[44:45]
	s_sub_co_i32 s12, 0, s65
	s_ashr_i32 s45, s15, 31
	s_wait_alu 0xfffe
	s_mul_i32 s14, s12, s2
	s_mul_u64 s[12:13], s[30:31], s[10:11]
	s_mul_hi_u32 s11, s2, s14
	s_mul_u64 s[0:1], s[12:13], s[0:1]
	s_mul_u64 s[14:15], s[12:13], s[46:47]
	s_wait_alu 0xfffe
	s_lshl_b64 s[0:1], s[0:1], 1
	s_add_co_i32 s11, s2, s11
	s_wait_alu 0xfffe
	s_add_nc_u64 s[12:13], s[22:23], s[0:1]
	s_lshl_b64 s[14:15], s[14:15], 1
	s_lshl_b64 s[22:23], s[30:31], 1
	;; [unrolled: 1-line block ×3, first 2 shown]
	s_mov_b32 s35, 0
	s_branch .LBB90_3
.LBB90_2:                               ;   in Loop: Header=BB90_3 Depth=1
	v_add_nc_u32_e32 v0, s60, v0
	s_delay_alu instid0(VALU_DEP_1) | instskip(SKIP_1) | instid1(SALU_CYCLE_1)
	v_cmp_le_i32_e32 vcc_lo, s33, v0
	s_or_b32 s35, vcc_lo, s35
	s_and_not1_b32 exec_lo, exec_lo, s35
	s_cbranch_execz .LBB90_38
.LBB90_3:                               ; =>This Loop Header: Depth=1
                                        ;     Child Loop BB90_6 Depth 2
                                        ;       Child Loop BB90_9 Depth 3
                                        ;         Child Loop BB90_18 Depth 4
                                        ;           Child Loop BB90_25 Depth 5
	v_sub_nc_u32_e32 v1, 0, v0
	s_delay_alu instid0(VALU_DEP_1) | instskip(NEXT) | instid1(VALU_DEP_1)
	v_max_i32_e32 v1, v0, v1
	v_mul_hi_u32 v2, v1, s63
	s_delay_alu instid0(VALU_DEP_1) | instskip(NEXT) | instid1(VALU_DEP_1)
	v_mul_lo_u32 v3, v2, s56
	v_sub_nc_u32_e32 v3, v1, v3
	s_delay_alu instid0(VALU_DEP_1) | instskip(SKIP_2) | instid1(VALU_DEP_2)
	v_subrev_nc_u32_e32 v5, s56, v3
	v_cmp_le_u32_e32 vcc_lo, s56, v3
	s_wait_alu 0xfffd
	v_dual_cndmask_b32 v3, v3, v5 :: v_dual_add_nc_u32 v4, 1, v2
	s_delay_alu instid0(VALU_DEP_1) | instskip(SKIP_1) | instid1(VALU_DEP_3)
	v_cndmask_b32_e32 v2, v2, v4, vcc_lo
	v_ashrrev_i32_e32 v4, 31, v0
	v_cmp_le_u32_e32 vcc_lo, s56, v3
	s_delay_alu instid0(VALU_DEP_3) | instskip(NEXT) | instid1(VALU_DEP_3)
	v_add_nc_u32_e32 v5, 1, v2
	v_xor_b32_e32 v6, s7, v4
	s_wait_alu 0xfffd
	s_delay_alu instid0(VALU_DEP_2) | instskip(SKIP_1) | instid1(VALU_DEP_1)
	v_cndmask_b32_e32 v2, v2, v5, vcc_lo
	v_mul_hi_u32 v5, v1, s67
	v_mul_lo_u32 v7, v5, s58
	s_delay_alu instid0(VALU_DEP_1) | instskip(NEXT) | instid1(VALU_DEP_1)
	v_sub_nc_u32_e32 v1, v1, v7
	v_subrev_nc_u32_e32 v7, s58, v1
	v_cmp_le_u32_e32 vcc_lo, s58, v1
	s_wait_alu 0xfffd
	s_delay_alu instid0(VALU_DEP_2) | instskip(SKIP_2) | instid1(VALU_DEP_2)
	v_cndmask_b32_e32 v1, v1, v7, vcc_lo
	v_xor_b32_e32 v2, v2, v6
	v_xor_b32_e32 v7, s66, v4
	v_sub_nc_u32_e32 v2, v2, v6
	s_delay_alu instid0(VALU_DEP_1) | instskip(NEXT) | instid1(VALU_DEP_1)
	v_sub_nc_u32_e32 v3, 0, v2
	v_max_i32_e32 v3, v2, v3
	s_delay_alu instid0(VALU_DEP_1) | instskip(NEXT) | instid1(VALU_DEP_1)
	v_mul_hi_u32 v6, v3, s64
	v_mul_lo_u32 v6, v6, s57
	s_delay_alu instid0(VALU_DEP_1) | instskip(NEXT) | instid1(VALU_DEP_1)
	v_sub_nc_u32_e32 v3, v3, v6
	v_subrev_nc_u32_e32 v8, s57, v3
	v_cmp_le_u32_e64 s0, s57, v3
	s_wait_alu 0xf1ff
	s_delay_alu instid0(VALU_DEP_1) | instskip(NEXT) | instid1(VALU_DEP_1)
	v_cndmask_b32_e64 v3, v3, v8, s0
	v_subrev_nc_u32_e32 v4, s57, v3
	v_add_nc_u32_e32 v6, 1, v5
	s_delay_alu instid0(VALU_DEP_1) | instskip(SKIP_1) | instid1(VALU_DEP_2)
	v_cndmask_b32_e32 v5, v5, v6, vcc_lo
	v_cmp_le_u32_e32 vcc_lo, s58, v1
	v_add_nc_u32_e32 v6, 1, v5
	s_wait_alu 0xfffd
	s_delay_alu instid0(VALU_DEP_1) | instskip(SKIP_3) | instid1(VALU_DEP_4)
	v_cndmask_b32_e32 v1, v5, v6, vcc_lo
	v_cmp_le_u32_e32 vcc_lo, s57, v3
	v_ashrrev_i32_e32 v5, 31, v2
	v_mul_lo_u32 v2, v2, s6
	v_xor_b32_e32 v1, v1, v7
	s_wait_alu 0xfffd
	v_cndmask_b32_e32 v3, v3, v4, vcc_lo
	s_and_not1_b32 vcc_lo, exec_lo, s9
	s_delay_alu instid0(VALU_DEP_2) | instskip(NEXT) | instid1(VALU_DEP_2)
	v_sub_nc_u32_e32 v9, v1, v7
	v_xor_b32_e32 v4, v3, v5
	v_sub_nc_u32_e32 v3, v0, v2
	s_delay_alu instid0(VALU_DEP_2)
	v_sub_nc_u32_e32 v4, v4, v5
	s_wait_alu 0xfffe
	s_cbranch_vccnz .LBB90_33
; %bb.4:                                ;   in Loop: Header=BB90_3 Depth=1
	v_dual_mov_b32 v1, 0 :: v_dual_add_nc_u32 v10, s19, v9
	s_delay_alu instid0(VALU_DEP_2)
	v_dual_mov_b32 v2, 0 :: v_dual_add_nc_u32 v11, s28, v4
	v_add_nc_u32_e32 v12, s29, v3
	s_mov_b32 s2, 0
	s_mov_b64 s[0:1], s[12:13]
	s_branch .LBB90_6
.LBB90_5:                               ;   in Loop: Header=BB90_6 Depth=2
	s_add_co_i32 s2, s2, 1
	s_add_nc_u64 s[0:1], s[0:1], s[14:15]
	s_wait_alu 0xfffe
	s_cmp_eq_u32 s2, s8
	s_cbranch_scc1 .LBB90_34
.LBB90_6:                               ;   Parent Loop BB90_3 Depth=1
                                        ; =>  This Loop Header: Depth=2
                                        ;       Child Loop BB90_9 Depth 3
                                        ;         Child Loop BB90_18 Depth 4
                                        ;           Child Loop BB90_25 Depth 5
	s_and_not1_b32 vcc_lo, exec_lo, s37
	s_wait_alu 0xfffe
	s_cbranch_vccnz .LBB90_5
; %bb.7:                                ;   in Loop: Header=BB90_6 Depth=2
	s_mul_u64 s[46:47], s[2:3], s[38:39]
	s_mov_b32 s72, 0
	s_mov_b64 s[48:49], s[0:1]
	s_branch .LBB90_9
.LBB90_8:                               ;   in Loop: Header=BB90_9 Depth=3
	s_add_co_i32 s72, s72, 1
	s_add_nc_u64 s[48:49], s[48:49], s[22:23]
	s_cmp_eq_u32 s72, s10
	s_cbranch_scc1 .LBB90_5
.LBB90_9:                               ;   Parent Loop BB90_3 Depth=1
                                        ;     Parent Loop BB90_6 Depth=2
                                        ; =>    This Loop Header: Depth=3
                                        ;         Child Loop BB90_18 Depth 4
                                        ;           Child Loop BB90_25 Depth 5
	s_mul_i32 s50, s16, s72
	s_mov_b32 s51, exec_lo
	s_wait_alu 0xfffe
	v_subrev_nc_u32_e32 v14, s50, v10
	s_mov_b32 s50, 0
                                        ; implicit-def: $vgpr7
                                        ; implicit-def: $vgpr8
	s_delay_alu instid0(VALU_DEP_1) | instskip(SKIP_1) | instid1(VALU_DEP_2)
	v_sub_nc_u32_e32 v6, 0, v14
	v_ashrrev_i32_e32 v5, 31, v14
	v_max_i32_e32 v13, v14, v6
                                        ; implicit-def: $vgpr6
	v_cmpx_lt_i32_e32 -1, v14
	s_xor_b32 s51, exec_lo, s51
	s_cbranch_execnz .LBB90_13
; %bb.10:                               ;   in Loop: Header=BB90_9 Depth=3
	s_wait_alu 0xfffe
	s_and_not1_saveexec_b32 s51, s51
	s_cbranch_execnz .LBB90_14
.LBB90_11:                              ;   in Loop: Header=BB90_9 Depth=3
	s_wait_alu 0xfffe
	s_or_b32 exec_lo, exec_lo, s51
	v_mov_b32_e32 v13, 1
	s_and_saveexec_b32 s51, s50
	s_cbranch_execnz .LBB90_15
.LBB90_12:                              ;   in Loop: Header=BB90_9 Depth=3
	s_wait_alu 0xfffe
	s_or_b32 exec_lo, exec_lo, s51
	s_delay_alu instid0(SALU_CYCLE_1)
	s_and_not1_b32 vcc_lo, exec_lo, s54
	s_wait_alu 0xfffe
	s_cbranch_vccz .LBB90_16
	s_branch .LBB90_8
.LBB90_13:                              ;   in Loop: Header=BB90_9 Depth=3
	s_delay_alu instid0(VALU_DEP_2) | instskip(NEXT) | instid1(VALU_DEP_1)
	v_mul_hi_u32 v6, v13, s69
	v_mul_lo_u32 v5, v6, s61
	s_delay_alu instid0(VALU_DEP_1) | instskip(SKIP_1) | instid1(VALU_DEP_2)
	v_sub_nc_u32_e32 v7, v13, v5
	v_ashrrev_i32_e32 v5, 31, v14
	v_subrev_nc_u32_e32 v8, s61, v7
	v_cmp_le_u32_e32 vcc_lo, s61, v7
	s_wait_alu 0xfffd
	s_delay_alu instid0(VALU_DEP_2) | instskip(NEXT) | instid1(VALU_DEP_1)
	v_cndmask_b32_e32 v13, v7, v8, vcc_lo
	v_subrev_nc_u32_e32 v15, s61, v13
	v_cmp_le_u32_e32 vcc_lo, s61, v13
	s_wait_alu 0xfffd
	s_delay_alu instid0(VALU_DEP_2) | instskip(NEXT) | instid1(VALU_DEP_1)
	v_cndmask_b32_e32 v13, v13, v15, vcc_lo
	v_xor_b32_e32 v13, v13, v5
	s_delay_alu instid0(VALU_DEP_1) | instskip(NEXT) | instid1(VALU_DEP_1)
	v_sub_nc_u32_e32 v13, v13, v5
	v_cmp_ne_u32_e32 vcc_lo, 0, v13
                                        ; implicit-def: $vgpr13
	s_and_b32 s50, vcc_lo, exec_lo
	s_wait_alu 0xfffe
	s_and_not1_saveexec_b32 s51, s51
	s_cbranch_execz .LBB90_11
.LBB90_14:                              ;   in Loop: Header=BB90_9 Depth=3
	v_mul_hi_u32 v6, v13, s69
	s_or_b32 s50, s50, exec_lo
	s_delay_alu instid0(VALU_DEP_1) | instskip(NEXT) | instid1(VALU_DEP_1)
	v_mul_lo_u32 v7, v6, s61
	v_sub_nc_u32_e32 v7, v13, v7
	s_delay_alu instid0(VALU_DEP_1)
	v_subrev_nc_u32_e32 v8, s61, v7
	s_wait_alu 0xfffe
	s_or_b32 exec_lo, exec_lo, s51
	v_mov_b32_e32 v13, 1
	s_and_saveexec_b32 s51, s50
	s_cbranch_execz .LBB90_12
.LBB90_15:                              ;   in Loop: Header=BB90_9 Depth=3
	v_mov_b32_e32 v13, 0
	s_wait_alu 0xfffe
	s_or_b32 exec_lo, exec_lo, s51
	s_delay_alu instid0(SALU_CYCLE_1)
	s_and_not1_b32 vcc_lo, exec_lo, s54
	s_wait_alu 0xfffe
	s_cbranch_vccnz .LBB90_8
.LBB90_16:                              ;   in Loop: Header=BB90_9 Depth=3
	v_cmp_le_u32_e32 vcc_lo, s61, v7
	v_add_nc_u32_e32 v14, 1, v6
	v_xor_b32_e32 v5, s68, v5
	s_mov_b32 s73, 0
	s_mov_b64 s[50:51], s[48:49]
	s_wait_alu 0xfffd
	v_dual_cndmask_b32 v7, v7, v8 :: v_dual_cndmask_b32 v6, v6, v14
	s_delay_alu instid0(VALU_DEP_1) | instskip(NEXT) | instid1(VALU_DEP_2)
	v_cmp_le_u32_e32 vcc_lo, s61, v7
	v_add_nc_u32_e32 v8, 1, v6
	s_wait_alu 0xfffd
	s_delay_alu instid0(VALU_DEP_1) | instskip(NEXT) | instid1(VALU_DEP_1)
	v_cndmask_b32_e32 v6, v6, v8, vcc_lo
	v_xor_b32_e32 v6, v6, v5
	s_delay_alu instid0(VALU_DEP_1) | instskip(NEXT) | instid1(VALU_DEP_1)
	v_sub_nc_u32_e32 v7, v6, v5
	v_ashrrev_i32_e32 v5, 31, v7
	v_add_co_u32 v6, vcc_lo, s46, v7
	s_wait_alu 0xfffd
	s_delay_alu instid0(VALU_DEP_2) | instskip(NEXT) | instid1(VALU_DEP_2)
	v_add_co_ci_u32_e64 v5, null, s47, v5, vcc_lo
	v_mul_lo_u32 v8, v6, s41
	v_cmp_gt_i32_e32 vcc_lo, s38, v7
	s_delay_alu instid0(VALU_DEP_3) | instskip(SKIP_3) | instid1(VALU_DEP_2)
	v_mul_lo_u32 v14, v5, s40
	v_mad_co_u64_u32 v[5:6], null, v6, s40, 0
	s_wait_alu 0xfffd
	v_cndmask_b32_e32 v13, 0, v13, vcc_lo
	v_add3_u32 v6, v6, v8, v14
	s_branch .LBB90_18
.LBB90_17:                              ;   in Loop: Header=BB90_18 Depth=4
	s_add_co_i32 s73, s73, 1
	s_add_nc_u64 s[50:51], s[50:51], s[30:31]
	s_cmp_eq_u32 s73, s44
	s_cbranch_scc1 .LBB90_8
.LBB90_18:                              ;   Parent Loop BB90_3 Depth=1
                                        ;     Parent Loop BB90_6 Depth=2
                                        ;       Parent Loop BB90_9 Depth=3
                                        ; =>      This Loop Header: Depth=4
                                        ;           Child Loop BB90_25 Depth 5
	s_mul_i32 s52, s17, s73
	s_wait_alu 0xfffe
	v_subrev_nc_u32_e32 v8, s52, v11
	s_delay_alu instid0(VALU_DEP_1) | instskip(SKIP_3) | instid1(VALU_DEP_4)
	v_sub_nc_u32_e32 v14, 0, v8
	v_cmp_gt_i32_e64 s52, 0, v8
	v_cmp_lt_i32_e32 vcc_lo, -1, v8
	v_ashrrev_i32_e32 v7, 31, v8
	v_max_i32_e32 v8, v8, v14
	s_and_saveexec_b32 s53, vcc_lo
	s_cbranch_execnz .LBB90_21
; %bb.19:                               ;   in Loop: Header=BB90_18 Depth=4
	s_wait_alu 0xfffe
	s_or_b32 exec_lo, exec_lo, s53
	v_mov_b32_e32 v14, 1
	s_and_saveexec_b32 s53, s52
	s_cbranch_execnz .LBB90_22
.LBB90_20:                              ;   in Loop: Header=BB90_18 Depth=4
	s_wait_alu 0xfffe
	s_or_b32 exec_lo, exec_lo, s53
	s_delay_alu instid0(SALU_CYCLE_1)
	s_and_not1_b32 vcc_lo, exec_lo, s55
	s_wait_alu 0xfffe
	s_cbranch_vccz .LBB90_23
	s_branch .LBB90_17
.LBB90_21:                              ;   in Loop: Header=BB90_18 Depth=4
	s_delay_alu instid0(VALU_DEP_1) | instskip(SKIP_1) | instid1(VALU_DEP_1)
	v_mul_hi_u32 v14, v8, s71
	s_and_not1_b32 s52, s52, exec_lo
	v_mul_lo_u32 v14, v14, s62
	s_delay_alu instid0(VALU_DEP_1) | instskip(NEXT) | instid1(VALU_DEP_1)
	v_sub_nc_u32_e32 v14, v8, v14
	v_subrev_nc_u32_e32 v15, s62, v14
	v_cmp_le_u32_e32 vcc_lo, s62, v14
	s_wait_alu 0xfffd
	s_delay_alu instid0(VALU_DEP_2) | instskip(NEXT) | instid1(VALU_DEP_1)
	v_cndmask_b32_e32 v14, v14, v15, vcc_lo
	v_subrev_nc_u32_e32 v15, s62, v14
	v_cmp_le_u32_e32 vcc_lo, s62, v14
	s_wait_alu 0xfffd
	s_delay_alu instid0(VALU_DEP_2) | instskip(NEXT) | instid1(VALU_DEP_1)
	v_cndmask_b32_e32 v14, v14, v15, vcc_lo
	v_xor_b32_e32 v14, v14, v7
	s_delay_alu instid0(VALU_DEP_1) | instskip(NEXT) | instid1(VALU_DEP_1)
	v_sub_nc_u32_e32 v14, v14, v7
	v_cmp_ne_u32_e32 vcc_lo, 0, v14
	s_and_b32 s74, vcc_lo, exec_lo
	s_wait_alu 0xfffe
	s_or_b32 s52, s52, s74
	s_or_b32 exec_lo, exec_lo, s53
	v_mov_b32_e32 v14, 1
	s_wait_alu 0xfffe
	s_and_saveexec_b32 s53, s52
	s_cbranch_execz .LBB90_20
.LBB90_22:                              ;   in Loop: Header=BB90_18 Depth=4
	v_mov_b32_e32 v14, 0
	s_wait_alu 0xfffe
	s_or_b32 exec_lo, exec_lo, s53
	s_delay_alu instid0(SALU_CYCLE_1)
	s_and_not1_b32 vcc_lo, exec_lo, s55
	s_wait_alu 0xfffe
	s_cbranch_vccnz .LBB90_17
.LBB90_23:                              ;   in Loop: Header=BB90_18 Depth=4
	v_mul_hi_u32 v15, v8, s71
	v_xor_b32_e32 v7, s70, v7
	s_mov_b64 s[52:53], s[50:51]
	s_mov_b32 s74, s34
	s_delay_alu instid0(VALU_DEP_2) | instskip(NEXT) | instid1(VALU_DEP_1)
	v_mul_lo_u32 v16, v15, s62
	v_sub_nc_u32_e32 v8, v8, v16
	v_add_nc_u32_e32 v16, 1, v15
	s_delay_alu instid0(VALU_DEP_2) | instskip(SKIP_2) | instid1(VALU_DEP_2)
	v_subrev_nc_u32_e32 v17, s62, v8
	v_cmp_le_u32_e32 vcc_lo, s62, v8
	s_wait_alu 0xfffd
	v_dual_cndmask_b32 v15, v15, v16 :: v_dual_cndmask_b32 v8, v8, v17
	s_delay_alu instid0(VALU_DEP_1) | instskip(NEXT) | instid1(VALU_DEP_2)
	v_add_nc_u32_e32 v16, 1, v15
	v_cmp_le_u32_e32 vcc_lo, s62, v8
	s_wait_alu 0xfffd
	s_delay_alu instid0(VALU_DEP_2) | instskip(NEXT) | instid1(VALU_DEP_1)
	v_cndmask_b32_e32 v8, v15, v16, vcc_lo
	v_xor_b32_e32 v8, v8, v7
	s_delay_alu instid0(VALU_DEP_1) | instskip(NEXT) | instid1(VALU_DEP_1)
	v_sub_nc_u32_e32 v15, v8, v7
	v_ashrrev_i32_e32 v7, 31, v15
	v_add_co_u32 v8, vcc_lo, v5, v15
	s_wait_alu 0xfffd
	s_delay_alu instid0(VALU_DEP_2) | instskip(NEXT) | instid1(VALU_DEP_2)
	v_add_co_ci_u32_e64 v16, null, v6, v7, vcc_lo
	v_mul_lo_u32 v17, v8, s43
	v_mad_co_u64_u32 v[7:8], null, v8, s42, 0
	s_delay_alu instid0(VALU_DEP_3) | instskip(SKIP_3) | instid1(VALU_DEP_3)
	v_mul_lo_u32 v16, v16, s42
	v_cmp_gt_i32_e32 vcc_lo, s40, v15
	s_wait_alu 0xfffd
	v_cndmask_b32_e32 v14, 0, v14, vcc_lo
	v_add3_u32 v8, v8, v17, v16
	s_delay_alu instid0(VALU_DEP_2) | instskip(NEXT) | instid1(VALU_DEP_2)
	v_dual_mov_b32 v17, v12 :: v_dual_and_b32 v14, v14, v13
	v_lshlrev_b64_e32 v[7:8], 1, v[7:8]
	s_delay_alu instid0(VALU_DEP_1) | instskip(SKIP_1) | instid1(VALU_DEP_2)
	v_add_co_u32 v15, vcc_lo, s20, v7
	s_wait_alu 0xfffd
	v_add_co_ci_u32_e64 v16, null, s21, v8, vcc_lo
	s_branch .LBB90_25
.LBB90_24:                              ;   in Loop: Header=BB90_25 Depth=5
	s_or_b32 exec_lo, exec_lo, s75
	v_subrev_nc_u32_e32 v17, s18, v17
	s_add_co_i32 s74, s74, -1
	s_wait_alu 0xfffe
	s_add_nc_u64 s[52:53], s[52:53], 2
	s_cmp_eq_u32 s74, 0
	s_cbranch_scc1 .LBB90_17
.LBB90_25:                              ;   Parent Loop BB90_3 Depth=1
                                        ;     Parent Loop BB90_6 Depth=2
                                        ;       Parent Loop BB90_9 Depth=3
                                        ;         Parent Loop BB90_18 Depth=4
                                        ; =>        This Inner Loop Header: Depth=5
	v_sub_nc_u32_e32 v8, 0, v17
	v_ashrrev_i32_e32 v7, 31, v17
	s_mov_b32 s75, 0
	s_mov_b32 s76, exec_lo
                                        ; implicit-def: $vgpr18
                                        ; implicit-def: $vgpr19
	s_delay_alu instid0(VALU_DEP_2)
	v_max_i32_e32 v20, v17, v8
                                        ; implicit-def: $vgpr8
	v_cmpx_lt_i32_e32 -1, v17
	s_wait_alu 0xfffe
	s_xor_b32 s76, exec_lo, s76
	s_cbranch_execnz .LBB90_31
; %bb.26:                               ;   in Loop: Header=BB90_25 Depth=5
	s_wait_alu 0xfffe
	s_and_not1_saveexec_b32 s76, s76
	s_cbranch_execnz .LBB90_32
.LBB90_27:                              ;   in Loop: Header=BB90_25 Depth=5
	s_wait_alu 0xfffe
	s_or_b32 exec_lo, exec_lo, s76
	v_mov_b32_e32 v20, 1
	s_and_saveexec_b32 s76, s75
.LBB90_28:                              ;   in Loop: Header=BB90_25 Depth=5
	v_mov_b32_e32 v20, 0
.LBB90_29:                              ;   in Loop: Header=BB90_25 Depth=5
	s_wait_alu 0xfffe
	s_or_b32 exec_lo, exec_lo, s76
	v_cmp_le_u32_e32 vcc_lo, s65, v18
	v_add_nc_u32_e32 v21, 1, v8
	v_xor_b32_e32 v7, s45, v7
	s_mov_b32 s75, exec_lo
	s_wait_alu 0xfffd
	v_cndmask_b32_e32 v18, v18, v19, vcc_lo
	v_cndmask_b32_e32 v8, v8, v21, vcc_lo
	s_delay_alu instid0(VALU_DEP_2) | instskip(NEXT) | instid1(VALU_DEP_2)
	v_cmp_le_u32_e32 vcc_lo, s65, v18
	v_add_nc_u32_e32 v19, 1, v8
	s_wait_alu 0xfffd
	s_delay_alu instid0(VALU_DEP_1) | instskip(NEXT) | instid1(VALU_DEP_1)
	v_cndmask_b32_e32 v8, v8, v19, vcc_lo
	v_xor_b32_e32 v8, v8, v7
	s_delay_alu instid0(VALU_DEP_1) | instskip(NEXT) | instid1(VALU_DEP_1)
	v_sub_nc_u32_e32 v7, v8, v7
	v_cmp_gt_i32_e32 vcc_lo, s42, v7
	s_wait_alu 0xfffd
	v_cndmask_b32_e32 v8, 0, v20, vcc_lo
	s_delay_alu instid0(VALU_DEP_1) | instskip(NEXT) | instid1(VALU_DEP_1)
	v_and_b32_e32 v8, v14, v8
	v_and_b32_e32 v8, 1, v8
	s_delay_alu instid0(VALU_DEP_1)
	v_cmpx_eq_u32_e32 1, v8
	s_cbranch_execz .LBB90_24
; %bb.30:                               ;   in Loop: Header=BB90_25 Depth=5
	v_ashrrev_i32_e32 v8, 31, v7
	s_load_u16 s76, s[52:53], 0x0
	s_delay_alu instid0(VALU_DEP_1) | instskip(NEXT) | instid1(VALU_DEP_1)
	v_lshlrev_b64_e32 v[7:8], 1, v[7:8]
	v_add_co_u32 v7, vcc_lo, v15, v7
	s_wait_alu 0xfffd
	s_delay_alu instid0(VALU_DEP_2)
	v_add_co_ci_u32_e64 v8, null, v16, v8, vcc_lo
	global_load_u16 v7, v[7:8], off
	s_wait_kmcnt 0x0
	s_lshl_b32 s76, s76, 16
	s_wait_loadcnt 0x0
	v_lshlrev_b32_e32 v18, 16, v7
	s_wait_alu 0xfffe
	v_cvt_f64_f32_e32 v[7:8], s76
	s_delay_alu instid0(VALU_DEP_2) | instskip(NEXT) | instid1(VALU_DEP_1)
	v_cvt_f64_f32_e32 v[18:19], v18
	v_fma_f64 v[1:2], v[18:19], v[7:8], v[1:2]
	s_branch .LBB90_24
.LBB90_31:                              ;   in Loop: Header=BB90_25 Depth=5
	v_mul_hi_u32 v8, v20, s11
	s_delay_alu instid0(VALU_DEP_1) | instskip(NEXT) | instid1(VALU_DEP_1)
	v_mul_lo_u32 v7, v8, s65
	v_sub_nc_u32_e32 v18, v20, v7
	v_ashrrev_i32_e32 v7, 31, v17
	s_delay_alu instid0(VALU_DEP_2) | instskip(SKIP_2) | instid1(VALU_DEP_2)
	v_subrev_nc_u32_e32 v19, s65, v18
	v_cmp_le_u32_e32 vcc_lo, s65, v18
	s_wait_alu 0xfffd
	v_cndmask_b32_e32 v20, v18, v19, vcc_lo
	s_delay_alu instid0(VALU_DEP_1) | instskip(SKIP_2) | instid1(VALU_DEP_2)
	v_subrev_nc_u32_e32 v21, s65, v20
	v_cmp_le_u32_e32 vcc_lo, s65, v20
	s_wait_alu 0xfffd
	v_cndmask_b32_e32 v20, v20, v21, vcc_lo
	s_delay_alu instid0(VALU_DEP_1) | instskip(NEXT) | instid1(VALU_DEP_1)
	v_xor_b32_e32 v20, v20, v7
	v_sub_nc_u32_e32 v20, v20, v7
	s_delay_alu instid0(VALU_DEP_1)
	v_cmp_ne_u32_e32 vcc_lo, 0, v20
                                        ; implicit-def: $vgpr20
	s_and_b32 s75, vcc_lo, exec_lo
	s_wait_alu 0xfffe
	s_and_not1_saveexec_b32 s76, s76
	s_cbranch_execz .LBB90_27
.LBB90_32:                              ;   in Loop: Header=BB90_25 Depth=5
	v_mul_hi_u32 v8, v20, s11
	s_or_b32 s75, s75, exec_lo
	s_delay_alu instid0(VALU_DEP_1) | instskip(NEXT) | instid1(VALU_DEP_1)
	v_mul_lo_u32 v18, v8, s65
	v_sub_nc_u32_e32 v18, v20, v18
	s_delay_alu instid0(VALU_DEP_1)
	v_subrev_nc_u32_e32 v19, s65, v18
	s_wait_alu 0xfffe
	s_or_b32 exec_lo, exec_lo, s76
	v_mov_b32_e32 v20, 1
	s_and_saveexec_b32 s76, s75
	s_cbranch_execnz .LBB90_28
	s_branch .LBB90_29
.LBB90_33:                              ;   in Loop: Header=BB90_3 Depth=1
	v_mov_b32_e32 v1, 0
	v_mov_b32_e32 v2, 0
.LBB90_34:                              ;   in Loop: Header=BB90_3 Depth=1
	v_ashrrev_i32_e32 v5, 31, v4
	s_and_b32 vcc_lo, exec_lo, s59
	s_mov_b32 s0, -1
	s_delay_alu instid0(VALU_DEP_1) | instskip(SKIP_1) | instid1(VALU_DEP_1)
	v_mad_co_i64_i32 v[5:6], null, v9, s36, v[4:5]
	v_ashrrev_i32_e32 v4, 31, v3
	v_mad_co_u64_u32 v[3:4], null, v5, s6, v[3:4]
	v_mul_lo_u32 v5, v5, s7
	s_delay_alu instid0(VALU_DEP_4) | instskip(NEXT) | instid1(VALU_DEP_1)
	v_mul_lo_u32 v6, v6, s6
	v_add3_u32 v4, v6, v4, v5
	s_delay_alu instid0(VALU_DEP_1)
	v_lshlrev_b64_e32 v[3:4], 1, v[3:4]
	s_wait_alu 0xfffe
	s_cbranch_vccz .LBB90_36
; %bb.35:                               ;   in Loop: Header=BB90_3 Depth=1
	s_delay_alu instid0(VALU_DEP_1) | instskip(SKIP_1) | instid1(VALU_DEP_2)
	v_add_co_u32 v5, vcc_lo, s4, v3
	s_wait_alu 0xfffd
	v_add_co_ci_u32_e64 v6, null, s5, v4, vcc_lo
	global_load_u16 v7, v[5:6], off
	s_wait_loadcnt 0x0
	v_lshlrev_b32_e32 v7, 16, v7
	s_delay_alu instid0(VALU_DEP_1) | instskip(NEXT) | instid1(VALU_DEP_1)
	v_cvt_f64_f32_e32 v[7:8], v7
	v_mul_f64_e32 v[7:8], s[26:27], v[7:8]
	s_delay_alu instid0(VALU_DEP_1) | instskip(NEXT) | instid1(VALU_DEP_1)
	v_fma_f64 v[7:8], s[24:25], v[1:2], v[7:8]
	v_cvt_f32_f64_e32 v7, v[7:8]
	s_delay_alu instid0(VALU_DEP_1) | instskip(SKIP_2) | instid1(VALU_DEP_3)
	v_and_b32_e32 v8, 0x7f800000, v7
	v_and_b32_e32 v9, 0xffff, v7
	v_lshrrev_b32_e32 v7, 16, v7
	v_cmp_eq_u32_e32 vcc_lo, 0x7f800000, v8
	s_delay_alu instid0(VALU_DEP_3) | instskip(SKIP_4) | instid1(VALU_DEP_1)
	v_cmp_ne_u32_e64 s0, 0, v9
	s_and_b32 s0, vcc_lo, s0
	s_wait_alu 0xfffe
	v_cndmask_b32_e64 v8, 0, 1, s0
	s_mov_b32 s0, 0
	v_or_b32_e32 v7, v7, v8
	global_store_b16 v[5:6], v7, off
.LBB90_36:                              ;   in Loop: Header=BB90_3 Depth=1
	s_wait_alu 0xfffe
	s_and_not1_b32 vcc_lo, exec_lo, s0
	s_wait_alu 0xfffe
	s_cbranch_vccnz .LBB90_2
; %bb.37:                               ;   in Loop: Header=BB90_3 Depth=1
	v_cvt_f32_f64_e32 v1, v[1:2]
	s_delay_alu instid0(VALU_DEP_1) | instskip(SKIP_2) | instid1(VALU_DEP_3)
	v_and_b32_e32 v2, 0x7f800000, v1
	v_and_b32_e32 v5, 0xffff, v1
	v_lshrrev_b32_e32 v1, 16, v1
	v_cmp_eq_u32_e32 vcc_lo, 0x7f800000, v2
	s_delay_alu instid0(VALU_DEP_3) | instskip(SKIP_3) | instid1(VALU_DEP_1)
	v_cmp_ne_u32_e64 s0, 0, v5
	s_and_b32 s0, vcc_lo, s0
	s_wait_alu 0xfffe
	v_cndmask_b32_e64 v2, 0, 1, s0
	v_or_b32_e32 v5, v1, v2
	v_add_co_u32 v1, vcc_lo, s4, v3
	s_wait_alu 0xfffd
	v_add_co_ci_u32_e64 v2, null, s5, v4, vcc_lo
	global_store_b16 v[1:2], v5, off
	s_branch .LBB90_2
.LBB90_38:
	s_endpgm
	.section	.rodata,"a",@progbits
	.p2align	6, 0x0
	.amdhsa_kernel naive_conv_ab_packed_bwd_ncdhw_ushort_double_ushort_0
		.amdhsa_group_segment_fixed_size 0
		.amdhsa_private_segment_fixed_size 0
		.amdhsa_kernarg_size 528
		.amdhsa_user_sgpr_count 2
		.amdhsa_user_sgpr_dispatch_ptr 0
		.amdhsa_user_sgpr_queue_ptr 0
		.amdhsa_user_sgpr_kernarg_segment_ptr 1
		.amdhsa_user_sgpr_dispatch_id 0
		.amdhsa_user_sgpr_private_segment_size 0
		.amdhsa_wavefront_size32 1
		.amdhsa_uses_dynamic_stack 0
		.amdhsa_enable_private_segment 0
		.amdhsa_system_sgpr_workgroup_id_x 1
		.amdhsa_system_sgpr_workgroup_id_y 0
		.amdhsa_system_sgpr_workgroup_id_z 0
		.amdhsa_system_sgpr_workgroup_info 0
		.amdhsa_system_vgpr_workitem_id 0
		.amdhsa_next_free_vgpr 22
		.amdhsa_next_free_sgpr 77
		.amdhsa_reserve_vcc 1
		.amdhsa_float_round_mode_32 0
		.amdhsa_float_round_mode_16_64 0
		.amdhsa_float_denorm_mode_32 3
		.amdhsa_float_denorm_mode_16_64 3
		.amdhsa_fp16_overflow 0
		.amdhsa_workgroup_processor_mode 1
		.amdhsa_memory_ordered 1
		.amdhsa_forward_progress 1
		.amdhsa_inst_pref_size 27
		.amdhsa_round_robin_scheduling 0
		.amdhsa_exception_fp_ieee_invalid_op 0
		.amdhsa_exception_fp_denorm_src 0
		.amdhsa_exception_fp_ieee_div_zero 0
		.amdhsa_exception_fp_ieee_overflow 0
		.amdhsa_exception_fp_ieee_underflow 0
		.amdhsa_exception_fp_ieee_inexact 0
		.amdhsa_exception_int_div_zero 0
	.end_amdhsa_kernel
	.text
.Lfunc_end90:
	.size	naive_conv_ab_packed_bwd_ncdhw_ushort_double_ushort_0, .Lfunc_end90-naive_conv_ab_packed_bwd_ncdhw_ushort_double_ushort_0
                                        ; -- End function
	.set naive_conv_ab_packed_bwd_ncdhw_ushort_double_ushort_0.num_vgpr, 22
	.set naive_conv_ab_packed_bwd_ncdhw_ushort_double_ushort_0.num_agpr, 0
	.set naive_conv_ab_packed_bwd_ncdhw_ushort_double_ushort_0.numbered_sgpr, 77
	.set naive_conv_ab_packed_bwd_ncdhw_ushort_double_ushort_0.num_named_barrier, 0
	.set naive_conv_ab_packed_bwd_ncdhw_ushort_double_ushort_0.private_seg_size, 0
	.set naive_conv_ab_packed_bwd_ncdhw_ushort_double_ushort_0.uses_vcc, 1
	.set naive_conv_ab_packed_bwd_ncdhw_ushort_double_ushort_0.uses_flat_scratch, 0
	.set naive_conv_ab_packed_bwd_ncdhw_ushort_double_ushort_0.has_dyn_sized_stack, 0
	.set naive_conv_ab_packed_bwd_ncdhw_ushort_double_ushort_0.has_recursion, 0
	.set naive_conv_ab_packed_bwd_ncdhw_ushort_double_ushort_0.has_indirect_call, 0
	.section	.AMDGPU.csdata,"",@progbits
; Kernel info:
; codeLenInByte = 3348
; TotalNumSgprs: 79
; NumVgprs: 22
; ScratchSize: 0
; MemoryBound: 0
; FloatMode: 240
; IeeeMode: 1
; LDSByteSize: 0 bytes/workgroup (compile time only)
; SGPRBlocks: 0
; VGPRBlocks: 2
; NumSGPRsForWavesPerEU: 79
; NumVGPRsForWavesPerEU: 22
; Occupancy: 16
; WaveLimiterHint : 1
; COMPUTE_PGM_RSRC2:SCRATCH_EN: 0
; COMPUTE_PGM_RSRC2:USER_SGPR: 2
; COMPUTE_PGM_RSRC2:TRAP_HANDLER: 0
; COMPUTE_PGM_RSRC2:TGID_X_EN: 1
; COMPUTE_PGM_RSRC2:TGID_Y_EN: 0
; COMPUTE_PGM_RSRC2:TGID_Z_EN: 0
; COMPUTE_PGM_RSRC2:TIDIG_COMP_CNT: 0
	.text
	.protected	naive_conv_ab_nonpacked_bwd_ncdhw_ushort_double_ushort_0 ; -- Begin function naive_conv_ab_nonpacked_bwd_ncdhw_ushort_double_ushort_0
	.globl	naive_conv_ab_nonpacked_bwd_ncdhw_ushort_double_ushort_0
	.p2align	8
	.type	naive_conv_ab_nonpacked_bwd_ncdhw_ushort_double_ushort_0,@function
naive_conv_ab_nonpacked_bwd_ncdhw_ushort_double_ushort_0: ; @naive_conv_ab_nonpacked_bwd_ncdhw_ushort_double_ushort_0
; %bb.0:
	s_load_b512 s[4:19], s[0:1], 0xb8
	s_mov_b32 s24, exec_lo
	s_wait_kmcnt 0x0
	s_abs_i32 s3, s9
	s_mul_i32 s84, s6, s5
	s_cvt_f32_u32 s2, s3
	s_delay_alu instid0(SALU_CYCLE_3) | instskip(NEXT) | instid1(TRANS32_DEP_1)
	v_rcp_iflag_f32_e32 v1, s2
	v_readfirstlane_b32 s2, v1
	s_mul_f32 s2, s2, 0x4f7ffffe
	s_wait_alu 0xfffe
	s_delay_alu instid0(SALU_CYCLE_2) | instskip(SKIP_2) | instid1(SALU_CYCLE_1)
	s_cvt_u32_f32 s20, s2
	s_sub_co_i32 s2, 0, s3
	s_wait_alu 0xfffe
	s_mul_i32 s2, s2, s20
	s_wait_alu 0xfffe
	s_mul_hi_u32 s21, s20, s2
	s_abs_i32 s2, ttmp9
	s_add_co_i32 s20, s20, s21
	s_wait_alu 0xfffe
	s_mul_hi_u32 s20, s2, s20
	s_delay_alu instid0(SALU_CYCLE_1) | instskip(SKIP_2) | instid1(SALU_CYCLE_1)
	s_mul_i32 s21, s20, s3
	s_add_co_i32 s22, s20, 1
	s_sub_co_i32 s21, s2, s21
	s_sub_co_i32 s23, s21, s3
	s_cmp_ge_u32 s21, s3
	s_cselect_b32 s20, s22, s20
	s_cselect_b32 s21, s23, s21
	s_add_co_i32 s22, s20, 1
	s_cmp_ge_u32 s21, s3
	s_mul_i32 s21, s9, s7
	s_cselect_b32 s22, s22, s20
	s_abs_i32 s20, s7
	s_abs_i32 s28, s21
	s_cvt_f32_u32 s3, s20
	s_cvt_f32_u32 s7, s28
	s_wait_alu 0xfffe
	s_delay_alu instid0(SALU_CYCLE_1) | instskip(NEXT) | instid1(SALU_CYCLE_1)
	v_rcp_iflag_f32_e32 v1, s3
	v_rcp_iflag_f32_e32 v2, s7
	s_mul_i32 s7, s84, s4
	s_mov_b32 s3, 0
	s_delay_alu instid0(TRANS32_DEP_2) | instskip(NEXT) | instid1(TRANS32_DEP_1)
	v_readfirstlane_b32 s23, v1
	v_readfirstlane_b32 s4, v2
	s_wait_alu 0xfffe
	v_cmpx_gt_i32_e64 s7, v0
	s_cbranch_execz .LBB91_38
; %bb.1:
	s_mul_f32 s23, s23, 0x4f7ffffe
	s_ashr_i32 s26, ttmp9, 31
	s_ashr_i32 s24, s9, 31
	s_mul_f32 s4, s4, 0x4f7ffffe
	s_cvt_u32_f32 s23, s23
	s_sub_co_i32 s25, 0, s20
	s_xor_b32 s24, s26, s24
	s_cvt_u32_f32 s4, s4
	s_xor_b32 s22, s22, s24
	s_mul_i32 s25, s25, s23
	s_sub_co_i32 s27, s22, s24
	s_mul_hi_u32 s24, s23, s25
	s_sub_co_i32 s29, 0, s28
	s_abs_i32 s22, s27
	s_add_co_i32 s24, s23, s24
	s_mov_b32 s23, s3
	s_mov_b32 s25, s3
	s_mul_i32 s29, s29, s4
	s_mul_u64 s[24:25], s[22:23], s[24:25]
	s_mul_hi_u32 s24, s4, s29
	s_ashr_i32 s23, s27, 31
	s_add_co_i32 s24, s4, s24
	s_mul_i32 s4, s25, s20
	s_mul_i32 s27, s27, s9
	s_sub_co_i32 s4, s22, s4
	s_ashr_i32 s21, s21, 31
	s_sub_co_i32 s34, ttmp9, s27
	s_sub_co_i32 s9, s4, s20
	s_cmp_ge_u32 s4, s20
	s_mov_b32 s25, s3
	s_cselect_b32 s4, s9, s4
	s_mul_u64 s[30:31], s[2:3], s[24:25]
	s_sub_co_i32 s9, s4, s20
	s_cmp_ge_u32 s4, s20
	s_load_b512 s[36:51], s[0:1], 0x28
	s_cselect_b32 s4, s9, s4
	s_xor_b32 s33, s26, s21
	s_xor_b32 s4, s4, s23
	s_load_b128 s[52:55], s[0:1], 0xa8
	s_sub_co_i32 s56, s4, s23
	s_mul_i32 s4, s31, s28
	s_load_b256 s[20:27], s[0:1], 0x0
	s_sub_co_i32 s2, s2, s4
	s_add_co_i32 s4, s31, 1
	s_wait_alu 0xfffe
	s_sub_co_i32 s9, s2, s28
	s_cmp_ge_u32 s2, s28
	s_load_b32 s83, s[0:1], 0x11c
	s_cselect_b32 s4, s4, s31
	s_cselect_b32 s2, s9, s2
	s_add_co_i32 s9, s4, 1
	s_wait_alu 0xfffe
	s_cmp_ge_u32 s2, s28
	s_load_b128 s[28:31], s[0:1], 0xf8
	s_cselect_b32 s2, s9, s4
	s_load_b32 s9, s[0:1], 0x108
	s_xor_b32 s2, s2, s33
	s_ashr_i32 s57, s56, 31
	s_wait_alu 0xfffe
	s_sub_co_i32 s68, s2, s33
	s_ashr_i32 s35, s34, 31
	s_ashr_i32 s69, s68, 31
	s_wait_kmcnt 0x0
	s_mul_u64 s[46:47], s[46:47], s[56:57]
	s_mul_u64 s[44:45], s[44:45], s[68:69]
	v_cmp_neq_f64_e64 s2, s[24:25], 1.0
	v_cmp_neq_f64_e64 s82, s[26:27], 0
	s_mul_u64 s[42:43], s[42:43], s[34:35]
	s_mul_u64 s[54:55], s[54:55], s[56:57]
	;; [unrolled: 1-line block ×3, first 2 shown]
	s_lshl_b64 s[46:47], s[46:47], 1
	s_lshl_b64 s[44:45], s[44:45], 1
	s_lshl_b64 s[42:43], s[42:43], 1
	s_lshl_b64 s[76:77], s[54:55], 1
	s_lshl_b64 s[78:79], s[52:53], 1
	s_cmp_gt_i32 s8, 0
	s_load_b64 s[80:81], s[0:1], 0x20
	s_cselect_b32 s33, -1, 0
	s_cmp_gt_i32 s30, 0
	s_load_b512 s[52:67], s[0:1], 0x68
	s_cselect_b32 s70, -1, 0
	s_cmp_gt_i32 s31, 0
	s_add_nc_u64 s[0:1], s[20:21], s[46:47]
	s_cselect_b32 s71, -1, 0
	s_cmp_gt_i32 s9, 0
	s_add_nc_u64 s[0:1], s[0:1], s[44:45]
	s_cselect_b32 s72, -1, 0
	s_abs_i32 s73, s6
	s_abs_i32 s74, s5
	s_cvt_f32_u32 s4, s73
	s_abs_i32 s75, s84
	s_ashr_i32 s87, s14, 31
	s_ashr_i32 s89, s15, 31
	v_rcp_iflag_f32_e32 v1, s4
	s_cvt_f32_u32 s4, s74
	s_ashr_i32 s84, s84, 31
	s_wait_kmcnt 0x0
	s_add_nc_u64 s[20:21], s[80:81], s[76:77]
	s_abs_i32 s80, s14
	s_add_nc_u64 s[20:21], s[20:21], s[78:79]
	s_abs_i32 s79, s13
	s_and_b32 s77, s83, 0xffff
	s_abs_i32 s83, s15
	s_mul_u64 s[14:15], s[58:59], s[68:69]
	v_readfirstlane_b32 s46, v1
	s_wait_alu 0xfffe
	v_rcp_iflag_f32_e32 v1, s4
	s_add_nc_u64 s[4:5], s[0:1], s[42:43]
	s_cvt_f32_u32 s1, s75
	s_or_b32 s76, s2, s82
	s_mul_f32 s0, s46, 0x4f7ffffe
	s_sub_co_i32 s42, 0, s73
	s_sub_co_i32 s43, 0, s74
	s_lshl_b64 s[14:15], s[14:15], 1
	s_cvt_u32_f32 s0, s0
	s_ashr_i32 s78, s6, 31
	v_readfirstlane_b32 s2, v1
	v_rcp_iflag_f32_e32 v1, s1
	s_mul_i32 s42, s42, s0
	s_ashr_i32 s13, s13, 31
	s_mul_f32 s1, s2, 0x4f7ffffe
	s_mul_hi_u32 s2, s0, s42
	s_cvt_f32_u32 s42, s79
	s_wait_alu 0xfffe
	s_add_co_i32 s81, s0, s2
	s_cvt_u32_f32 s1, s1
	s_cvt_f32_u32 s2, s83
	v_readfirstlane_b32 s44, v1
	v_rcp_iflag_f32_e32 v1, s42
	s_wait_alu 0xfffe
	s_mul_i32 s43, s43, s1
	s_wait_alu 0xfffe
	s_mul_hi_u32 s42, s1, s43
	s_mul_f32 s43, s44, 0x4f7ffffe
	s_cvt_f32_u32 s44, s80
	s_wait_alu 0xfffe
	s_add_co_i32 s82, s1, s42
	s_sub_co_i32 s42, 0, s75
	s_cvt_u32_f32 s0, s43
	v_rcp_iflag_f32_e32 v2, s44
	v_readfirstlane_b32 s1, v1
	v_rcp_iflag_f32_e32 v1, s2
	s_wait_alu 0xfffe
	s_mul_i32 s42, s42, s0
	s_lshl_b64 s[44:45], s[48:49], 1
	s_wait_alu 0xfffe
	s_mul_hi_u32 s2, s0, s42
	s_mul_f32 s1, s1, 0x4f7ffffe
	s_wait_alu 0xfffe
	s_add_co_i32 s85, s0, s2
	v_readfirstlane_b32 s42, v2
	s_cvt_u32_f32 s0, s1
	s_sub_co_i32 s1, 0, s79
	s_mul_f32 s2, s42, 0x4f7ffffe
	v_readfirstlane_b32 s42, v1
	s_wait_alu 0xfffe
	s_mul_i32 s1, s1, s0
	s_wait_alu 0xfffe
	s_mul_hi_u32 s1, s0, s1
	s_cvt_u32_f32 s2, s2
	s_wait_alu 0xfffe
	s_add_co_i32 s86, s0, s1
	s_sub_co_i32 s0, 0, s80
	s_mul_f32 s1, s42, 0x4f7ffffe
	s_wait_alu 0xfffe
	s_mul_i32 s0, s0, s2
	s_wait_alu 0xfffe
	s_mul_hi_u32 s0, s2, s0
	s_cvt_u32_f32 s42, s1
	s_wait_alu 0xfffe
	s_add_co_i32 s88, s2, s0
	s_sub_co_i32 s0, 0, s83
	s_wait_alu 0xfffe
	s_mul_i32 s2, s0, s42
	s_mul_u64 s[0:1], s[54:55], s[34:35]
	s_wait_alu 0xfffe
	s_mul_hi_u32 s2, s42, s2
	s_lshl_b64 s[0:1], s[0:1], 1
	s_wait_alu 0xfffe
	s_add_co_i32 s54, s42, s2
	s_add_nc_u64 s[0:1], s[0:1], s[14:15]
	s_lshl_b64 s[34:35], s[52:53], 1
	s_wait_alu 0xfffe
	s_add_nc_u64 s[14:15], s[22:23], s[0:1]
	s_lshl_b64 s[22:23], s[56:57], 1
	s_lshl_b64 s[42:43], s[50:51], 1
	s_mov_b32 s55, 0
	s_branch .LBB91_3
.LBB91_2:                               ;   in Loop: Header=BB91_3 Depth=1
	v_add_nc_u32_e32 v0, s77, v0
	s_delay_alu instid0(VALU_DEP_1)
	v_cmp_le_i32_e32 vcc_lo, s7, v0
	s_or_b32 s55, vcc_lo, s55
	s_wait_alu 0xfffe
	s_and_not1_b32 exec_lo, exec_lo, s55
	s_cbranch_execz .LBB91_38
.LBB91_3:                               ; =>This Loop Header: Depth=1
                                        ;     Child Loop BB91_6 Depth 2
                                        ;       Child Loop BB91_9 Depth 3
                                        ;         Child Loop BB91_18 Depth 4
                                        ;           Child Loop BB91_25 Depth 5
	v_sub_nc_u32_e32 v1, 0, v0
	s_delay_alu instid0(VALU_DEP_1) | instskip(NEXT) | instid1(VALU_DEP_1)
	v_max_i32_e32 v1, v0, v1
	v_mul_hi_u32 v2, v1, s81
	s_delay_alu instid0(VALU_DEP_1) | instskip(NEXT) | instid1(VALU_DEP_1)
	v_mul_lo_u32 v3, v2, s73
	v_sub_nc_u32_e32 v3, v1, v3
	s_delay_alu instid0(VALU_DEP_1) | instskip(SKIP_2) | instid1(VALU_DEP_2)
	v_subrev_nc_u32_e32 v5, s73, v3
	v_cmp_le_u32_e32 vcc_lo, s73, v3
	s_wait_alu 0xfffd
	v_dual_cndmask_b32 v3, v3, v5 :: v_dual_add_nc_u32 v4, 1, v2
	s_delay_alu instid0(VALU_DEP_1) | instskip(SKIP_1) | instid1(VALU_DEP_3)
	v_cndmask_b32_e32 v2, v2, v4, vcc_lo
	v_ashrrev_i32_e32 v4, 31, v0
	v_cmp_le_u32_e32 vcc_lo, s73, v3
	s_delay_alu instid0(VALU_DEP_3) | instskip(NEXT) | instid1(VALU_DEP_3)
	v_add_nc_u32_e32 v5, 1, v2
	v_xor_b32_e32 v6, s78, v4
	s_wait_alu 0xfffd
	s_delay_alu instid0(VALU_DEP_2) | instskip(SKIP_1) | instid1(VALU_DEP_1)
	v_cndmask_b32_e32 v2, v2, v5, vcc_lo
	v_mul_hi_u32 v5, v1, s85
	v_mul_lo_u32 v7, v5, s75
	s_delay_alu instid0(VALU_DEP_1) | instskip(NEXT) | instid1(VALU_DEP_1)
	v_sub_nc_u32_e32 v1, v1, v7
	v_subrev_nc_u32_e32 v7, s75, v1
	v_cmp_le_u32_e32 vcc_lo, s75, v1
	s_wait_alu 0xfffd
	s_delay_alu instid0(VALU_DEP_2) | instskip(SKIP_2) | instid1(VALU_DEP_2)
	v_cndmask_b32_e32 v1, v1, v7, vcc_lo
	v_xor_b32_e32 v2, v2, v6
	v_xor_b32_e32 v7, s84, v4
	v_sub_nc_u32_e32 v2, v2, v6
	s_delay_alu instid0(VALU_DEP_1) | instskip(NEXT) | instid1(VALU_DEP_1)
	v_sub_nc_u32_e32 v3, 0, v2
	v_max_i32_e32 v3, v2, v3
	s_delay_alu instid0(VALU_DEP_1) | instskip(NEXT) | instid1(VALU_DEP_1)
	v_mul_hi_u32 v6, v3, s82
	v_mul_lo_u32 v6, v6, s74
	s_delay_alu instid0(VALU_DEP_1) | instskip(NEXT) | instid1(VALU_DEP_1)
	v_sub_nc_u32_e32 v3, v3, v6
	v_subrev_nc_u32_e32 v8, s74, v3
	v_cmp_le_u32_e64 s0, s74, v3
	s_wait_alu 0xf1ff
	s_delay_alu instid0(VALU_DEP_1) | instskip(NEXT) | instid1(VALU_DEP_1)
	v_cndmask_b32_e64 v3, v3, v8, s0
	v_subrev_nc_u32_e32 v4, s74, v3
	v_add_nc_u32_e32 v6, 1, v5
	s_delay_alu instid0(VALU_DEP_1) | instskip(SKIP_1) | instid1(VALU_DEP_2)
	v_cndmask_b32_e32 v5, v5, v6, vcc_lo
	v_cmp_le_u32_e32 vcc_lo, s75, v1
	v_add_nc_u32_e32 v6, 1, v5
	s_wait_alu 0xfffd
	s_delay_alu instid0(VALU_DEP_1) | instskip(SKIP_3) | instid1(VALU_DEP_4)
	v_cndmask_b32_e32 v1, v5, v6, vcc_lo
	v_cmp_le_u32_e32 vcc_lo, s74, v3
	v_ashrrev_i32_e32 v6, 31, v2
	v_mul_lo_u32 v2, v2, s6
	v_xor_b32_e32 v1, v1, v7
	s_wait_alu 0xfffd
	v_cndmask_b32_e32 v3, v3, v4, vcc_lo
	s_and_not1_b32 vcc_lo, exec_lo, s33
	s_delay_alu instid0(VALU_DEP_1) | instskip(NEXT) | instid1(VALU_DEP_4)
	v_xor_b32_e32 v3, v3, v6
	v_sub_nc_u32_e32 v5, v0, v2
	s_delay_alu instid0(VALU_DEP_2)
	v_sub_nc_u32_e32 v4, v3, v6
	v_sub_nc_u32_e32 v3, v1, v7
	s_wait_alu 0xfffe
	s_cbranch_vccnz .LBB91_33
; %bb.4:                                ;   in Loop: Header=BB91_3 Depth=1
	s_delay_alu instid0(VALU_DEP_1)
	v_dual_mov_b32 v1, 0 :: v_dual_add_nc_u32 v6, s19, v3
	v_dual_mov_b32 v2, 0 :: v_dual_add_nc_u32 v7, s28, v4
	v_add_nc_u32_e32 v8, s29, v5
	s_mov_b32 s2, 0
	s_mov_b64 s[0:1], s[14:15]
	s_branch .LBB91_6
.LBB91_5:                               ;   in Loop: Header=BB91_6 Depth=2
	s_add_co_i32 s2, s2, 1
	s_add_nc_u64 s[0:1], s[0:1], s[22:23]
	s_wait_alu 0xfffe
	s_cmp_eq_u32 s2, s8
	s_cbranch_scc1 .LBB91_34
.LBB91_6:                               ;   Parent Loop BB91_3 Depth=1
                                        ; =>  This Loop Header: Depth=2
                                        ;       Child Loop BB91_9 Depth 3
                                        ;         Child Loop BB91_18 Depth 4
                                        ;           Child Loop BB91_25 Depth 5
	s_and_not1_b32 vcc_lo, exec_lo, s70
	s_wait_alu 0xfffe
	s_cbranch_vccnz .LBB91_5
; %bb.7:                                ;   in Loop: Header=BB91_6 Depth=2
	s_mul_u64 s[46:47], s[66:67], s[2:3]
	s_mov_b32 s56, 0
	s_wait_alu 0xfffe
	s_lshl_b64 s[46:47], s[46:47], 1
	s_mov_b64 s[48:49], s[0:1]
	s_wait_alu 0xfffe
	s_add_nc_u64 s[46:47], s[20:21], s[46:47]
	s_branch .LBB91_9
.LBB91_8:                               ;   in Loop: Header=BB91_9 Depth=3
	s_add_co_i32 s56, s56, 1
	s_add_nc_u64 s[48:49], s[48:49], s[34:35]
	s_cmp_eq_u32 s56, s30
	s_cbranch_scc1 .LBB91_5
.LBB91_9:                               ;   Parent Loop BB91_3 Depth=1
                                        ;     Parent Loop BB91_6 Depth=2
                                        ; =>    This Loop Header: Depth=3
                                        ;         Child Loop BB91_18 Depth 4
                                        ;           Child Loop BB91_25 Depth 5
	s_mul_i32 s50, s16, s56
	s_mov_b32 s51, exec_lo
	s_wait_alu 0xfffe
	v_subrev_nc_u32_e32 v14, s50, v6
	s_mov_b32 s50, 0
                                        ; implicit-def: $vgpr11
                                        ; implicit-def: $vgpr12
	s_delay_alu instid0(VALU_DEP_1) | instskip(SKIP_1) | instid1(VALU_DEP_2)
	v_sub_nc_u32_e32 v10, 0, v14
	v_ashrrev_i32_e32 v9, 31, v14
	v_max_i32_e32 v13, v14, v10
                                        ; implicit-def: $vgpr10
	v_cmpx_lt_i32_e32 -1, v14
	s_xor_b32 s51, exec_lo, s51
	s_cbranch_execnz .LBB91_13
; %bb.10:                               ;   in Loop: Header=BB91_9 Depth=3
	s_wait_alu 0xfffe
	s_and_not1_saveexec_b32 s51, s51
	s_cbranch_execnz .LBB91_14
.LBB91_11:                              ;   in Loop: Header=BB91_9 Depth=3
	s_wait_alu 0xfffe
	s_or_b32 exec_lo, exec_lo, s51
	v_mov_b32_e32 v13, 1
	s_and_saveexec_b32 s51, s50
	s_cbranch_execnz .LBB91_15
.LBB91_12:                              ;   in Loop: Header=BB91_9 Depth=3
	s_wait_alu 0xfffe
	s_or_b32 exec_lo, exec_lo, s51
	s_delay_alu instid0(SALU_CYCLE_1)
	s_and_not1_b32 vcc_lo, exec_lo, s71
	s_wait_alu 0xfffe
	s_cbranch_vccz .LBB91_16
	s_branch .LBB91_8
.LBB91_13:                              ;   in Loop: Header=BB91_9 Depth=3
	s_delay_alu instid0(VALU_DEP_2) | instskip(NEXT) | instid1(VALU_DEP_1)
	v_mul_hi_u32 v10, v13, s86
	v_mul_lo_u32 v9, v10, s79
	s_delay_alu instid0(VALU_DEP_1) | instskip(SKIP_1) | instid1(VALU_DEP_2)
	v_sub_nc_u32_e32 v11, v13, v9
	v_ashrrev_i32_e32 v9, 31, v14
	v_subrev_nc_u32_e32 v12, s79, v11
	v_cmp_le_u32_e32 vcc_lo, s79, v11
	s_wait_alu 0xfffd
	s_delay_alu instid0(VALU_DEP_2) | instskip(NEXT) | instid1(VALU_DEP_1)
	v_cndmask_b32_e32 v13, v11, v12, vcc_lo
	v_subrev_nc_u32_e32 v15, s79, v13
	v_cmp_le_u32_e32 vcc_lo, s79, v13
	s_wait_alu 0xfffd
	s_delay_alu instid0(VALU_DEP_2) | instskip(NEXT) | instid1(VALU_DEP_1)
	v_cndmask_b32_e32 v13, v13, v15, vcc_lo
	v_xor_b32_e32 v13, v13, v9
	s_delay_alu instid0(VALU_DEP_1) | instskip(NEXT) | instid1(VALU_DEP_1)
	v_sub_nc_u32_e32 v13, v13, v9
	v_cmp_ne_u32_e32 vcc_lo, 0, v13
                                        ; implicit-def: $vgpr13
	s_and_b32 s50, vcc_lo, exec_lo
	s_wait_alu 0xfffe
	s_and_not1_saveexec_b32 s51, s51
	s_cbranch_execz .LBB91_11
.LBB91_14:                              ;   in Loop: Header=BB91_9 Depth=3
	v_mul_hi_u32 v10, v13, s86
	s_or_b32 s50, s50, exec_lo
	s_delay_alu instid0(VALU_DEP_1) | instskip(NEXT) | instid1(VALU_DEP_1)
	v_mul_lo_u32 v11, v10, s79
	v_sub_nc_u32_e32 v11, v13, v11
	s_delay_alu instid0(VALU_DEP_1)
	v_subrev_nc_u32_e32 v12, s79, v11
	s_wait_alu 0xfffe
	s_or_b32 exec_lo, exec_lo, s51
	v_mov_b32_e32 v13, 1
	s_and_saveexec_b32 s51, s50
	s_cbranch_execz .LBB91_12
.LBB91_15:                              ;   in Loop: Header=BB91_9 Depth=3
	v_mov_b32_e32 v13, 0
	s_wait_alu 0xfffe
	s_or_b32 exec_lo, exec_lo, s51
	s_delay_alu instid0(SALU_CYCLE_1)
	s_and_not1_b32 vcc_lo, exec_lo, s71
	s_wait_alu 0xfffe
	s_cbranch_vccnz .LBB91_8
.LBB91_16:                              ;   in Loop: Header=BB91_9 Depth=3
	v_cmp_le_u32_e32 vcc_lo, s79, v11
	v_add_nc_u32_e32 v14, 1, v10
	v_xor_b32_e32 v9, s13, v9
	s_mov_b32 s57, 0
	s_mov_b64 s[50:51], s[48:49]
	s_wait_alu 0xfffd
	v_dual_cndmask_b32 v11, v11, v12 :: v_dual_cndmask_b32 v10, v10, v14
	s_delay_alu instid0(VALU_DEP_1) | instskip(NEXT) | instid1(VALU_DEP_2)
	v_cmp_le_u32_e32 vcc_lo, s79, v11
	v_add_nc_u32_e32 v12, 1, v10
	s_wait_alu 0xfffd
	s_delay_alu instid0(VALU_DEP_1) | instskip(NEXT) | instid1(VALU_DEP_1)
	v_cndmask_b32_e32 v10, v10, v12, vcc_lo
	v_xor_b32_e32 v10, v10, v9
	s_delay_alu instid0(VALU_DEP_1) | instskip(NEXT) | instid1(VALU_DEP_1)
	v_sub_nc_u32_e32 v12, v10, v9
	v_ashrrev_i32_e32 v11, 31, v12
	v_mul_lo_u32 v14, s65, v12
	v_mad_co_u64_u32 v[9:10], null, s64, v12, 0
	v_cmp_gt_i32_e32 vcc_lo, s10, v12
	s_delay_alu instid0(VALU_DEP_4) | instskip(NEXT) | instid1(VALU_DEP_1)
	v_mul_lo_u32 v11, s64, v11
	v_add3_u32 v10, v10, v11, v14
	s_delay_alu instid0(VALU_DEP_1) | instskip(SKIP_2) | instid1(VALU_DEP_2)
	v_lshlrev_b64_e32 v[10:11], 1, v[9:10]
	s_wait_alu 0xfffd
	v_cndmask_b32_e32 v9, 0, v13, vcc_lo
	v_add_co_u32 v10, vcc_lo, s46, v10
	s_wait_alu 0xfffd
	s_delay_alu instid0(VALU_DEP_3)
	v_add_co_ci_u32_e64 v11, null, s47, v11, vcc_lo
	s_branch .LBB91_18
.LBB91_17:                              ;   in Loop: Header=BB91_18 Depth=4
	s_add_co_i32 s57, s57, 1
	s_add_nc_u64 s[50:51], s[50:51], s[42:43]
	s_cmp_eq_u32 s57, s31
	s_cbranch_scc1 .LBB91_8
.LBB91_18:                              ;   Parent Loop BB91_3 Depth=1
                                        ;     Parent Loop BB91_6 Depth=2
                                        ;       Parent Loop BB91_9 Depth=3
                                        ; =>      This Loop Header: Depth=4
                                        ;           Child Loop BB91_25 Depth 5
	s_mul_i32 s52, s17, s57
	s_wait_alu 0xfffe
	v_subrev_nc_u32_e32 v13, s52, v7
	s_delay_alu instid0(VALU_DEP_1) | instskip(SKIP_3) | instid1(VALU_DEP_4)
	v_sub_nc_u32_e32 v14, 0, v13
	v_cmp_gt_i32_e64 s52, 0, v13
	v_cmp_lt_i32_e32 vcc_lo, -1, v13
	v_ashrrev_i32_e32 v12, 31, v13
	v_max_i32_e32 v13, v13, v14
	s_and_saveexec_b32 s53, vcc_lo
	s_cbranch_execnz .LBB91_21
; %bb.19:                               ;   in Loop: Header=BB91_18 Depth=4
	s_wait_alu 0xfffe
	s_or_b32 exec_lo, exec_lo, s53
	v_mov_b32_e32 v14, 1
	s_and_saveexec_b32 s53, s52
	s_cbranch_execnz .LBB91_22
.LBB91_20:                              ;   in Loop: Header=BB91_18 Depth=4
	s_wait_alu 0xfffe
	s_or_b32 exec_lo, exec_lo, s53
	s_delay_alu instid0(SALU_CYCLE_1)
	s_and_not1_b32 vcc_lo, exec_lo, s72
	s_wait_alu 0xfffe
	s_cbranch_vccz .LBB91_23
	s_branch .LBB91_17
.LBB91_21:                              ;   in Loop: Header=BB91_18 Depth=4
	s_delay_alu instid0(VALU_DEP_1) | instskip(SKIP_1) | instid1(VALU_DEP_1)
	v_mul_hi_u32 v14, v13, s88
	s_and_not1_b32 s52, s52, exec_lo
	v_mul_lo_u32 v14, v14, s80
	s_delay_alu instid0(VALU_DEP_1) | instskip(NEXT) | instid1(VALU_DEP_1)
	v_sub_nc_u32_e32 v14, v13, v14
	v_subrev_nc_u32_e32 v15, s80, v14
	v_cmp_le_u32_e32 vcc_lo, s80, v14
	s_wait_alu 0xfffd
	s_delay_alu instid0(VALU_DEP_2) | instskip(NEXT) | instid1(VALU_DEP_1)
	v_cndmask_b32_e32 v14, v14, v15, vcc_lo
	v_subrev_nc_u32_e32 v15, s80, v14
	v_cmp_le_u32_e32 vcc_lo, s80, v14
	s_wait_alu 0xfffd
	s_delay_alu instid0(VALU_DEP_2) | instskip(NEXT) | instid1(VALU_DEP_1)
	v_cndmask_b32_e32 v14, v14, v15, vcc_lo
	v_xor_b32_e32 v14, v14, v12
	s_delay_alu instid0(VALU_DEP_1) | instskip(NEXT) | instid1(VALU_DEP_1)
	v_sub_nc_u32_e32 v14, v14, v12
	v_cmp_ne_u32_e32 vcc_lo, 0, v14
	s_and_b32 s58, vcc_lo, exec_lo
	s_wait_alu 0xfffe
	s_or_b32 s52, s52, s58
	s_or_b32 exec_lo, exec_lo, s53
	v_mov_b32_e32 v14, 1
	s_wait_alu 0xfffe
	s_and_saveexec_b32 s53, s52
	s_cbranch_execz .LBB91_20
.LBB91_22:                              ;   in Loop: Header=BB91_18 Depth=4
	v_mov_b32_e32 v14, 0
	s_wait_alu 0xfffe
	s_or_b32 exec_lo, exec_lo, s53
	s_delay_alu instid0(SALU_CYCLE_1)
	s_and_not1_b32 vcc_lo, exec_lo, s72
	s_wait_alu 0xfffe
	s_cbranch_vccnz .LBB91_17
.LBB91_23:                              ;   in Loop: Header=BB91_18 Depth=4
	v_mul_hi_u32 v15, v13, s88
	v_xor_b32_e32 v12, s87, v12
	s_mov_b64 s[52:53], s[50:51]
	s_mov_b32 s58, s9
	s_delay_alu instid0(VALU_DEP_2) | instskip(NEXT) | instid1(VALU_DEP_1)
	v_mul_lo_u32 v16, v15, s80
	v_sub_nc_u32_e32 v13, v13, v16
	s_delay_alu instid0(VALU_DEP_1) | instskip(SKIP_2) | instid1(VALU_DEP_2)
	v_subrev_nc_u32_e32 v17, s80, v13
	v_cmp_le_u32_e32 vcc_lo, s80, v13
	s_wait_alu 0xfffd
	v_dual_cndmask_b32 v13, v13, v17 :: v_dual_add_nc_u32 v16, 1, v15
	s_delay_alu instid0(VALU_DEP_1) | instskip(NEXT) | instid1(VALU_DEP_2)
	v_cndmask_b32_e32 v15, v15, v16, vcc_lo
	v_cmp_le_u32_e32 vcc_lo, s80, v13
	s_delay_alu instid0(VALU_DEP_2) | instskip(SKIP_1) | instid1(VALU_DEP_1)
	v_add_nc_u32_e32 v16, 1, v15
	s_wait_alu 0xfffd
	v_cndmask_b32_e32 v13, v15, v16, vcc_lo
	s_delay_alu instid0(VALU_DEP_1) | instskip(NEXT) | instid1(VALU_DEP_1)
	v_xor_b32_e32 v13, v13, v12
	v_sub_nc_u32_e32 v15, v13, v12
	s_delay_alu instid0(VALU_DEP_1) | instskip(SKIP_3) | instid1(VALU_DEP_4)
	v_ashrrev_i32_e32 v16, 31, v15
	v_mul_lo_u32 v17, s63, v15
	v_mad_co_u64_u32 v[12:13], null, s62, v15, 0
	v_cmp_gt_i32_e32 vcc_lo, s11, v15
	v_mul_lo_u32 v16, s62, v16
	s_wait_alu 0xfffd
	v_cndmask_b32_e32 v15, 0, v14, vcc_lo
	s_delay_alu instid0(VALU_DEP_2) | instskip(NEXT) | instid1(VALU_DEP_1)
	v_add3_u32 v13, v13, v16, v17
	v_lshlrev_b64_e32 v[13:14], 1, v[12:13]
	s_delay_alu instid0(VALU_DEP_3) | instskip(NEXT) | instid1(VALU_DEP_2)
	v_dual_mov_b32 v15, v8 :: v_dual_and_b32 v12, v15, v9
	v_add_co_u32 v13, vcc_lo, v10, v13
	s_wait_alu 0xfffd
	s_delay_alu instid0(VALU_DEP_3)
	v_add_co_ci_u32_e64 v14, null, v11, v14, vcc_lo
	s_branch .LBB91_25
.LBB91_24:                              ;   in Loop: Header=BB91_25 Depth=5
	s_or_b32 exec_lo, exec_lo, s59
	v_subrev_nc_u32_e32 v15, s18, v15
	s_add_co_i32 s58, s58, -1
	s_wait_alu 0xfffe
	s_add_nc_u64 s[52:53], s[52:53], s[44:45]
	s_cmp_eq_u32 s58, 0
	s_cbranch_scc1 .LBB91_17
.LBB91_25:                              ;   Parent Loop BB91_3 Depth=1
                                        ;     Parent Loop BB91_6 Depth=2
                                        ;       Parent Loop BB91_9 Depth=3
                                        ;         Parent Loop BB91_18 Depth=4
                                        ; =>        This Inner Loop Header: Depth=5
	v_sub_nc_u32_e32 v17, 0, v15
	v_ashrrev_i32_e32 v16, 31, v15
	s_mov_b32 s59, 0
	s_mov_b32 s68, exec_lo
                                        ; implicit-def: $vgpr18
                                        ; implicit-def: $vgpr19
	s_delay_alu instid0(VALU_DEP_2)
	v_max_i32_e32 v20, v15, v17
                                        ; implicit-def: $vgpr17
	v_cmpx_lt_i32_e32 -1, v15
	s_wait_alu 0xfffe
	s_xor_b32 s68, exec_lo, s68
	s_cbranch_execnz .LBB91_31
; %bb.26:                               ;   in Loop: Header=BB91_25 Depth=5
	s_wait_alu 0xfffe
	s_and_not1_saveexec_b32 s68, s68
	s_cbranch_execnz .LBB91_32
.LBB91_27:                              ;   in Loop: Header=BB91_25 Depth=5
	s_wait_alu 0xfffe
	s_or_b32 exec_lo, exec_lo, s68
	v_mov_b32_e32 v20, 1
	s_and_saveexec_b32 s68, s59
.LBB91_28:                              ;   in Loop: Header=BB91_25 Depth=5
	v_mov_b32_e32 v20, 0
.LBB91_29:                              ;   in Loop: Header=BB91_25 Depth=5
	s_wait_alu 0xfffe
	s_or_b32 exec_lo, exec_lo, s68
	v_cmp_le_u32_e32 vcc_lo, s83, v18
	v_add_nc_u32_e32 v21, 1, v17
	v_xor_b32_e32 v16, s89, v16
	s_mov_b32 s59, exec_lo
	s_wait_alu 0xfffd
	s_delay_alu instid0(VALU_DEP_2) | instskip(NEXT) | instid1(VALU_DEP_1)
	v_dual_cndmask_b32 v18, v18, v19 :: v_dual_cndmask_b32 v17, v17, v21
	v_cmp_le_u32_e32 vcc_lo, s83, v18
	s_delay_alu instid0(VALU_DEP_2) | instskip(SKIP_1) | instid1(VALU_DEP_1)
	v_add_nc_u32_e32 v19, 1, v17
	s_wait_alu 0xfffd
	v_cndmask_b32_e32 v17, v17, v19, vcc_lo
	s_delay_alu instid0(VALU_DEP_1) | instskip(NEXT) | instid1(VALU_DEP_1)
	v_xor_b32_e32 v17, v17, v16
	v_sub_nc_u32_e32 v16, v17, v16
	s_delay_alu instid0(VALU_DEP_1) | instskip(SKIP_2) | instid1(VALU_DEP_1)
	v_cmp_gt_i32_e32 vcc_lo, s12, v16
	s_wait_alu 0xfffd
	v_cndmask_b32_e32 v17, 0, v20, vcc_lo
	v_and_b32_e32 v17, v12, v17
	s_delay_alu instid0(VALU_DEP_1) | instskip(NEXT) | instid1(VALU_DEP_1)
	v_and_b32_e32 v17, 1, v17
	v_cmpx_eq_u32_e32 1, v17
	s_cbranch_execz .LBB91_24
; %bb.30:                               ;   in Loop: Header=BB91_25 Depth=5
	v_ashrrev_i32_e32 v18, 31, v16
	v_mul_lo_u32 v19, s61, v16
	v_mad_co_u64_u32 v[16:17], null, s60, v16, 0
	s_load_u16 s68, s[52:53], 0x0
	v_mul_lo_u32 v18, s60, v18
	s_delay_alu instid0(VALU_DEP_1) | instskip(NEXT) | instid1(VALU_DEP_1)
	v_add3_u32 v17, v17, v18, v19
	v_lshlrev_b64_e32 v[16:17], 1, v[16:17]
	s_wait_kmcnt 0x0
	s_lshl_b32 s68, s68, 16
	s_delay_alu instid0(VALU_DEP_1) | instskip(SKIP_1) | instid1(VALU_DEP_2)
	v_add_co_u32 v16, vcc_lo, v13, v16
	s_wait_alu 0xfffd
	v_add_co_ci_u32_e64 v17, null, v14, v17, vcc_lo
	s_wait_alu 0xfffe
	v_cvt_f64_f32_e32 v[18:19], s68
	global_load_u16 v16, v[16:17], off
	s_wait_loadcnt 0x0
	v_lshlrev_b32_e32 v16, 16, v16
	s_delay_alu instid0(VALU_DEP_1) | instskip(NEXT) | instid1(VALU_DEP_1)
	v_cvt_f64_f32_e32 v[16:17], v16
	v_fma_f64 v[1:2], v[16:17], v[18:19], v[1:2]
	s_branch .LBB91_24
.LBB91_31:                              ;   in Loop: Header=BB91_25 Depth=5
	v_mul_hi_u32 v17, v20, s54
	s_delay_alu instid0(VALU_DEP_1) | instskip(NEXT) | instid1(VALU_DEP_1)
	v_mul_lo_u32 v16, v17, s83
	v_sub_nc_u32_e32 v18, v20, v16
	v_ashrrev_i32_e32 v16, 31, v15
	s_delay_alu instid0(VALU_DEP_2) | instskip(SKIP_2) | instid1(VALU_DEP_2)
	v_subrev_nc_u32_e32 v19, s83, v18
	v_cmp_le_u32_e32 vcc_lo, s83, v18
	s_wait_alu 0xfffd
	v_cndmask_b32_e32 v20, v18, v19, vcc_lo
	s_delay_alu instid0(VALU_DEP_1) | instskip(SKIP_2) | instid1(VALU_DEP_2)
	v_subrev_nc_u32_e32 v21, s83, v20
	v_cmp_le_u32_e32 vcc_lo, s83, v20
	s_wait_alu 0xfffd
	v_cndmask_b32_e32 v20, v20, v21, vcc_lo
	s_delay_alu instid0(VALU_DEP_1) | instskip(NEXT) | instid1(VALU_DEP_1)
	v_xor_b32_e32 v20, v20, v16
	v_sub_nc_u32_e32 v20, v20, v16
	s_delay_alu instid0(VALU_DEP_1)
	v_cmp_ne_u32_e32 vcc_lo, 0, v20
                                        ; implicit-def: $vgpr20
	s_and_b32 s59, vcc_lo, exec_lo
	s_wait_alu 0xfffe
	s_and_not1_saveexec_b32 s68, s68
	s_cbranch_execz .LBB91_27
.LBB91_32:                              ;   in Loop: Header=BB91_25 Depth=5
	v_mul_hi_u32 v17, v20, s54
	s_or_b32 s59, s59, exec_lo
	s_delay_alu instid0(VALU_DEP_1) | instskip(NEXT) | instid1(VALU_DEP_1)
	v_mul_lo_u32 v18, v17, s83
	v_sub_nc_u32_e32 v18, v20, v18
	s_delay_alu instid0(VALU_DEP_1)
	v_subrev_nc_u32_e32 v19, s83, v18
	s_wait_alu 0xfffe
	s_or_b32 exec_lo, exec_lo, s68
	v_mov_b32_e32 v20, 1
	s_and_saveexec_b32 s68, s59
	s_cbranch_execnz .LBB91_28
	s_branch .LBB91_29
.LBB91_33:                              ;   in Loop: Header=BB91_3 Depth=1
	v_mov_b32_e32 v1, 0
	v_mov_b32_e32 v2, 0
.LBB91_34:                              ;   in Loop: Header=BB91_3 Depth=1
	v_ashrrev_i32_e32 v7, 31, v5
	v_mul_lo_u32 v8, s37, v5
	v_mad_co_u64_u32 v[5:6], null, s36, v5, 0
	v_ashrrev_i32_e32 v9, 31, v4
	s_delay_alu instid0(VALU_DEP_4) | instskip(SKIP_2) | instid1(VALU_DEP_1)
	v_mul_lo_u32 v7, s36, v7
	s_and_b32 vcc_lo, exec_lo, s76
	s_mov_b32 s0, -1
	v_add3_u32 v6, v6, v7, v8
	v_mul_lo_u32 v7, s39, v4
	v_mul_lo_u32 v8, s38, v9
	s_delay_alu instid0(VALU_DEP_3) | instskip(SKIP_1) | instid1(VALU_DEP_2)
	v_mad_co_u64_u32 v[4:5], null, s38, v4, v[5:6]
	v_ashrrev_i32_e32 v6, 31, v3
	v_add3_u32 v5, v7, v5, v8
	v_mul_lo_u32 v7, s41, v3
	s_delay_alu instid0(VALU_DEP_2) | instskip(NEXT) | instid1(VALU_DEP_4)
	v_mad_co_u64_u32 v[3:4], null, s40, v3, v[4:5]
	v_mul_lo_u32 v5, s40, v6
	s_delay_alu instid0(VALU_DEP_1) | instskip(NEXT) | instid1(VALU_DEP_1)
	v_add3_u32 v4, v7, v4, v5
	v_lshlrev_b64_e32 v[3:4], 1, v[3:4]
	s_wait_alu 0xfffe
	s_cbranch_vccz .LBB91_36
; %bb.35:                               ;   in Loop: Header=BB91_3 Depth=1
	s_delay_alu instid0(VALU_DEP_1) | instskip(SKIP_1) | instid1(VALU_DEP_2)
	v_add_co_u32 v5, vcc_lo, s4, v3
	s_wait_alu 0xfffd
	v_add_co_ci_u32_e64 v6, null, s5, v4, vcc_lo
	global_load_u16 v7, v[5:6], off
	s_wait_loadcnt 0x0
	v_lshlrev_b32_e32 v7, 16, v7
	s_delay_alu instid0(VALU_DEP_1) | instskip(NEXT) | instid1(VALU_DEP_1)
	v_cvt_f64_f32_e32 v[7:8], v7
	v_mul_f64_e32 v[7:8], s[26:27], v[7:8]
	s_delay_alu instid0(VALU_DEP_1) | instskip(NEXT) | instid1(VALU_DEP_1)
	v_fma_f64 v[7:8], s[24:25], v[1:2], v[7:8]
	v_cvt_f32_f64_e32 v7, v[7:8]
	s_delay_alu instid0(VALU_DEP_1) | instskip(SKIP_2) | instid1(VALU_DEP_3)
	v_and_b32_e32 v8, 0x7f800000, v7
	v_and_b32_e32 v9, 0xffff, v7
	v_lshrrev_b32_e32 v7, 16, v7
	v_cmp_eq_u32_e32 vcc_lo, 0x7f800000, v8
	s_delay_alu instid0(VALU_DEP_3) | instskip(SKIP_4) | instid1(VALU_DEP_1)
	v_cmp_ne_u32_e64 s0, 0, v9
	s_and_b32 s0, vcc_lo, s0
	s_wait_alu 0xfffe
	v_cndmask_b32_e64 v8, 0, 1, s0
	s_mov_b32 s0, 0
	v_or_b32_e32 v7, v7, v8
	global_store_b16 v[5:6], v7, off
.LBB91_36:                              ;   in Loop: Header=BB91_3 Depth=1
	s_wait_alu 0xfffe
	s_and_not1_b32 vcc_lo, exec_lo, s0
	s_wait_alu 0xfffe
	s_cbranch_vccnz .LBB91_2
; %bb.37:                               ;   in Loop: Header=BB91_3 Depth=1
	v_cvt_f32_f64_e32 v1, v[1:2]
	s_delay_alu instid0(VALU_DEP_1) | instskip(SKIP_2) | instid1(VALU_DEP_3)
	v_and_b32_e32 v2, 0x7f800000, v1
	v_and_b32_e32 v5, 0xffff, v1
	v_lshrrev_b32_e32 v1, 16, v1
	v_cmp_eq_u32_e32 vcc_lo, 0x7f800000, v2
	s_delay_alu instid0(VALU_DEP_3) | instskip(SKIP_3) | instid1(VALU_DEP_1)
	v_cmp_ne_u32_e64 s0, 0, v5
	s_and_b32 s0, vcc_lo, s0
	s_wait_alu 0xfffe
	v_cndmask_b32_e64 v2, 0, 1, s0
	v_or_b32_e32 v5, v1, v2
	v_add_co_u32 v1, vcc_lo, s4, v3
	s_wait_alu 0xfffd
	v_add_co_ci_u32_e64 v2, null, s5, v4, vcc_lo
	global_store_b16 v[1:2], v5, off
	s_branch .LBB91_2
.LBB91_38:
	s_endpgm
	.section	.rodata,"a",@progbits
	.p2align	6, 0x0
	.amdhsa_kernel naive_conv_ab_nonpacked_bwd_ncdhw_ushort_double_ushort_0
		.amdhsa_group_segment_fixed_size 0
		.amdhsa_private_segment_fixed_size 0
		.amdhsa_kernarg_size 528
		.amdhsa_user_sgpr_count 2
		.amdhsa_user_sgpr_dispatch_ptr 0
		.amdhsa_user_sgpr_queue_ptr 0
		.amdhsa_user_sgpr_kernarg_segment_ptr 1
		.amdhsa_user_sgpr_dispatch_id 0
		.amdhsa_user_sgpr_private_segment_size 0
		.amdhsa_wavefront_size32 1
		.amdhsa_uses_dynamic_stack 0
		.amdhsa_enable_private_segment 0
		.amdhsa_system_sgpr_workgroup_id_x 1
		.amdhsa_system_sgpr_workgroup_id_y 0
		.amdhsa_system_sgpr_workgroup_id_z 0
		.amdhsa_system_sgpr_workgroup_info 0
		.amdhsa_system_vgpr_workitem_id 0
		.amdhsa_next_free_vgpr 22
		.amdhsa_next_free_sgpr 90
		.amdhsa_reserve_vcc 1
		.amdhsa_float_round_mode_32 0
		.amdhsa_float_round_mode_16_64 0
		.amdhsa_float_denorm_mode_32 3
		.amdhsa_float_denorm_mode_16_64 3
		.amdhsa_fp16_overflow 0
		.amdhsa_workgroup_processor_mode 1
		.amdhsa_memory_ordered 1
		.amdhsa_forward_progress 1
		.amdhsa_inst_pref_size 27
		.amdhsa_round_robin_scheduling 0
		.amdhsa_exception_fp_ieee_invalid_op 0
		.amdhsa_exception_fp_denorm_src 0
		.amdhsa_exception_fp_ieee_div_zero 0
		.amdhsa_exception_fp_ieee_overflow 0
		.amdhsa_exception_fp_ieee_underflow 0
		.amdhsa_exception_fp_ieee_inexact 0
		.amdhsa_exception_int_div_zero 0
	.end_amdhsa_kernel
	.text
.Lfunc_end91:
	.size	naive_conv_ab_nonpacked_bwd_ncdhw_ushort_double_ushort_0, .Lfunc_end91-naive_conv_ab_nonpacked_bwd_ncdhw_ushort_double_ushort_0
                                        ; -- End function
	.set naive_conv_ab_nonpacked_bwd_ncdhw_ushort_double_ushort_0.num_vgpr, 22
	.set naive_conv_ab_nonpacked_bwd_ncdhw_ushort_double_ushort_0.num_agpr, 0
	.set naive_conv_ab_nonpacked_bwd_ncdhw_ushort_double_ushort_0.numbered_sgpr, 90
	.set naive_conv_ab_nonpacked_bwd_ncdhw_ushort_double_ushort_0.num_named_barrier, 0
	.set naive_conv_ab_nonpacked_bwd_ncdhw_ushort_double_ushort_0.private_seg_size, 0
	.set naive_conv_ab_nonpacked_bwd_ncdhw_ushort_double_ushort_0.uses_vcc, 1
	.set naive_conv_ab_nonpacked_bwd_ncdhw_ushort_double_ushort_0.uses_flat_scratch, 0
	.set naive_conv_ab_nonpacked_bwd_ncdhw_ushort_double_ushort_0.has_dyn_sized_stack, 0
	.set naive_conv_ab_nonpacked_bwd_ncdhw_ushort_double_ushort_0.has_recursion, 0
	.set naive_conv_ab_nonpacked_bwd_ncdhw_ushort_double_ushort_0.has_indirect_call, 0
	.section	.AMDGPU.csdata,"",@progbits
; Kernel info:
; codeLenInByte = 3352
; TotalNumSgprs: 92
; NumVgprs: 22
; ScratchSize: 0
; MemoryBound: 0
; FloatMode: 240
; IeeeMode: 1
; LDSByteSize: 0 bytes/workgroup (compile time only)
; SGPRBlocks: 0
; VGPRBlocks: 2
; NumSGPRsForWavesPerEU: 92
; NumVGPRsForWavesPerEU: 22
; Occupancy: 16
; WaveLimiterHint : 1
; COMPUTE_PGM_RSRC2:SCRATCH_EN: 0
; COMPUTE_PGM_RSRC2:USER_SGPR: 2
; COMPUTE_PGM_RSRC2:TRAP_HANDLER: 0
; COMPUTE_PGM_RSRC2:TGID_X_EN: 1
; COMPUTE_PGM_RSRC2:TGID_Y_EN: 0
; COMPUTE_PGM_RSRC2:TGID_Z_EN: 0
; COMPUTE_PGM_RSRC2:TIDIG_COMP_CNT: 0
	.text
	.protected	naive_conv_ab_packed_bwd_ndhwc_float_double_float_0 ; -- Begin function naive_conv_ab_packed_bwd_ndhwc_float_double_float_0
	.globl	naive_conv_ab_packed_bwd_ndhwc_float_double_float_0
	.p2align	8
	.type	naive_conv_ab_packed_bwd_ndhwc_float_double_float_0,@function
naive_conv_ab_packed_bwd_ndhwc_float_double_float_0: ; @naive_conv_ab_packed_bwd_ndhwc_float_double_float_0
; %bb.0:
	s_load_b512 s[4:19], s[0:1], 0xb8
	s_mov_b32 s25, exec_lo
	s_wait_kmcnt 0x0
	s_abs_i32 s3, s4
	s_mul_i32 s54, s9, s6
	s_cvt_f32_u32 s2, s3
	s_mul_i32 s33, s54, s5
	s_delay_alu instid0(SALU_CYCLE_2) | instskip(NEXT) | instid1(TRANS32_DEP_1)
	v_rcp_iflag_f32_e32 v1, s2
	v_readfirstlane_b32 s2, v1
	s_mul_f32 s2, s2, 0x4f7ffffe
	s_wait_alu 0xfffe
	s_delay_alu instid0(SALU_CYCLE_2) | instskip(SKIP_2) | instid1(SALU_CYCLE_1)
	s_cvt_u32_f32 s20, s2
	s_sub_co_i32 s2, 0, s3
	s_wait_alu 0xfffe
	s_mul_i32 s2, s2, s20
	s_wait_alu 0xfffe
	s_mul_hi_u32 s21, s20, s2
	s_abs_i32 s2, ttmp9
	s_add_co_i32 s20, s20, s21
	s_wait_alu 0xfffe
	s_mul_hi_u32 s20, s2, s20
	s_delay_alu instid0(SALU_CYCLE_1) | instskip(SKIP_2) | instid1(SALU_CYCLE_1)
	s_mul_i32 s21, s20, s3
	s_add_co_i32 s22, s20, 1
	s_sub_co_i32 s21, s2, s21
	s_sub_co_i32 s23, s21, s3
	s_cmp_ge_u32 s21, s3
	s_cselect_b32 s20, s22, s20
	s_cselect_b32 s21, s23, s21
	s_add_co_i32 s22, s20, 1
	s_cmp_ge_u32 s21, s3
	s_mul_i32 s21, s7, s4
	s_cselect_b32 s22, s22, s20
	s_abs_i32 s20, s7
	s_abs_i32 s7, s21
	s_cvt_f32_u32 s3, s20
	s_cvt_f32_u32 s23, s7
	s_wait_alu 0xfffe
	s_delay_alu instid0(SALU_CYCLE_1) | instskip(NEXT) | instid1(SALU_CYCLE_1)
	v_rcp_iflag_f32_e32 v1, s3
	v_rcp_iflag_f32_e32 v2, s23
	s_mov_b32 s3, 0
	s_delay_alu instid0(TRANS32_DEP_2) | instskip(NEXT) | instid1(TRANS32_DEP_1)
	v_readfirstlane_b32 s24, v1
	v_readfirstlane_b32 s23, v2
	v_cmpx_gt_i32_e64 s33, v0
	s_cbranch_execz .LBB92_35
; %bb.1:
	s_mul_f32 s24, s24, 0x4f7ffffe
	s_ashr_i32 s26, ttmp9, 31
	s_ashr_i32 s39, s4, 31
	s_sub_co_i32 s25, 0, s20
	s_cvt_u32_f32 s24, s24
	s_xor_b32 s27, s26, s39
	s_mul_f32 s28, s23, 0x4f7ffffe
	s_xor_b32 s22, s22, s27
	s_mul_i32 s25, s25, s24
	s_wait_alu 0xfffe
	s_sub_co_i32 s27, s22, s27
	s_mul_hi_u32 s23, s24, s25
	s_abs_i32 s22, s27
	s_wait_alu 0xfffe
	s_add_co_i32 s24, s24, s23
	s_mov_b32 s23, s3
	s_cvt_u32_f32 s28, s28
	s_mov_b32 s25, s3
	s_sub_co_i32 s29, 0, s7
	s_wait_alu 0xfffe
	s_mul_u64 s[24:25], s[22:23], s[24:25]
	s_mul_i32 s29, s29, s28
	s_mul_i32 s25, s25, s20
	s_ashr_i32 s23, s27, 31
	s_mul_hi_u32 s24, s28, s29
	s_mul_i32 s27, s27, s4
	s_sub_co_i32 s22, s22, s25
	s_ashr_i32 s21, s21, 31
	s_add_co_i32 s24, s28, s24
	s_sub_co_i32 s40, ttmp9, s27
	s_wait_alu 0xfffe
	s_sub_co_i32 s27, s22, s20
	s_cmp_ge_u32 s22, s20
	s_mov_b32 s25, s3
	s_cselect_b32 s22, s27, s22
	s_mul_u64 s[28:29], s[2:3], s[24:25]
	s_wait_alu 0xfffe
	s_sub_co_i32 s24, s22, s20
	s_cmp_ge_u32 s22, s20
	s_load_b64 s[34:35], s[0:1], 0x108
	s_cselect_b32 s20, s24, s22
	s_xor_b32 s37, s26, s21
	s_xor_b32 s20, s20, s23
	s_add_co_i32 s28, s29, 1
	s_sub_co_i32 s48, s20, s23
	s_mul_i32 s20, s29, s7
	s_mov_b32 s42, s5
	s_sub_co_i32 s2, s2, s20
	s_load_b256 s[20:27], s[0:1], 0x0
	s_sub_co_i32 s30, s2, s7
	s_cmp_ge_u32 s2, s7
	s_mov_b32 s46, s12
	s_cselect_b32 s36, s28, s29
	s_cselect_b32 s2, s30, s2
	s_load_b128 s[28:31], s[0:1], 0xf8
	s_add_co_i32 s38, s36, 1
	s_cmp_ge_u32 s2, s7
	s_load_b32 s55, s[0:1], 0x11c
	s_cselect_b32 s2, s38, s36
	s_wait_kmcnt 0x0
	s_mul_i32 s36, s35, s9
	s_wait_alu 0xfffe
	s_xor_b32 s2, s2, s37
	s_ashr_i32 s49, s48, 31
	s_mov_b32 s38, s4
	s_ashr_i32 s43, s5, 31
	s_ashr_i32 s7, s6, 31
	s_wait_alu 0xfffe
	s_sub_co_i32 s50, s2, s37
	s_mul_u64 s[38:39], s[48:49], s[38:39]
	s_ashr_i32 s37, s36, 31
	s_ashr_i32 s41, s40, 31
	s_mul_u64 s[42:43], s[6:7], s[42:43]
	s_add_nc_u64 s[38:39], s[38:39], s[40:41]
	s_ashr_i32 s51, s50, 31
	s_ashr_i32 s5, s9, 31
	s_mov_b32 s4, s9
	s_mul_u64 s[42:43], s[42:43], s[36:37]
	s_mul_u64 s[44:45], s[50:51], s[4:5]
	;; [unrolled: 1-line block ×3, first 2 shown]
	s_mul_i32 s7, s35, s8
	s_lshl_b64 s[62:63], s[38:39], 2
	s_lshl_b64 s[64:65], s[44:45], 2
	s_ashr_i32 s53, s8, 31
	s_ashr_i32 s39, s30, 31
	;; [unrolled: 1-line block ×8, first 2 shown]
	s_cmp_lt_i32 s30, 1
	v_cmp_neq_f64_e64 s2, s[24:25], 1.0
	s_cselect_b32 s57, -1, 0
	s_add_co_i32 s19, s40, s19
	v_cmp_neq_f64_e64 s66, s[26:27], 0
	s_cmp_gt_i32 s31, 0
	s_add_nc_u64 s[20:21], s[20:21], s[62:63]
	s_cselect_b32 s58, -1, 0
	s_cmp_gt_i32 s34, 0
	s_add_nc_u64 s[20:21], s[20:21], s[64:65]
	s_cselect_b32 s59, -1, 0
	s_cmp_gt_i32 s8, 0
	s_mov_b32 s44, s11
	s_cselect_b32 s60, -1, 0
	s_abs_i32 s9, s9
	s_abs_i32 s61, s6
	s_cvt_f32_u32 s38, s9
	s_cvt_f32_u32 s40, s61
	s_abs_i32 s62, s54
	s_abs_i32 s64, s13
	v_rcp_iflag_f32_e32 v1, s38
	s_mov_b32 s38, s30
	s_cvt_f32_u32 s12, s62
	s_sub_co_i32 s11, 0, s9
	s_abs_i32 s67, s14
	s_abs_i32 s69, s15
	s_load_b64 s[0:1], s[0:1], 0x20
	s_ashr_i32 s72, s13, 31
	s_sub_co_i32 s13, 0, s67
	s_ashr_i32 s70, s54, 31
	v_readfirstlane_b32 s42, v1
	v_rcp_iflag_f32_e32 v1, s40
	s_mov_b32 s52, s8
	s_mov_b32 s40, s31
	s_ashr_i32 s73, s14, 31
	s_mul_f32 s30, s42, 0x4f7ffffe
	s_mov_b32 s42, s10
	s_ashr_i32 s75, s15, 31
	s_wait_alu 0xfffe
	s_mul_u64 s[14:15], s[34:35], s[40:41]
	s_cvt_u32_f32 s10, s30
	s_and_b32 s65, s55, 0xffff
	v_readfirstlane_b32 s30, v1
	s_or_b32 s63, s2, s66
	v_rcp_iflag_f32_e32 v1, s12
	s_cvt_f32_u32 s12, s64
	s_mul_i32 s11, s11, s10
	s_mul_f32 s2, s30, 0x4f7ffffe
	s_mul_hi_u32 s11, s10, s11
	s_wait_alu 0xfffe
	v_rcp_iflag_f32_e32 v2, s12
	s_sub_co_i32 s12, 0, s61
	s_cvt_u32_f32 s2, s2
	s_add_co_i32 s66, s10, s11
	v_readfirstlane_b32 s10, v1
	s_wait_alu 0xfffe
	s_mul_i32 s12, s12, s2
	s_wait_alu 0xfffe
	s_mul_hi_u32 s11, s2, s12
	s_cvt_f32_u32 s12, s67
	s_add_co_i32 s68, s2, s11
	s_cvt_f32_u32 s11, s69
	s_mul_f32 s2, s10, 0x4f7ffffe
	s_wait_alu 0xfffe
	v_rcp_iflag_f32_e32 v1, s12
	v_readfirstlane_b32 s10, v2
	v_rcp_iflag_f32_e32 v2, s11
	s_cvt_u32_f32 s2, s2
	s_sub_co_i32 s12, 0, s62
	s_sub_co_i32 s11, 0, s64
	s_mul_f32 s10, s10, 0x4f7ffffe
	s_wait_alu 0xfffe
	s_mul_i32 s12, s12, s2
	s_wait_alu 0xfffe
	s_mul_hi_u32 s12, s2, s12
	v_readfirstlane_b32 s30, v1
	s_cvt_u32_f32 s10, s10
	s_wait_alu 0xfffe
	s_add_co_i32 s71, s2, s12
	s_mul_f32 s12, s30, 0x4f7ffffe
	v_readfirstlane_b32 s30, v2
	s_mul_i32 s11, s11, s10
	s_wait_alu 0xfffe
	s_mul_hi_u32 s2, s10, s11
	s_mov_b32 s11, s3
	s_wait_alu 0xfffe
	s_add_co_i32 s10, s10, s2
	s_cvt_u32_f32 s2, s12
	s_mul_f32 s12, s30, 0x4f7ffffe
	s_mul_u64 s[30:31], s[52:53], s[50:51]
	s_mul_u64 s[50:51], s[46:47], s[44:45]
	s_wait_alu 0xfffe
	s_mul_i32 s13, s13, s2
	s_cvt_u32_f32 s54, s12
	s_wait_alu 0xfffe
	s_mul_hi_u32 s12, s2, s13
	s_sub_co_i32 s13, 0, s69
	s_wait_alu 0xfffe
	s_add_co_i32 s74, s2, s12
	s_mul_i32 s13, s13, s54
	s_wait_alu 0xfffe
	s_mul_hi_u32 s2, s54, s13
	s_lshl_b64 s[12:13], s[30:31], 2
	s_wait_alu 0xfffe
	s_add_co_i32 s41, s54, s2
	s_wait_kmcnt 0x0
	s_add_nc_u64 s[12:13], s[0:1], s[12:13]
	s_mul_u64 s[0:1], s[14:15], s[4:5]
	s_mul_u64 s[14:15], s[50:51], s[42:43]
	;; [unrolled: 1-line block ×6, first 2 shown]
	s_lshl_b64 s[30:31], s[30:31], 2
	s_lshl_b64 s[14:15], s[14:15], 2
	s_add_nc_u64 s[22:23], s[22:23], s[30:31]
	s_lshl_b64 s[30:31], s[0:1], 2
	s_lshl_b64 s[48:49], s[48:49], 2
	;; [unrolled: 1-line block ×4, first 2 shown]
	s_mov_b32 s35, 0
	s_branch .LBB92_3
.LBB92_2:                               ;   in Loop: Header=BB92_3 Depth=1
	s_delay_alu instid0(VALU_DEP_1) | instskip(SKIP_1) | instid1(VALU_DEP_1)
	v_cvt_f32_f64_e32 v3, v[3:4]
	v_add_nc_u32_e32 v0, s65, v0
	v_cmp_le_i32_e32 vcc_lo, s33, v0
	s_or_b32 s35, vcc_lo, s35
	global_store_b32 v[1:2], v3, off
	s_and_not1_b32 exec_lo, exec_lo, s35
	s_cbranch_execz .LBB92_35
.LBB92_3:                               ; =>This Loop Header: Depth=1
                                        ;     Child Loop BB92_8 Depth 2
                                        ;       Child Loop BB92_17 Depth 3
                                        ;         Child Loop BB92_24 Depth 4
                                        ;           Child Loop BB92_31 Depth 5
	v_sub_nc_u32_e32 v1, 0, v0
	s_mov_b32 s39, -1
	s_delay_alu instid0(VALU_DEP_1) | instskip(NEXT) | instid1(VALU_DEP_1)
	v_max_i32_e32 v1, v0, v1
	v_mul_hi_u32 v2, v1, s66
	s_delay_alu instid0(VALU_DEP_1) | instskip(NEXT) | instid1(VALU_DEP_1)
	v_mul_lo_u32 v3, v2, s9
	v_sub_nc_u32_e32 v4, v1, v3
	s_delay_alu instid0(VALU_DEP_1) | instskip(SKIP_2) | instid1(VALU_DEP_2)
	v_subrev_nc_u32_e32 v5, s9, v4
	v_cmp_le_u32_e32 vcc_lo, s9, v4
	s_wait_alu 0xfffd
	v_dual_cndmask_b32 v4, v4, v5 :: v_dual_add_nc_u32 v3, 1, v2
	s_delay_alu instid0(VALU_DEP_1) | instskip(SKIP_1) | instid1(VALU_DEP_3)
	v_cndmask_b32_e32 v2, v2, v3, vcc_lo
	v_ashrrev_i32_e32 v3, 31, v0
	v_cmp_le_u32_e32 vcc_lo, s9, v4
	s_delay_alu instid0(VALU_DEP_3) | instskip(NEXT) | instid1(VALU_DEP_3)
	v_add_nc_u32_e32 v5, 1, v2
	v_xor_b32_e32 v6, s5, v3
	s_wait_alu 0xfffd
	s_delay_alu instid0(VALU_DEP_2) | instskip(SKIP_1) | instid1(VALU_DEP_2)
	v_cndmask_b32_e32 v2, v2, v5, vcc_lo
	v_mul_hi_u32 v5, v1, s71
	v_xor_b32_e32 v2, v2, v6
	s_delay_alu instid0(VALU_DEP_2) | instskip(NEXT) | instid1(VALU_DEP_2)
	v_mul_lo_u32 v7, v5, s62
	v_sub_nc_u32_e32 v4, v2, v6
	s_delay_alu instid0(VALU_DEP_1) | instskip(SKIP_1) | instid1(VALU_DEP_4)
	v_sub_nc_u32_e32 v2, 0, v4
	v_mul_lo_u32 v8, v4, s4
	v_sub_nc_u32_e32 v1, v1, v7
	s_delay_alu instid0(VALU_DEP_3) | instskip(NEXT) | instid1(VALU_DEP_2)
	v_max_i32_e32 v2, v4, v2
	v_subrev_nc_u32_e32 v7, s62, v1
	v_cmp_le_u32_e64 s0, s62, v1
	s_delay_alu instid0(VALU_DEP_3) | instskip(NEXT) | instid1(VALU_DEP_1)
	v_mul_hi_u32 v6, v2, s68
	v_mul_lo_u32 v6, v6, s61
	s_delay_alu instid0(VALU_DEP_1) | instskip(NEXT) | instid1(VALU_DEP_1)
	v_sub_nc_u32_e32 v2, v2, v6
	v_subrev_nc_u32_e32 v6, s61, v2
	v_cmp_le_u32_e32 vcc_lo, s61, v2
	s_wait_alu 0xfffd
	s_delay_alu instid0(VALU_DEP_2)
	v_cndmask_b32_e32 v6, v2, v6, vcc_lo
	s_wait_alu 0xf1ff
	v_cndmask_b32_e64 v2, v1, v7, s0
	v_sub_nc_u32_e32 v1, v0, v8
	s_and_not1_b32 vcc_lo, exec_lo, s57
	v_cmp_le_u32_e64 s2, s61, v6
	s_delay_alu instid0(VALU_DEP_3)
	v_cmp_le_u32_e64 s1, s62, v2
	s_wait_alu 0xfffe
	s_cbranch_vccnz .LBB92_5
; %bb.4:                                ;   in Loop: Header=BB92_3 Depth=1
	v_ashrrev_i32_e32 v2, 31, v1
	s_mov_b32 s39, 0
.LBB92_5:                               ;   in Loop: Header=BB92_3 Depth=1
	v_add_nc_u32_e32 v7, 1, v5
	v_ashrrev_i32_e32 v4, 31, v4
	s_wait_alu 0xfffe
	s_and_not1_b32 vcc_lo, exec_lo, s39
	s_delay_alu instid0(VALU_DEP_2) | instskip(SKIP_1) | instid1(VALU_DEP_2)
	v_cndmask_b32_e64 v5, v5, v7, s0
	v_subrev_nc_u32_e32 v7, s61, v6
	v_add_nc_u32_e32 v8, 1, v5
	s_delay_alu instid0(VALU_DEP_2) | instskip(SKIP_1) | instid1(VALU_DEP_3)
	v_cndmask_b32_e64 v6, v6, v7, s2
	v_xor_b32_e32 v7, s70, v3
	v_cndmask_b32_e64 v3, v5, v8, s1
	s_delay_alu instid0(VALU_DEP_3) | instskip(NEXT) | instid1(VALU_DEP_2)
	v_xor_b32_e32 v5, v6, v4
	v_xor_b32_e32 v6, v3, v7
	s_delay_alu instid0(VALU_DEP_2) | instskip(SKIP_2) | instid1(VALU_DEP_4)
	v_sub_nc_u32_e32 v5, v5, v4
	v_mov_b32_e32 v3, 0
	v_mov_b32_e32 v4, 0
	v_sub_nc_u32_e32 v18, v6, v7
	s_wait_alu 0xfffe
	s_cbranch_vccnz .LBB92_33
; %bb.6:                                ;   in Loop: Header=BB92_3 Depth=1
	v_ashrrev_i32_e32 v2, 31, v1
	v_dual_mov_b32 v3, 0 :: v_dual_add_nc_u32 v20, s29, v5
	v_dual_mov_b32 v4, 0 :: v_dual_add_nc_u32 v19, s28, v18
	s_delay_alu instid0(VALU_DEP_3) | instskip(SKIP_1) | instid1(VALU_DEP_1)
	v_lshlrev_b64_e32 v[6:7], 2, v[1:2]
	s_mov_b32 s39, 0
	v_add_co_u32 v6, vcc_lo, s22, v6
	s_wait_alu 0xfffd
	s_delay_alu instid0(VALU_DEP_2)
	v_add_co_ci_u32_e64 v7, null, s23, v7, vcc_lo
	s_branch .LBB92_8
.LBB92_7:                               ;   in Loop: Header=BB92_8 Depth=2
	v_add_co_u32 v6, vcc_lo, v6, s30
	s_wait_alu 0xfffd
	v_add_co_ci_u32_e64 v7, null, s31, v7, vcc_lo
	s_add_co_i32 s39, s39, 1
	s_wait_alu 0xfffe
	s_cmp_eq_u32 s39, s38
	s_cbranch_scc1 .LBB92_33
.LBB92_8:                               ;   Parent Loop BB92_3 Depth=1
                                        ; =>  This Loop Header: Depth=2
                                        ;       Child Loop BB92_17 Depth 3
                                        ;         Child Loop BB92_24 Depth 4
                                        ;           Child Loop BB92_31 Depth 5
	s_wait_alu 0xfffe
	s_mul_i32 s0, s16, s39
	s_mov_b32 s76, -1
	s_wait_alu 0xfffe
	s_sub_co_i32 s54, s19, s0
	s_mov_b32 s55, 0
	s_wait_alu 0xfffe
	s_cmp_gt_i32 s54, -1
                                        ; implicit-def: $sgpr2
                                        ; implicit-def: $sgpr1
                                        ; implicit-def: $sgpr0
                                        ; implicit-def: $sgpr43
	s_cbranch_scc1 .LBB92_12
; %bb.9:                                ;   in Loop: Header=BB92_8 Depth=2
	s_and_not1_b32 vcc_lo, exec_lo, s76
	s_wait_alu 0xfffe
	s_cbranch_vccz .LBB92_13
.LBB92_10:                              ;   in Loop: Header=BB92_8 Depth=2
	s_wait_alu 0xfffe
	s_and_not1_b32 vcc_lo, exec_lo, s55
	s_mov_b32 s54, 1
	s_wait_alu 0xfffe
	s_cbranch_vccz .LBB92_14
; %bb.11:                               ;   in Loop: Header=BB92_8 Depth=2
	s_and_not1_b32 vcc_lo, exec_lo, s58
	s_wait_alu 0xfffe
	s_cbranch_vccz .LBB92_15
	s_branch .LBB92_7
.LBB92_12:                              ;   in Loop: Header=BB92_8 Depth=2
	s_abs_i32 s2, s54
	s_wait_alu 0xfffe
	s_mul_u64 s[0:1], s[2:3], s[10:11]
	s_wait_alu 0xfffe
	s_mul_i32 s0, s1, s64
	s_wait_alu 0xfffe
	s_sub_co_i32 s0, s2, s0
	s_ashr_i32 s2, s54, 31
	s_wait_alu 0xfffe
	s_sub_co_i32 s43, s0, s64
	s_cmp_ge_u32 s0, s64
	s_cselect_b32 s55, s43, s0
	s_wait_alu 0xfffe
	s_sub_co_i32 s76, s55, s64
	s_cmp_ge_u32 s55, s64
	s_cselect_b32 s55, s76, s55
	s_wait_alu 0xfffe
	s_xor_b32 s55, s55, s2
	s_wait_alu 0xfffe
	s_sub_co_i32 s55, s55, s2
	s_wait_alu 0xfffe
	s_cmp_lg_u32 s55, 0
	s_cselect_b32 s55, -1, 0
	s_cbranch_execnz .LBB92_10
.LBB92_13:                              ;   in Loop: Header=BB92_8 Depth=2
	s_abs_i32 s2, s54
	s_wait_alu 0xfffe
	s_mul_u64 s[0:1], s[2:3], s[10:11]
	s_wait_alu 0xfffe
	s_mul_i32 s0, s1, s64
	s_wait_alu 0xfffe
	s_sub_co_i32 s0, s2, s0
	s_ashr_i32 s2, s54, 31
	s_wait_alu 0xfffe
	s_sub_co_i32 s43, s0, s64
	s_mov_b32 s54, 1
.LBB92_14:                              ;   in Loop: Header=BB92_8 Depth=2
	s_mov_b32 s54, 0
	s_and_not1_b32 vcc_lo, exec_lo, s58
	s_wait_alu 0xfffe
	s_cbranch_vccnz .LBB92_7
.LBB92_15:                              ;   in Loop: Header=BB92_8 Depth=2
	s_xor_b32 s2, s2, s72
	s_add_co_i32 s55, s1, 1
	s_cmp_ge_u32 s0, s64
	v_dual_mov_b32 v9, v7 :: v_dual_mov_b32 v8, v6
	s_wait_alu 0xfffe
	s_cselect_b32 s1, s55, s1
	s_cselect_b32 s0, s43, s0
	s_wait_alu 0xfffe
	s_add_co_i32 s43, s1, 1
	s_cmp_ge_u32 s0, s64
	s_cselect_b32 s0, s43, s1
	s_wait_alu 0xfffe
	s_xor_b32 s0, s0, s2
	s_wait_alu 0xfffe
	s_sub_co_i32 s76, s0, s2
	s_mov_b32 s2, 0
	s_cmp_lt_i32 s76, s42
	s_cselect_b32 s1, s54, 0
	s_ashr_i32 s77, s76, 31
	s_delay_alu instid0(SALU_CYCLE_1)
	s_mul_u64 s[54:55], s[76:77], s[44:45]
	s_branch .LBB92_17
.LBB92_16:                              ;   in Loop: Header=BB92_17 Depth=3
	v_add_co_u32 v8, vcc_lo, v8, s48
	s_wait_alu 0xfffd
	v_add_co_ci_u32_e64 v9, null, s49, v9, vcc_lo
	s_add_co_i32 s2, s2, 1
	s_wait_alu 0xfffe
	s_cmp_eq_u32 s2, s40
	s_cbranch_scc1 .LBB92_7
.LBB92_17:                              ;   Parent Loop BB92_3 Depth=1
                                        ;     Parent Loop BB92_8 Depth=2
                                        ; =>    This Loop Header: Depth=3
                                        ;         Child Loop BB92_24 Depth 4
                                        ;           Child Loop BB92_31 Depth 5
	s_wait_alu 0xfffe
	s_mul_i32 s0, s17, s2
	s_mov_b32 s43, exec_lo
	s_wait_alu 0xfffe
	v_subrev_nc_u32_e32 v11, s0, v19
	s_delay_alu instid0(VALU_DEP_1)
	v_cmp_gt_i32_e64 s0, 0, v11
	v_ashrrev_i32_e32 v10, 31, v11
	v_sub_nc_u32_e32 v12, 0, v11
	v_cmpx_lt_i32_e32 -1, v11
	s_cbranch_execnz .LBB92_20
; %bb.18:                               ;   in Loop: Header=BB92_17 Depth=3
	s_or_b32 exec_lo, exec_lo, s43
	v_mov_b32_e32 v13, 1
	s_and_saveexec_b32 s43, s0
	s_cbranch_execnz .LBB92_21
.LBB92_19:                              ;   in Loop: Header=BB92_17 Depth=3
	s_or_b32 exec_lo, exec_lo, s43
	s_delay_alu instid0(SALU_CYCLE_1)
	s_and_not1_b32 vcc_lo, exec_lo, s59
	s_wait_alu 0xfffe
	s_cbranch_vccz .LBB92_22
	s_branch .LBB92_16
.LBB92_20:                              ;   in Loop: Header=BB92_17 Depth=3
	s_delay_alu instid0(VALU_DEP_2) | instskip(SKIP_1) | instid1(VALU_DEP_1)
	v_max_i32_e32 v13, v11, v12
	s_and_not1_b32 s0, s0, exec_lo
	v_mul_hi_u32 v14, v13, s74
	s_delay_alu instid0(VALU_DEP_1) | instskip(NEXT) | instid1(VALU_DEP_1)
	v_mul_lo_u32 v14, v14, s67
	v_sub_nc_u32_e32 v13, v13, v14
	s_delay_alu instid0(VALU_DEP_1) | instskip(SKIP_2) | instid1(VALU_DEP_2)
	v_subrev_nc_u32_e32 v14, s67, v13
	v_cmp_le_u32_e32 vcc_lo, s67, v13
	s_wait_alu 0xfffd
	v_cndmask_b32_e32 v13, v13, v14, vcc_lo
	s_delay_alu instid0(VALU_DEP_1) | instskip(SKIP_2) | instid1(VALU_DEP_2)
	v_subrev_nc_u32_e32 v14, s67, v13
	v_cmp_le_u32_e32 vcc_lo, s67, v13
	s_wait_alu 0xfffd
	v_cndmask_b32_e32 v13, v13, v14, vcc_lo
	s_delay_alu instid0(VALU_DEP_1) | instskip(NEXT) | instid1(VALU_DEP_1)
	v_xor_b32_e32 v13, v13, v10
	v_sub_nc_u32_e32 v13, v13, v10
	s_delay_alu instid0(VALU_DEP_1)
	v_cmp_ne_u32_e32 vcc_lo, 0, v13
	s_and_b32 s76, vcc_lo, exec_lo
	s_wait_alu 0xfffe
	s_or_b32 s0, s0, s76
	s_or_b32 exec_lo, exec_lo, s43
	v_mov_b32_e32 v13, 1
	s_wait_alu 0xfffe
	s_and_saveexec_b32 s43, s0
	s_cbranch_execz .LBB92_19
.LBB92_21:                              ;   in Loop: Header=BB92_17 Depth=3
	v_mov_b32_e32 v13, 0
	s_or_b32 exec_lo, exec_lo, s43
	s_delay_alu instid0(SALU_CYCLE_1)
	s_and_not1_b32 vcc_lo, exec_lo, s59
	s_wait_alu 0xfffe
	s_cbranch_vccnz .LBB92_16
.LBB92_22:                              ;   in Loop: Header=BB92_17 Depth=3
	v_max_i32_e32 v11, v11, v12
	v_xor_b32_e32 v10, s73, v10
	s_mov_b32 s43, 0
	s_delay_alu instid0(VALU_DEP_2) | instskip(NEXT) | instid1(VALU_DEP_1)
	v_mul_hi_u32 v12, v11, s74
	v_mul_lo_u32 v14, v12, s67
	s_delay_alu instid0(VALU_DEP_1) | instskip(NEXT) | instid1(VALU_DEP_1)
	v_sub_nc_u32_e32 v11, v11, v14
	v_subrev_nc_u32_e32 v15, s67, v11
	v_cmp_le_u32_e32 vcc_lo, s67, v11
	s_wait_alu 0xfffd
	s_delay_alu instid0(VALU_DEP_2) | instskip(NEXT) | instid1(VALU_DEP_1)
	v_dual_cndmask_b32 v11, v11, v15 :: v_dual_add_nc_u32 v14, 1, v12
	v_cndmask_b32_e32 v12, v12, v14, vcc_lo
	s_delay_alu instid0(VALU_DEP_2) | instskip(NEXT) | instid1(VALU_DEP_2)
	v_cmp_le_u32_e32 vcc_lo, s67, v11
	v_add_nc_u32_e32 v14, 1, v12
	s_wait_alu 0xfffd
	s_delay_alu instid0(VALU_DEP_1) | instskip(NEXT) | instid1(VALU_DEP_1)
	v_cndmask_b32_e32 v11, v12, v14, vcc_lo
	v_xor_b32_e32 v11, v11, v10
	s_delay_alu instid0(VALU_DEP_1) | instskip(NEXT) | instid1(VALU_DEP_1)
	v_sub_nc_u32_e32 v12, v11, v10
	v_ashrrev_i32_e32 v10, 31, v12
	v_add_co_u32 v11, vcc_lo, s54, v12
	s_wait_alu 0xfffd
	s_delay_alu instid0(VALU_DEP_2) | instskip(SKIP_1) | instid1(VALU_DEP_3)
	v_add_co_ci_u32_e64 v14, null, s55, v10, vcc_lo
	v_cmp_gt_i32_e32 vcc_lo, s44, v12
	v_mul_lo_u32 v15, v11, s47
	v_mad_co_u64_u32 v[10:11], null, v11, s46, 0
	s_delay_alu instid0(VALU_DEP_4) | instskip(SKIP_2) | instid1(VALU_DEP_1)
	v_mul_lo_u32 v14, v14, s46
	s_wait_alu 0xfffd
	v_cndmask_b32_e32 v12, 0, v13, vcc_lo
	v_and_b32_e32 v21, s1, v12
	v_mov_b32_e32 v13, v9
	s_delay_alu instid0(VALU_DEP_4)
	v_add3_u32 v11, v11, v15, v14
	v_mov_b32_e32 v12, v8
	s_branch .LBB92_24
.LBB92_23:                              ;   in Loop: Header=BB92_24 Depth=4
	v_add_co_u32 v12, vcc_lo, v12, s50
	s_wait_alu 0xfffd
	v_add_co_ci_u32_e64 v13, null, s51, v13, vcc_lo
	s_add_co_i32 s43, s43, 1
	s_delay_alu instid0(SALU_CYCLE_1)
	s_cmp_eq_u32 s43, s34
	s_cbranch_scc1 .LBB92_16
.LBB92_24:                              ;   Parent Loop BB92_3 Depth=1
                                        ;     Parent Loop BB92_8 Depth=2
                                        ;       Parent Loop BB92_17 Depth=3
                                        ; =>      This Loop Header: Depth=4
                                        ;           Child Loop BB92_31 Depth 5
	s_mul_i32 s0, s18, s43
	s_wait_alu 0xfffe
	v_subrev_nc_u32_e32 v15, s0, v20
	s_delay_alu instid0(VALU_DEP_1) | instskip(SKIP_3) | instid1(VALU_DEP_4)
	v_sub_nc_u32_e32 v16, 0, v15
	v_cmp_gt_i32_e64 s0, 0, v15
	v_cmp_lt_i32_e32 vcc_lo, -1, v15
	v_ashrrev_i32_e32 v14, 31, v15
	v_max_i32_e32 v15, v15, v16
	s_and_saveexec_b32 s76, vcc_lo
	s_cbranch_execnz .LBB92_27
; %bb.25:                               ;   in Loop: Header=BB92_24 Depth=4
	s_or_b32 exec_lo, exec_lo, s76
	v_mov_b32_e32 v16, 1
	s_and_saveexec_b32 s76, s0
	s_cbranch_execnz .LBB92_28
.LBB92_26:                              ;   in Loop: Header=BB92_24 Depth=4
	s_or_b32 exec_lo, exec_lo, s76
	s_delay_alu instid0(SALU_CYCLE_1)
	s_and_not1_b32 vcc_lo, exec_lo, s60
	s_wait_alu 0xfffe
	s_cbranch_vccz .LBB92_29
	s_branch .LBB92_23
.LBB92_27:                              ;   in Loop: Header=BB92_24 Depth=4
	s_delay_alu instid0(VALU_DEP_1) | instskip(SKIP_1) | instid1(VALU_DEP_1)
	v_mul_hi_u32 v16, v15, s41
	s_and_not1_b32 s0, s0, exec_lo
	v_mul_lo_u32 v16, v16, s69
	s_delay_alu instid0(VALU_DEP_1) | instskip(NEXT) | instid1(VALU_DEP_1)
	v_sub_nc_u32_e32 v16, v15, v16
	v_subrev_nc_u32_e32 v17, s69, v16
	v_cmp_le_u32_e32 vcc_lo, s69, v16
	s_wait_alu 0xfffd
	s_delay_alu instid0(VALU_DEP_2) | instskip(NEXT) | instid1(VALU_DEP_1)
	v_cndmask_b32_e32 v16, v16, v17, vcc_lo
	v_subrev_nc_u32_e32 v17, s69, v16
	v_cmp_le_u32_e32 vcc_lo, s69, v16
	s_wait_alu 0xfffd
	s_delay_alu instid0(VALU_DEP_2) | instskip(NEXT) | instid1(VALU_DEP_1)
	v_cndmask_b32_e32 v16, v16, v17, vcc_lo
	v_xor_b32_e32 v16, v16, v14
	s_delay_alu instid0(VALU_DEP_1) | instskip(NEXT) | instid1(VALU_DEP_1)
	v_sub_nc_u32_e32 v16, v16, v14
	v_cmp_ne_u32_e32 vcc_lo, 0, v16
	s_and_b32 s77, vcc_lo, exec_lo
	s_wait_alu 0xfffe
	s_or_b32 s0, s0, s77
	s_or_b32 exec_lo, exec_lo, s76
	v_mov_b32_e32 v16, 1
	s_wait_alu 0xfffe
	s_and_saveexec_b32 s76, s0
	s_cbranch_execz .LBB92_26
.LBB92_28:                              ;   in Loop: Header=BB92_24 Depth=4
	v_mov_b32_e32 v16, 0
	s_or_b32 exec_lo, exec_lo, s76
	s_delay_alu instid0(SALU_CYCLE_1)
	s_and_not1_b32 vcc_lo, exec_lo, s60
	s_wait_alu 0xfffe
	s_cbranch_vccnz .LBB92_23
.LBB92_29:                              ;   in Loop: Header=BB92_24 Depth=4
	v_mul_hi_u32 v17, v15, s41
	v_xor_b32_e32 v14, s75, v14
	s_mov_b32 s76, s8
	s_delay_alu instid0(VALU_DEP_2) | instskip(NEXT) | instid1(VALU_DEP_1)
	v_mul_lo_u32 v22, v17, s69
	v_sub_nc_u32_e32 v15, v15, v22
	s_delay_alu instid0(VALU_DEP_1) | instskip(SKIP_2) | instid1(VALU_DEP_2)
	v_subrev_nc_u32_e32 v23, s69, v15
	v_cmp_le_u32_e32 vcc_lo, s69, v15
	s_wait_alu 0xfffd
	v_dual_cndmask_b32 v15, v15, v23 :: v_dual_add_nc_u32 v22, 1, v17
	s_delay_alu instid0(VALU_DEP_1) | instskip(NEXT) | instid1(VALU_DEP_2)
	v_cndmask_b32_e32 v17, v17, v22, vcc_lo
	v_cmp_le_u32_e32 vcc_lo, s69, v15
	s_delay_alu instid0(VALU_DEP_2) | instskip(SKIP_1) | instid1(VALU_DEP_1)
	v_add_nc_u32_e32 v22, 1, v17
	s_wait_alu 0xfffd
	v_cndmask_b32_e32 v15, v17, v22, vcc_lo
	s_delay_alu instid0(VALU_DEP_1) | instskip(NEXT) | instid1(VALU_DEP_1)
	v_xor_b32_e32 v15, v15, v14
	v_sub_nc_u32_e32 v17, v15, v14
	s_delay_alu instid0(VALU_DEP_1) | instskip(SKIP_2) | instid1(VALU_DEP_2)
	v_ashrrev_i32_e32 v15, 31, v17
	v_add_co_u32 v14, vcc_lo, v10, v17
	s_wait_alu 0xfffd
	v_add_co_ci_u32_e64 v15, null, v11, v15, vcc_lo
	v_cmp_gt_i32_e32 vcc_lo, s46, v17
	s_delay_alu instid0(VALU_DEP_2) | instskip(SKIP_2) | instid1(VALU_DEP_2)
	v_lshlrev_b64_e32 v[14:15], 2, v[14:15]
	s_wait_alu 0xfffd
	v_cndmask_b32_e32 v16, 0, v16, vcc_lo
	v_add_co_u32 v14, vcc_lo, s14, v14
	s_wait_alu 0xfffd
	s_delay_alu instid0(VALU_DEP_3) | instskip(NEXT) | instid1(VALU_DEP_3)
	v_add_co_ci_u32_e64 v15, null, s15, v15, vcc_lo
	v_and_b32_e32 v16, v21, v16
	s_delay_alu instid0(VALU_DEP_3) | instskip(NEXT) | instid1(VALU_DEP_3)
	v_mul_lo_u32 v22, s56, v14
	v_mul_lo_u32 v17, s7, v15
	v_mad_co_u64_u32 v[14:15], null, s7, v14, s[12:13]
	s_delay_alu instid0(VALU_DEP_4) | instskip(NEXT) | instid1(VALU_DEP_1)
	v_and_b32_e32 v16, 1, v16
	v_cmp_eq_u32_e32 vcc_lo, 1, v16
	s_delay_alu instid0(VALU_DEP_3)
	v_add3_u32 v15, v22, v15, v17
	v_dual_mov_b32 v17, v13 :: v_dual_mov_b32 v16, v12
	s_branch .LBB92_31
.LBB92_30:                              ;   in Loop: Header=BB92_31 Depth=5
	s_wait_alu 0xfffe
	s_or_b32 exec_lo, exec_lo, s0
	v_add_co_u32 v14, s0, v14, 4
	s_wait_alu 0xf1ff
	v_add_co_ci_u32_e64 v15, null, 0, v15, s0
	v_add_co_u32 v16, s0, v16, s52
	s_wait_alu 0xf1ff
	v_add_co_ci_u32_e64 v17, null, s53, v17, s0
	s_add_co_i32 s76, s76, -1
	s_delay_alu instid0(SALU_CYCLE_1)
	s_cmp_eq_u32 s76, 0
	s_cbranch_scc1 .LBB92_23
.LBB92_31:                              ;   Parent Loop BB92_3 Depth=1
                                        ;     Parent Loop BB92_8 Depth=2
                                        ;       Parent Loop BB92_17 Depth=3
                                        ;         Parent Loop BB92_24 Depth=4
                                        ; =>        This Inner Loop Header: Depth=5
	s_and_saveexec_b32 s0, vcc_lo
	s_cbranch_execz .LBB92_30
; %bb.32:                               ;   in Loop: Header=BB92_31 Depth=5
	global_load_b32 v22, v[14:15], off
	global_load_b32 v24, v[16:17], off
	s_wait_loadcnt 0x1
	v_cvt_f64_f32_e32 v[22:23], v22
	s_wait_loadcnt 0x0
	v_cvt_f64_f32_e32 v[24:25], v24
	s_delay_alu instid0(VALU_DEP_1)
	v_fma_f64 v[3:4], v[22:23], v[24:25], v[3:4]
	s_branch .LBB92_30
.LBB92_33:                              ;   in Loop: Header=BB92_3 Depth=1
	v_ashrrev_i32_e32 v6, 31, v5
	v_lshlrev_b64_e32 v[1:2], 2, v[1:2]
	s_delay_alu instid0(VALU_DEP_2) | instskip(NEXT) | instid1(VALU_DEP_1)
	v_mad_co_i64_i32 v[5:6], null, v18, s6, v[5:6]
	v_mul_lo_u32 v7, v6, s36
	s_delay_alu instid0(VALU_DEP_2) | instskip(SKIP_1) | instid1(VALU_DEP_1)
	v_mul_lo_u32 v8, v5, s37
	v_mad_co_u64_u32 v[5:6], null, v5, s36, 0
	v_add3_u32 v6, v6, v8, v7
	s_delay_alu instid0(VALU_DEP_1) | instskip(NEXT) | instid1(VALU_DEP_1)
	v_lshlrev_b64_e32 v[5:6], 2, v[5:6]
	v_add_co_u32 v5, vcc_lo, s20, v5
	s_wait_alu 0xfffd
	s_delay_alu instid0(VALU_DEP_2) | instskip(NEXT) | instid1(VALU_DEP_2)
	v_add_co_ci_u32_e64 v6, null, s21, v6, vcc_lo
	v_add_co_u32 v1, vcc_lo, v5, v1
	s_wait_alu 0xfffd
	s_delay_alu instid0(VALU_DEP_2)
	v_add_co_ci_u32_e64 v2, null, v6, v2, vcc_lo
	s_and_not1_b32 vcc_lo, exec_lo, s63
	s_wait_alu 0xfffe
	s_cbranch_vccnz .LBB92_2
; %bb.34:                               ;   in Loop: Header=BB92_3 Depth=1
	global_load_b32 v5, v[1:2], off
	s_wait_loadcnt 0x0
	v_cvt_f64_f32_e32 v[5:6], v5
	s_delay_alu instid0(VALU_DEP_1) | instskip(NEXT) | instid1(VALU_DEP_1)
	v_mul_f64_e32 v[5:6], s[26:27], v[5:6]
	v_fma_f64 v[3:4], s[24:25], v[3:4], v[5:6]
	s_branch .LBB92_2
.LBB92_35:
	s_endpgm
	.section	.rodata,"a",@progbits
	.p2align	6, 0x0
	.amdhsa_kernel naive_conv_ab_packed_bwd_ndhwc_float_double_float_0
		.amdhsa_group_segment_fixed_size 0
		.amdhsa_private_segment_fixed_size 0
		.amdhsa_kernarg_size 528
		.amdhsa_user_sgpr_count 2
		.amdhsa_user_sgpr_dispatch_ptr 0
		.amdhsa_user_sgpr_queue_ptr 0
		.amdhsa_user_sgpr_kernarg_segment_ptr 1
		.amdhsa_user_sgpr_dispatch_id 0
		.amdhsa_user_sgpr_private_segment_size 0
		.amdhsa_wavefront_size32 1
		.amdhsa_uses_dynamic_stack 0
		.amdhsa_enable_private_segment 0
		.amdhsa_system_sgpr_workgroup_id_x 1
		.amdhsa_system_sgpr_workgroup_id_y 0
		.amdhsa_system_sgpr_workgroup_id_z 0
		.amdhsa_system_sgpr_workgroup_info 0
		.amdhsa_system_vgpr_workitem_id 0
		.amdhsa_next_free_vgpr 26
		.amdhsa_next_free_sgpr 78
		.amdhsa_reserve_vcc 1
		.amdhsa_float_round_mode_32 0
		.amdhsa_float_round_mode_16_64 0
		.amdhsa_float_denorm_mode_32 3
		.amdhsa_float_denorm_mode_16_64 3
		.amdhsa_fp16_overflow 0
		.amdhsa_workgroup_processor_mode 1
		.amdhsa_memory_ordered 1
		.amdhsa_forward_progress 1
		.amdhsa_inst_pref_size 26
		.amdhsa_round_robin_scheduling 0
		.amdhsa_exception_fp_ieee_invalid_op 0
		.amdhsa_exception_fp_denorm_src 0
		.amdhsa_exception_fp_ieee_div_zero 0
		.amdhsa_exception_fp_ieee_overflow 0
		.amdhsa_exception_fp_ieee_underflow 0
		.amdhsa_exception_fp_ieee_inexact 0
		.amdhsa_exception_int_div_zero 0
	.end_amdhsa_kernel
	.text
.Lfunc_end92:
	.size	naive_conv_ab_packed_bwd_ndhwc_float_double_float_0, .Lfunc_end92-naive_conv_ab_packed_bwd_ndhwc_float_double_float_0
                                        ; -- End function
	.set naive_conv_ab_packed_bwd_ndhwc_float_double_float_0.num_vgpr, 26
	.set naive_conv_ab_packed_bwd_ndhwc_float_double_float_0.num_agpr, 0
	.set naive_conv_ab_packed_bwd_ndhwc_float_double_float_0.numbered_sgpr, 78
	.set naive_conv_ab_packed_bwd_ndhwc_float_double_float_0.num_named_barrier, 0
	.set naive_conv_ab_packed_bwd_ndhwc_float_double_float_0.private_seg_size, 0
	.set naive_conv_ab_packed_bwd_ndhwc_float_double_float_0.uses_vcc, 1
	.set naive_conv_ab_packed_bwd_ndhwc_float_double_float_0.uses_flat_scratch, 0
	.set naive_conv_ab_packed_bwd_ndhwc_float_double_float_0.has_dyn_sized_stack, 0
	.set naive_conv_ab_packed_bwd_ndhwc_float_double_float_0.has_recursion, 0
	.set naive_conv_ab_packed_bwd_ndhwc_float_double_float_0.has_indirect_call, 0
	.section	.AMDGPU.csdata,"",@progbits
; Kernel info:
; codeLenInByte = 3244
; TotalNumSgprs: 80
; NumVgprs: 26
; ScratchSize: 0
; MemoryBound: 0
; FloatMode: 240
; IeeeMode: 1
; LDSByteSize: 0 bytes/workgroup (compile time only)
; SGPRBlocks: 0
; VGPRBlocks: 3
; NumSGPRsForWavesPerEU: 80
; NumVGPRsForWavesPerEU: 26
; Occupancy: 16
; WaveLimiterHint : 1
; COMPUTE_PGM_RSRC2:SCRATCH_EN: 0
; COMPUTE_PGM_RSRC2:USER_SGPR: 2
; COMPUTE_PGM_RSRC2:TRAP_HANDLER: 0
; COMPUTE_PGM_RSRC2:TGID_X_EN: 1
; COMPUTE_PGM_RSRC2:TGID_Y_EN: 0
; COMPUTE_PGM_RSRC2:TGID_Z_EN: 0
; COMPUTE_PGM_RSRC2:TIDIG_COMP_CNT: 0
	.text
	.protected	naive_conv_ab_nonpacked_bwd_ndhwc_float_double_float_0 ; -- Begin function naive_conv_ab_nonpacked_bwd_ndhwc_float_double_float_0
	.globl	naive_conv_ab_nonpacked_bwd_ndhwc_float_double_float_0
	.p2align	8
	.type	naive_conv_ab_nonpacked_bwd_ndhwc_float_double_float_0,@function
naive_conv_ab_nonpacked_bwd_ndhwc_float_double_float_0: ; @naive_conv_ab_nonpacked_bwd_ndhwc_float_double_float_0
; %bb.0:
	s_load_b512 s[4:19], s[0:1], 0xb8
	s_mov_b32 s24, exec_lo
	s_wait_kmcnt 0x0
	s_abs_i32 s3, s4
	s_mul_i32 s85, s9, s6
	s_cvt_f32_u32 s2, s3
	s_mul_i32 s33, s85, s5
	s_delay_alu instid0(SALU_CYCLE_2) | instskip(NEXT) | instid1(TRANS32_DEP_1)
	v_rcp_iflag_f32_e32 v1, s2
	v_readfirstlane_b32 s2, v1
	s_mul_f32 s2, s2, 0x4f7ffffe
	s_wait_alu 0xfffe
	s_delay_alu instid0(SALU_CYCLE_2) | instskip(SKIP_2) | instid1(SALU_CYCLE_1)
	s_cvt_u32_f32 s20, s2
	s_sub_co_i32 s2, 0, s3
	s_wait_alu 0xfffe
	s_mul_i32 s2, s2, s20
	s_wait_alu 0xfffe
	s_mul_hi_u32 s21, s20, s2
	s_abs_i32 s2, ttmp9
	s_add_co_i32 s20, s20, s21
	s_wait_alu 0xfffe
	s_mul_hi_u32 s20, s2, s20
	s_delay_alu instid0(SALU_CYCLE_1) | instskip(SKIP_2) | instid1(SALU_CYCLE_1)
	s_mul_i32 s21, s20, s3
	s_add_co_i32 s22, s20, 1
	s_sub_co_i32 s21, s2, s21
	s_sub_co_i32 s23, s21, s3
	s_cmp_ge_u32 s21, s3
	s_cselect_b32 s20, s22, s20
	s_cselect_b32 s21, s23, s21
	s_add_co_i32 s22, s20, 1
	s_cmp_ge_u32 s21, s3
	s_mul_i32 s21, s7, s4
	s_cselect_b32 s22, s22, s20
	s_abs_i32 s20, s7
	s_abs_i32 s7, s21
	s_cvt_f32_u32 s3, s20
	s_cvt_f32_u32 s23, s7
	s_wait_alu 0xfffe
	s_delay_alu instid0(SALU_CYCLE_1) | instskip(NEXT) | instid1(SALU_CYCLE_1)
	v_rcp_iflag_f32_e32 v1, s3
	v_rcp_iflag_f32_e32 v2, s23
	s_mov_b32 s3, 0
	s_delay_alu instid0(TRANS32_DEP_2) | instskip(NEXT) | instid1(TRANS32_DEP_1)
	v_readfirstlane_b32 s23, v1
	v_readfirstlane_b32 s5, v2
	v_cmpx_gt_i32_e64 s33, v0
	s_cbranch_execz .LBB93_35
; %bb.1:
	s_mul_f32 s23, s23, 0x4f7ffffe
	s_ashr_i32 s26, ttmp9, 31
	s_ashr_i32 s24, s4, 31
	s_mul_f32 s5, s5, 0x4f7ffffe
	s_wait_alu 0xfffe
	s_cvt_u32_f32 s23, s23
	s_sub_co_i32 s25, 0, s20
	s_xor_b32 s24, s26, s24
	s_cvt_u32_f32 s5, s5
	s_xor_b32 s22, s22, s24
	s_wait_alu 0xfffe
	s_mul_i32 s25, s25, s23
	s_sub_co_i32 s27, s22, s24
	s_mul_hi_u32 s24, s23, s25
	s_sub_co_i32 s28, 0, s7
	s_abs_i32 s22, s27
	s_add_co_i32 s24, s23, s24
	s_mov_b32 s23, s3
	s_mov_b32 s25, s3
	s_mul_i32 s28, s28, s5
	s_wait_alu 0xfffe
	s_mul_u64 s[24:25], s[22:23], s[24:25]
	s_mul_hi_u32 s24, s5, s28
	s_ashr_i32 s23, s27, 31
	s_add_co_i32 s24, s5, s24
	s_mul_i32 s5, s25, s20
	s_mul_i32 s27, s27, s4
	s_sub_co_i32 s5, s22, s5
	s_ashr_i32 s21, s21, 31
	s_sub_co_i32 s4, ttmp9, s27
	s_sub_co_i32 s22, s5, s20
	s_cmp_ge_u32 s5, s20
	s_mov_b32 s25, s3
	s_wait_alu 0xfffe
	s_cselect_b32 s5, s22, s5
	s_mul_u64 s[34:35], s[2:3], s[24:25]
	s_sub_co_i32 s22, s5, s20
	s_cmp_ge_u32 s5, s20
	s_load_b512 s[36:51], s[0:1], 0x28
	s_cselect_b32 s5, s22, s5
	s_xor_b32 s34, s26, s21
	s_xor_b32 s5, s5, s23
	s_clause 0x1
	s_load_b128 s[28:31], s[0:1], 0xf8
	s_load_b128 s[68:71], s[0:1], 0xa8
	s_sub_co_i32 s72, s5, s23
	s_mul_i32 s5, s35, s7
	s_load_b256 s[20:27], s[0:1], 0x0
	s_sub_co_i32 s2, s2, s5
	s_add_co_i32 s5, s35, 1
	s_wait_alu 0xfffe
	s_sub_co_i32 s52, s2, s7
	s_cmp_ge_u32 s2, s7
	s_clause 0x1
	s_load_b32 s76, s[0:1], 0x108
	s_load_b32 s88, s[0:1], 0x11c
	s_cselect_b32 s5, s5, s35
	s_cselect_b32 s2, s52, s2
	s_add_co_i32 s35, s5, 1
	s_wait_alu 0xfffe
	s_cmp_ge_u32 s2, s7
	s_load_b512 s[52:67], s[0:1], 0x68
	s_cselect_b32 s2, s35, s5
	s_ashr_i32 s73, s72, 31
	s_wait_alu 0xfffe
	s_xor_b32 s2, s2, s34
	s_ashr_i32 s5, s4, 31
	s_wait_alu 0xfffe
	s_sub_co_i32 s74, s2, s34
	s_wait_kmcnt 0x0
	s_mul_u64 s[34:35], s[46:47], s[72:73]
	s_ashr_i32 s75, s74, 31
	s_mul_u64 s[44:45], s[44:45], s[4:5]
	s_mul_u64 s[38:39], s[38:39], s[74:75]
	v_cmp_neq_f64_e64 s2, s[24:25], 1.0
	v_cmp_neq_f64_e64 s7, s[26:27], 0
	s_lshl_b64 s[34:35], s[34:35], 2
	s_lshl_b64 s[44:45], s[44:45], 2
	;; [unrolled: 1-line block ×3, first 2 shown]
	s_cmp_lt_i32 s30, 1
	s_load_b64 s[0:1], s[0:1], 0x20
	s_cselect_b32 s77, -1, 0
	s_add_co_i32 s19, s4, s19
	s_cmp_gt_i32 s31, 0
	s_mul_u64 s[86:87], s[58:59], s[74:75]
	s_cselect_b32 s78, -1, 0
	s_cmp_gt_i32 s76, 0
	s_cselect_b32 s79, -1, 0
	s_cmp_gt_i32 s8, 0
	s_cselect_b32 s80, -1, 0
	s_abs_i32 s81, s9
	s_abs_i32 s82, s6
	s_cvt_f32_u32 s4, s81
	s_cvt_f32_u32 s6, s82
	s_abs_i32 s84, s85
	s_abs_i32 s59, s13
	v_rcp_iflag_f32_e32 v1, s4
	s_add_nc_u64 s[4:5], s[20:21], s[34:35]
	s_sub_co_i32 s89, 0, s81
	s_lshl_b64 s[34:35], s[56:57], 2
	s_wait_alu 0xfffe
	s_add_nc_u64 s[4:5], s[4:5], s[44:45]
	s_lshl_b64 s[44:45], s[64:65], 2
	s_abs_i32 s64, s15
	s_wait_alu 0xfffe
	s_add_nc_u64 s[4:5], s[4:5], s[38:39]
	s_lshl_b64 s[38:39], s[66:67], 2
	s_ashr_i32 s67, s14, 31
	v_readfirstlane_b32 s46, v1
	v_rcp_iflag_f32_e32 v1, s6
	s_ashr_i32 s65, s85, 31
	s_and_b32 s58, s88, 0xffff
	s_ashr_i32 s13, s13, 31
	s_mul_f32 s20, s46, 0x4f7ffffe
	s_or_b32 s83, s2, s7
	s_lshl_b64 s[6:7], s[54:55], 2
	s_mul_u64 s[54:55], s[62:63], s[74:75]
	s_cvt_u32_f32 s2, s20
	s_lshl_b64 s[20:21], s[52:53], 2
	s_cvt_f32_u32 s52, s84
	v_readfirstlane_b32 s53, v1
	s_wait_alu 0xfffe
	s_mul_i32 s89, s89, s2
	s_abs_i32 s62, s14
	v_rcp_iflag_f32_e32 v1, s52
	s_mul_hi_u32 s56, s2, s89
	s_mul_f32 s52, s53, 0x4f7ffffe
	s_cvt_f32_u32 s53, s59
	s_lshl_b64 s[46:47], s[60:61], 2
	s_add_co_i32 s61, s2, s56
	s_wait_alu 0xfffe
	s_cvt_u32_f32 s52, s52
	v_rcp_iflag_f32_e32 v2, s53
	s_sub_co_i32 s53, 0, s82
	s_cvt_f32_u32 s56, s62
	s_wait_alu 0xfffe
	s_mul_i32 s53, s53, s52
	v_readfirstlane_b32 s2, v1
	s_wait_alu 0xfffe
	s_mul_hi_u32 s53, s52, s53
	v_rcp_iflag_f32_e32 v1, s56
	s_wait_alu 0xfffe
	s_add_co_i32 s63, s52, s53
	s_cvt_f32_u32 s53, s64
	s_mul_f32 s2, s2, 0x4f7ffffe
	v_readfirstlane_b32 s52, v2
	s_sub_co_i32 s56, 0, s84
	s_wait_alu 0xfffe
	v_rcp_iflag_f32_e32 v2, s53
	s_cvt_u32_f32 s2, s2
	s_sub_co_i32 s53, 0, s59
	s_mul_f32 s52, s52, 0x4f7ffffe
	v_readfirstlane_b32 s57, v1
	s_wait_alu 0xfffe
	s_mul_i32 s56, s56, s2
	s_ashr_i32 s75, s15, 31
	s_cvt_u32_f32 s52, s52
	s_wait_alu 0xfffe
	s_mul_hi_u32 s56, s2, s56
	s_lshl_b64 s[54:55], s[54:55], 2
	s_wait_alu 0xfffe
	s_add_co_i32 s66, s2, s56
	s_mul_f32 s56, s57, 0x4f7ffffe
	v_readfirstlane_b32 s57, v2
	s_mul_i32 s53, s53, s52
	s_ashr_i32 s60, s9, 31
	s_wait_alu 0xfffe
	s_mul_hi_u32 s2, s52, s53
	s_mov_b32 s53, s3
	s_wait_alu 0xfffe
	s_add_co_i32 s52, s52, s2
	s_cvt_u32_f32 s2, s56
	s_mul_f32 s56, s57, 0x4f7ffffe
	s_sub_co_i32 s57, 0, s62
	s_wait_alu 0xfffe
	s_mul_i32 s57, s57, s2
	s_cvt_u32_f32 s56, s56
	s_wait_alu 0xfffe
	s_mul_hi_u32 s14, s2, s57
	s_sub_co_i32 s57, 0, s64
	s_add_co_i32 s74, s2, s14
	s_wait_alu 0xfffe
	s_mul_i32 s57, s57, s56
	s_lshl_b64 s[14:15], s[86:87], 2
	s_wait_alu 0xfffe
	s_mul_hi_u32 s2, s56, s57
	s_add_nc_u64 s[14:15], s[22:23], s[14:15]
	s_mul_u64 s[22:23], s[70:71], s[72:73]
	s_wait_alu 0xfffe
	s_add_co_i32 s85, s56, s2
	s_lshl_b64 s[56:57], s[22:23], 2
	s_lshl_b64 s[22:23], s[48:49], 2
	s_wait_alu 0xfffe
	s_add_nc_u64 s[54:55], s[54:55], s[56:57]
	s_lshl_b64 s[48:49], s[50:51], 2
	s_wait_kmcnt 0x0
	s_add_nc_u64 s[50:51], s[0:1], s[54:55]
	s_lshl_b64 s[54:55], s[68:69], 2
	s_mov_b32 s68, 0
	s_branch .LBB93_3
.LBB93_2:                               ;   in Loop: Header=BB93_3 Depth=1
	s_delay_alu instid0(VALU_DEP_1) | instskip(SKIP_1) | instid1(VALU_DEP_1)
	v_cvt_f32_f64_e32 v1, v[1:2]
	v_add_nc_u32_e32 v0, s58, v0
	v_cmp_le_i32_e32 vcc_lo, s33, v0
	s_or_b32 s68, vcc_lo, s68
	global_store_b32 v[3:4], v1, off
	s_and_not1_b32 exec_lo, exec_lo, s68
	s_cbranch_execz .LBB93_35
.LBB93_3:                               ; =>This Loop Header: Depth=1
                                        ;     Child Loop BB93_8 Depth 2
                                        ;       Child Loop BB93_17 Depth 3
                                        ;         Child Loop BB93_24 Depth 4
                                        ;           Child Loop BB93_31 Depth 5
	v_sub_nc_u32_e32 v1, 0, v0
	s_mov_b32 s56, -1
                                        ; implicit-def: $vgpr16
	s_delay_alu instid0(VALU_DEP_1) | instskip(NEXT) | instid1(VALU_DEP_1)
	v_max_i32_e32 v4, v0, v1
	v_mul_hi_u32 v1, v4, s61
	s_delay_alu instid0(VALU_DEP_1) | instskip(SKIP_1) | instid1(VALU_DEP_2)
	v_mul_lo_u32 v2, v1, s81
	v_add_nc_u32_e32 v3, 1, v1
	v_sub_nc_u32_e32 v2, v4, v2
	s_delay_alu instid0(VALU_DEP_1) | instskip(SKIP_2) | instid1(VALU_DEP_2)
	v_subrev_nc_u32_e32 v5, s81, v2
	v_cmp_le_u32_e32 vcc_lo, s81, v2
	s_wait_alu 0xfffd
	v_dual_cndmask_b32 v3, v1, v3 :: v_dual_cndmask_b32 v2, v2, v5
	v_ashrrev_i32_e32 v1, 31, v0
	s_delay_alu instid0(VALU_DEP_2) | instskip(NEXT) | instid1(VALU_DEP_3)
	v_add_nc_u32_e32 v5, 1, v3
	v_cmp_le_u32_e32 vcc_lo, s81, v2
	s_delay_alu instid0(VALU_DEP_3) | instskip(SKIP_1) | instid1(VALU_DEP_3)
	v_xor_b32_e32 v6, s60, v1
	s_wait_alu 0xfffd
	v_cndmask_b32_e32 v2, v3, v5, vcc_lo
	s_delay_alu instid0(VALU_DEP_1) | instskip(NEXT) | instid1(VALU_DEP_1)
	v_xor_b32_e32 v2, v2, v6
	v_sub_nc_u32_e32 v2, v2, v6
	s_delay_alu instid0(VALU_DEP_1) | instskip(SKIP_1) | instid1(VALU_DEP_2)
	v_sub_nc_u32_e32 v3, 0, v2
	v_mul_lo_u32 v8, v2, s9
	v_max_i32_e32 v5, v2, v3
	v_mul_hi_u32 v3, v4, s66
	s_delay_alu instid0(VALU_DEP_3) | instskip(NEXT) | instid1(VALU_DEP_3)
	v_sub_nc_u32_e32 v15, v0, v8
	v_mul_hi_u32 v6, v5, s63
	s_delay_alu instid0(VALU_DEP_3) | instskip(NEXT) | instid1(VALU_DEP_2)
	v_mul_lo_u32 v7, v3, s84
	v_mul_lo_u32 v6, v6, s82
	s_delay_alu instid0(VALU_DEP_1) | instskip(NEXT) | instid1(VALU_DEP_3)
	v_sub_nc_u32_e32 v5, v5, v6
	v_sub_nc_u32_e32 v6, v4, v7
	s_delay_alu instid0(VALU_DEP_2) | instskip(NEXT) | instid1(VALU_DEP_2)
	v_subrev_nc_u32_e32 v4, s82, v5
	v_subrev_nc_u32_e32 v7, s84, v6
	v_cmp_le_u32_e32 vcc_lo, s82, v5
	v_cmp_le_u32_e64 s0, s84, v6
	s_wait_alu 0xfffd
	v_cndmask_b32_e32 v4, v5, v4, vcc_lo
	s_wait_alu 0xf1ff
	s_delay_alu instid0(VALU_DEP_2) | instskip(SKIP_1) | instid1(VALU_DEP_2)
	v_cndmask_b32_e64 v5, v6, v7, s0
	s_and_not1_b32 vcc_lo, exec_lo, s77
	v_cmp_le_u32_e64 s2, s82, v4
	s_delay_alu instid0(VALU_DEP_2)
	v_cmp_le_u32_e64 s1, s84, v5
	s_wait_alu 0xfffe
	s_cbranch_vccnz .LBB93_5
; %bb.4:                                ;   in Loop: Header=BB93_3 Depth=1
	v_ashrrev_i32_e32 v16, 31, v15
	s_mov_b32 s56, 0
.LBB93_5:                               ;   in Loop: Header=BB93_3 Depth=1
	v_add_nc_u32_e32 v5, 1, v3
	v_ashrrev_i32_e32 v2, 31, v2
	s_wait_alu 0xfffe
	s_and_not1_b32 vcc_lo, exec_lo, s56
	s_delay_alu instid0(VALU_DEP_2) | instskip(SKIP_1) | instid1(VALU_DEP_2)
	v_cndmask_b32_e64 v3, v3, v5, s0
	v_subrev_nc_u32_e32 v5, s82, v4
	v_add_nc_u32_e32 v6, 1, v3
	s_delay_alu instid0(VALU_DEP_2) | instskip(SKIP_1) | instid1(VALU_DEP_3)
	v_cndmask_b32_e64 v4, v4, v5, s2
	v_xor_b32_e32 v5, s65, v1
	v_cndmask_b32_e64 v1, v3, v6, s1
	s_delay_alu instid0(VALU_DEP_3) | instskip(NEXT) | instid1(VALU_DEP_2)
	v_xor_b32_e32 v3, v4, v2
	v_xor_b32_e32 v4, v1, v5
	s_delay_alu instid0(VALU_DEP_2) | instskip(SKIP_2) | instid1(VALU_DEP_4)
	v_sub_nc_u32_e32 v17, v3, v2
	v_mov_b32_e32 v1, 0
	v_mov_b32_e32 v2, 0
	v_sub_nc_u32_e32 v18, v4, v5
	s_wait_alu 0xfffe
	s_cbranch_vccnz .LBB93_33
; %bb.6:                                ;   in Loop: Header=BB93_3 Depth=1
	v_ashrrev_i32_e32 v16, 31, v15
	v_mad_co_u64_u32 v[3:4], null, s22, v15, s[14:15]
	v_mul_lo_u32 v5, s23, v15
	v_dual_mov_b32 v1, 0 :: v_dual_add_nc_u32 v20, s29, v17
	s_delay_alu instid0(VALU_DEP_4) | instskip(SKIP_2) | instid1(VALU_DEP_2)
	v_mul_lo_u32 v6, s22, v16
	v_dual_mov_b32 v2, 0 :: v_dual_add_nc_u32 v19, s28, v18
	s_mov_b32 s69, 0
	v_add3_u32 v4, v5, v4, v6
	s_branch .LBB93_8
.LBB93_7:                               ;   in Loop: Header=BB93_8 Depth=2
	v_add_co_u32 v3, vcc_lo, v3, s6
	s_wait_alu 0xfffd
	v_add_co_ci_u32_e64 v4, null, s7, v4, vcc_lo
	s_add_co_i32 s69, s69, 1
	s_delay_alu instid0(SALU_CYCLE_1)
	s_cmp_eq_u32 s69, s30
	s_cbranch_scc1 .LBB93_33
.LBB93_8:                               ;   Parent Loop BB93_3 Depth=1
                                        ; =>  This Loop Header: Depth=2
                                        ;       Child Loop BB93_17 Depth 3
                                        ;         Child Loop BB93_24 Depth 4
                                        ;           Child Loop BB93_31 Depth 5
	s_mul_i32 s0, s16, s69
	s_mov_b32 s71, -1
	s_wait_alu 0xfffe
	s_sub_co_i32 s57, s19, s0
	s_mov_b32 s70, 0
	s_wait_alu 0xfffe
	s_cmp_gt_i32 s57, -1
                                        ; implicit-def: $sgpr2
                                        ; implicit-def: $sgpr1
                                        ; implicit-def: $sgpr0
                                        ; implicit-def: $sgpr56
	s_cbranch_scc1 .LBB93_12
; %bb.9:                                ;   in Loop: Header=BB93_8 Depth=2
	s_and_not1_b32 vcc_lo, exec_lo, s71
	s_wait_alu 0xfffe
	s_cbranch_vccz .LBB93_13
.LBB93_10:                              ;   in Loop: Header=BB93_8 Depth=2
	s_and_not1_b32 vcc_lo, exec_lo, s70
	s_mov_b32 s57, 1
	s_wait_alu 0xfffe
	s_cbranch_vccz .LBB93_14
; %bb.11:                               ;   in Loop: Header=BB93_8 Depth=2
	s_and_not1_b32 vcc_lo, exec_lo, s78
	s_wait_alu 0xfffe
	s_cbranch_vccz .LBB93_15
	s_branch .LBB93_7
.LBB93_12:                              ;   in Loop: Header=BB93_8 Depth=2
	s_abs_i32 s2, s57
	s_wait_alu 0xfffe
	s_mul_u64 s[0:1], s[2:3], s[52:53]
	s_wait_alu 0xfffe
	s_mul_i32 s0, s1, s59
	s_wait_alu 0xfffe
	s_sub_co_i32 s0, s2, s0
	s_ashr_i32 s2, s57, 31
	s_wait_alu 0xfffe
	s_sub_co_i32 s56, s0, s59
	s_cmp_ge_u32 s0, s59
	s_wait_alu 0xfffe
	s_cselect_b32 s70, s56, s0
	s_delay_alu instid0(SALU_CYCLE_1) | instskip(SKIP_2) | instid1(SALU_CYCLE_1)
	s_sub_co_i32 s71, s70, s59
	s_cmp_ge_u32 s70, s59
	s_cselect_b32 s70, s71, s70
	s_xor_b32 s70, s70, s2
	s_delay_alu instid0(SALU_CYCLE_1) | instskip(NEXT) | instid1(SALU_CYCLE_1)
	s_sub_co_i32 s70, s70, s2
	s_cmp_lg_u32 s70, 0
	s_cselect_b32 s70, -1, 0
	s_cbranch_execnz .LBB93_10
.LBB93_13:                              ;   in Loop: Header=BB93_8 Depth=2
	s_abs_i32 s2, s57
	s_wait_alu 0xfffe
	s_mul_u64 s[0:1], s[2:3], s[52:53]
	s_wait_alu 0xfffe
	s_mul_i32 s0, s1, s59
	s_wait_alu 0xfffe
	s_sub_co_i32 s0, s2, s0
	s_ashr_i32 s2, s57, 31
	s_wait_alu 0xfffe
	s_sub_co_i32 s56, s0, s59
	s_mov_b32 s57, 1
.LBB93_14:                              ;   in Loop: Header=BB93_8 Depth=2
	s_mov_b32 s57, 0
	s_and_not1_b32 vcc_lo, exec_lo, s78
	s_wait_alu 0xfffe
	s_cbranch_vccnz .LBB93_7
.LBB93_15:                              ;   in Loop: Header=BB93_8 Depth=2
	s_xor_b32 s2, s2, s13
	s_add_co_i32 s70, s1, 1
	s_cmp_ge_u32 s0, s59
	v_dual_mov_b32 v6, v4 :: v_dual_mov_b32 v5, v3
	s_cselect_b32 s1, s70, s1
	s_cselect_b32 s0, s56, s0
	s_wait_alu 0xfffe
	s_add_co_i32 s56, s1, 1
	s_cmp_ge_u32 s0, s59
	s_wait_alu 0xfffe
	s_cselect_b32 s0, s56, s1
	s_wait_alu 0xfffe
	s_xor_b32 s0, s0, s2
	s_wait_alu 0xfffe
	s_sub_co_i32 s56, s0, s2
	s_mov_b32 s2, 0
	s_wait_alu 0xfffe
	s_cmp_lt_i32 s56, s10
	s_cselect_b32 s1, s57, 0
	s_ashr_i32 s57, s56, 31
	s_wait_alu 0xfffe
	s_mul_u64 s[56:57], s[54:55], s[56:57]
	s_wait_alu 0xfffe
	s_add_nc_u64 s[56:57], s[50:51], s[56:57]
	s_branch .LBB93_17
.LBB93_16:                              ;   in Loop: Header=BB93_17 Depth=3
	v_add_co_u32 v5, vcc_lo, v5, s20
	s_wait_alu 0xfffd
	v_add_co_ci_u32_e64 v6, null, s21, v6, vcc_lo
	s_add_co_i32 s2, s2, 1
	s_wait_alu 0xfffe
	s_cmp_eq_u32 s2, s31
	s_cbranch_scc1 .LBB93_7
.LBB93_17:                              ;   Parent Loop BB93_3 Depth=1
                                        ;     Parent Loop BB93_8 Depth=2
                                        ; =>    This Loop Header: Depth=3
                                        ;         Child Loop BB93_24 Depth 4
                                        ;           Child Loop BB93_31 Depth 5
	s_mul_i32 s0, s17, s2
	s_mov_b32 s70, exec_lo
	s_wait_alu 0xfffe
	v_subrev_nc_u32_e32 v8, s0, v19
	s_delay_alu instid0(VALU_DEP_1)
	v_cmp_gt_i32_e64 s0, 0, v8
	v_ashrrev_i32_e32 v7, 31, v8
	v_sub_nc_u32_e32 v9, 0, v8
	v_cmpx_lt_i32_e32 -1, v8
	s_cbranch_execnz .LBB93_20
; %bb.18:                               ;   in Loop: Header=BB93_17 Depth=3
	s_or_b32 exec_lo, exec_lo, s70
	v_mov_b32_e32 v10, 1
	s_and_saveexec_b32 s70, s0
	s_cbranch_execnz .LBB93_21
.LBB93_19:                              ;   in Loop: Header=BB93_17 Depth=3
	s_or_b32 exec_lo, exec_lo, s70
	s_delay_alu instid0(SALU_CYCLE_1)
	s_and_not1_b32 vcc_lo, exec_lo, s79
	s_wait_alu 0xfffe
	s_cbranch_vccz .LBB93_22
	s_branch .LBB93_16
.LBB93_20:                              ;   in Loop: Header=BB93_17 Depth=3
	s_delay_alu instid0(VALU_DEP_2) | instskip(SKIP_1) | instid1(VALU_DEP_1)
	v_max_i32_e32 v10, v8, v9
	s_and_not1_b32 s0, s0, exec_lo
	v_mul_hi_u32 v11, v10, s74
	s_delay_alu instid0(VALU_DEP_1) | instskip(NEXT) | instid1(VALU_DEP_1)
	v_mul_lo_u32 v11, v11, s62
	v_sub_nc_u32_e32 v10, v10, v11
	s_delay_alu instid0(VALU_DEP_1) | instskip(SKIP_2) | instid1(VALU_DEP_2)
	v_subrev_nc_u32_e32 v11, s62, v10
	v_cmp_le_u32_e32 vcc_lo, s62, v10
	s_wait_alu 0xfffd
	v_cndmask_b32_e32 v10, v10, v11, vcc_lo
	s_delay_alu instid0(VALU_DEP_1) | instskip(SKIP_2) | instid1(VALU_DEP_2)
	v_subrev_nc_u32_e32 v11, s62, v10
	v_cmp_le_u32_e32 vcc_lo, s62, v10
	s_wait_alu 0xfffd
	v_cndmask_b32_e32 v10, v10, v11, vcc_lo
	s_delay_alu instid0(VALU_DEP_1) | instskip(NEXT) | instid1(VALU_DEP_1)
	v_xor_b32_e32 v10, v10, v7
	v_sub_nc_u32_e32 v10, v10, v7
	s_delay_alu instid0(VALU_DEP_1)
	v_cmp_ne_u32_e32 vcc_lo, 0, v10
	s_and_b32 s71, vcc_lo, exec_lo
	s_wait_alu 0xfffe
	s_or_b32 s0, s0, s71
	s_or_b32 exec_lo, exec_lo, s70
	v_mov_b32_e32 v10, 1
	s_wait_alu 0xfffe
	s_and_saveexec_b32 s70, s0
	s_cbranch_execz .LBB93_19
.LBB93_21:                              ;   in Loop: Header=BB93_17 Depth=3
	v_mov_b32_e32 v10, 0
	s_or_b32 exec_lo, exec_lo, s70
	s_delay_alu instid0(SALU_CYCLE_1)
	s_and_not1_b32 vcc_lo, exec_lo, s79
	s_wait_alu 0xfffe
	s_cbranch_vccnz .LBB93_16
.LBB93_22:                              ;   in Loop: Header=BB93_17 Depth=3
	v_max_i32_e32 v8, v8, v9
	v_xor_b32_e32 v7, s67, v7
	s_mov_b32 s70, 0
	s_delay_alu instid0(VALU_DEP_2) | instskip(NEXT) | instid1(VALU_DEP_1)
	v_mul_hi_u32 v9, v8, s74
	v_mul_lo_u32 v11, v9, s62
	s_delay_alu instid0(VALU_DEP_1) | instskip(NEXT) | instid1(VALU_DEP_1)
	v_sub_nc_u32_e32 v8, v8, v11
	v_subrev_nc_u32_e32 v12, s62, v8
	v_cmp_le_u32_e32 vcc_lo, s62, v8
	s_wait_alu 0xfffd
	s_delay_alu instid0(VALU_DEP_2) | instskip(NEXT) | instid1(VALU_DEP_1)
	v_dual_cndmask_b32 v8, v8, v12 :: v_dual_add_nc_u32 v11, 1, v9
	v_cndmask_b32_e32 v9, v9, v11, vcc_lo
	s_delay_alu instid0(VALU_DEP_2) | instskip(NEXT) | instid1(VALU_DEP_2)
	v_cmp_le_u32_e32 vcc_lo, s62, v8
	v_add_nc_u32_e32 v11, 1, v9
	s_wait_alu 0xfffd
	s_delay_alu instid0(VALU_DEP_1) | instskip(NEXT) | instid1(VALU_DEP_1)
	v_cndmask_b32_e32 v8, v9, v11, vcc_lo
	v_xor_b32_e32 v8, v8, v7
	s_delay_alu instid0(VALU_DEP_1) | instskip(NEXT) | instid1(VALU_DEP_1)
	v_sub_nc_u32_e32 v9, v8, v7
	v_ashrrev_i32_e32 v11, 31, v9
	v_cmp_gt_i32_e32 vcc_lo, s11, v9
	v_mul_lo_u32 v12, s39, v9
	v_mad_co_u64_u32 v[7:8], null, s38, v9, s[56:57]
	s_delay_alu instid0(VALU_DEP_4) | instskip(SKIP_2) | instid1(VALU_DEP_1)
	v_mul_lo_u32 v11, s38, v11
	s_wait_alu 0xfffd
	v_cndmask_b32_e32 v9, 0, v10, vcc_lo
	v_dual_mov_b32 v10, v6 :: v_dual_and_b32 v21, s1, v9
	s_delay_alu instid0(VALU_DEP_3)
	v_add3_u32 v8, v12, v8, v11
	v_mov_b32_e32 v9, v5
	s_branch .LBB93_24
.LBB93_23:                              ;   in Loop: Header=BB93_24 Depth=4
	v_add_co_u32 v9, vcc_lo, v9, s48
	s_wait_alu 0xfffd
	v_add_co_ci_u32_e64 v10, null, s49, v10, vcc_lo
	s_add_co_i32 s70, s70, 1
	s_delay_alu instid0(SALU_CYCLE_1)
	s_cmp_eq_u32 s70, s76
	s_cbranch_scc1 .LBB93_16
.LBB93_24:                              ;   Parent Loop BB93_3 Depth=1
                                        ;     Parent Loop BB93_8 Depth=2
                                        ;       Parent Loop BB93_17 Depth=3
                                        ; =>      This Loop Header: Depth=4
                                        ;           Child Loop BB93_31 Depth 5
	s_mul_i32 s0, s18, s70
	s_wait_alu 0xfffe
	v_subrev_nc_u32_e32 v12, s0, v20
	s_delay_alu instid0(VALU_DEP_1) | instskip(SKIP_3) | instid1(VALU_DEP_4)
	v_sub_nc_u32_e32 v13, 0, v12
	v_cmp_gt_i32_e64 s0, 0, v12
	v_cmp_lt_i32_e32 vcc_lo, -1, v12
	v_ashrrev_i32_e32 v11, 31, v12
	v_max_i32_e32 v12, v12, v13
	s_and_saveexec_b32 s71, vcc_lo
	s_cbranch_execnz .LBB93_27
; %bb.25:                               ;   in Loop: Header=BB93_24 Depth=4
	s_or_b32 exec_lo, exec_lo, s71
	v_mov_b32_e32 v13, 1
	s_and_saveexec_b32 s71, s0
	s_cbranch_execnz .LBB93_28
.LBB93_26:                              ;   in Loop: Header=BB93_24 Depth=4
	s_or_b32 exec_lo, exec_lo, s71
	s_delay_alu instid0(SALU_CYCLE_1)
	s_and_not1_b32 vcc_lo, exec_lo, s80
	s_wait_alu 0xfffe
	s_cbranch_vccz .LBB93_29
	s_branch .LBB93_23
.LBB93_27:                              ;   in Loop: Header=BB93_24 Depth=4
	s_delay_alu instid0(VALU_DEP_1) | instskip(SKIP_1) | instid1(VALU_DEP_1)
	v_mul_hi_u32 v13, v12, s85
	s_and_not1_b32 s0, s0, exec_lo
	v_mul_lo_u32 v13, v13, s64
	s_delay_alu instid0(VALU_DEP_1) | instskip(NEXT) | instid1(VALU_DEP_1)
	v_sub_nc_u32_e32 v13, v12, v13
	v_subrev_nc_u32_e32 v14, s64, v13
	v_cmp_le_u32_e32 vcc_lo, s64, v13
	s_wait_alu 0xfffd
	s_delay_alu instid0(VALU_DEP_2) | instskip(NEXT) | instid1(VALU_DEP_1)
	v_cndmask_b32_e32 v13, v13, v14, vcc_lo
	v_subrev_nc_u32_e32 v14, s64, v13
	v_cmp_le_u32_e32 vcc_lo, s64, v13
	s_wait_alu 0xfffd
	s_delay_alu instid0(VALU_DEP_2) | instskip(NEXT) | instid1(VALU_DEP_1)
	v_cndmask_b32_e32 v13, v13, v14, vcc_lo
	v_xor_b32_e32 v13, v13, v11
	s_delay_alu instid0(VALU_DEP_1) | instskip(NEXT) | instid1(VALU_DEP_1)
	v_sub_nc_u32_e32 v13, v13, v11
	v_cmp_ne_u32_e32 vcc_lo, 0, v13
	s_and_b32 s72, vcc_lo, exec_lo
	s_wait_alu 0xfffe
	s_or_b32 s0, s0, s72
	s_or_b32 exec_lo, exec_lo, s71
	v_mov_b32_e32 v13, 1
	s_wait_alu 0xfffe
	s_and_saveexec_b32 s71, s0
	s_cbranch_execz .LBB93_26
.LBB93_28:                              ;   in Loop: Header=BB93_24 Depth=4
	v_mov_b32_e32 v13, 0
	s_or_b32 exec_lo, exec_lo, s71
	s_delay_alu instid0(SALU_CYCLE_1)
	s_and_not1_b32 vcc_lo, exec_lo, s80
	s_wait_alu 0xfffe
	s_cbranch_vccnz .LBB93_23
.LBB93_29:                              ;   in Loop: Header=BB93_24 Depth=4
	v_mul_hi_u32 v14, v12, s85
	v_xor_b32_e32 v11, s75, v11
	s_mov_b32 s71, s8
	s_delay_alu instid0(VALU_DEP_2) | instskip(NEXT) | instid1(VALU_DEP_1)
	v_mul_lo_u32 v22, v14, s64
	v_sub_nc_u32_e32 v12, v12, v22
	v_add_nc_u32_e32 v22, 1, v14
	s_delay_alu instid0(VALU_DEP_2) | instskip(SKIP_2) | instid1(VALU_DEP_3)
	v_subrev_nc_u32_e32 v23, s64, v12
	v_cmp_le_u32_e32 vcc_lo, s64, v12
	s_wait_alu 0xfffd
	v_cndmask_b32_e32 v14, v14, v22, vcc_lo
	s_delay_alu instid0(VALU_DEP_3) | instskip(NEXT) | instid1(VALU_DEP_2)
	v_cndmask_b32_e32 v12, v12, v23, vcc_lo
	v_add_nc_u32_e32 v22, 1, v14
	s_delay_alu instid0(VALU_DEP_2) | instskip(SKIP_1) | instid1(VALU_DEP_2)
	v_cmp_le_u32_e32 vcc_lo, s64, v12
	s_wait_alu 0xfffd
	v_cndmask_b32_e32 v12, v14, v22, vcc_lo
	s_delay_alu instid0(VALU_DEP_1) | instskip(NEXT) | instid1(VALU_DEP_1)
	v_xor_b32_e32 v12, v12, v11
	v_sub_nc_u32_e32 v11, v12, v11
	s_delay_alu instid0(VALU_DEP_1)
	v_cmp_gt_i32_e32 vcc_lo, s12, v11
	v_ashrrev_i32_e32 v14, 31, v11
	v_mul_lo_u32 v22, s45, v11
	v_mad_co_u64_u32 v[11:12], null, s44, v11, v[7:8]
	s_wait_alu 0xfffd
	v_cndmask_b32_e32 v13, 0, v13, vcc_lo
	v_mul_lo_u32 v14, s44, v14
	s_delay_alu instid0(VALU_DEP_2) | instskip(NEXT) | instid1(VALU_DEP_2)
	v_and_b32_e32 v13, v21, v13
	v_add3_u32 v12, v22, v12, v14
	s_delay_alu instid0(VALU_DEP_2) | instskip(NEXT) | instid1(VALU_DEP_1)
	v_and_b32_e32 v13, 1, v13
	v_cmp_eq_u32_e32 vcc_lo, 1, v13
	v_dual_mov_b32 v14, v10 :: v_dual_mov_b32 v13, v9
	s_branch .LBB93_31
.LBB93_30:                              ;   in Loop: Header=BB93_31 Depth=5
	s_wait_alu 0xfffe
	s_or_b32 exec_lo, exec_lo, s0
	v_add_co_u32 v13, s0, v13, s34
	s_wait_alu 0xf1ff
	v_add_co_ci_u32_e64 v14, null, s35, v14, s0
	v_add_co_u32 v11, s0, v11, s46
	s_wait_alu 0xf1ff
	v_add_co_ci_u32_e64 v12, null, s47, v12, s0
	s_add_co_i32 s71, s71, -1
	s_delay_alu instid0(SALU_CYCLE_1)
	s_cmp_eq_u32 s71, 0
	s_cbranch_scc1 .LBB93_23
.LBB93_31:                              ;   Parent Loop BB93_3 Depth=1
                                        ;     Parent Loop BB93_8 Depth=2
                                        ;       Parent Loop BB93_17 Depth=3
                                        ;         Parent Loop BB93_24 Depth=4
                                        ; =>        This Inner Loop Header: Depth=5
	s_and_saveexec_b32 s0, vcc_lo
	s_cbranch_execz .LBB93_30
; %bb.32:                               ;   in Loop: Header=BB93_31 Depth=5
	global_load_b32 v22, v[11:12], off
	global_load_b32 v24, v[13:14], off
	s_wait_loadcnt 0x1
	v_cvt_f64_f32_e32 v[22:23], v22
	s_wait_loadcnt 0x0
	v_cvt_f64_f32_e32 v[24:25], v24
	s_delay_alu instid0(VALU_DEP_1)
	v_fma_f64 v[1:2], v[22:23], v[24:25], v[1:2]
	s_branch .LBB93_30
.LBB93_33:                              ;   in Loop: Header=BB93_3 Depth=1
	s_delay_alu instid0(VALU_DEP_1) | instskip(SKIP_3) | instid1(VALU_DEP_4)
	v_ashrrev_i32_e32 v5, 31, v18
	v_mul_lo_u32 v7, s43, v18
	v_mad_co_u64_u32 v[3:4], null, s42, v18, 0
	v_ashrrev_i32_e32 v9, 31, v17
	v_mul_lo_u32 v8, s42, v5
	v_mul_lo_u32 v10, s41, v17
	v_mad_co_u64_u32 v[5:6], null, s40, v17, 0
	s_delay_alu instid0(VALU_DEP_4)
	v_mul_lo_u32 v9, s40, v9
	v_mul_lo_u32 v11, v16, s36
	;; [unrolled: 1-line block ×3, first 2 shown]
	v_add3_u32 v4, v4, v8, v7
	v_mad_co_u64_u32 v[7:8], null, v15, s36, 0
	v_add3_u32 v6, v6, v9, v10
	s_delay_alu instid0(VALU_DEP_3) | instskip(NEXT) | instid1(VALU_DEP_2)
	v_lshlrev_b64_e32 v[3:4], 2, v[3:4]
	v_lshlrev_b64_e32 v[5:6], 2, v[5:6]
	s_delay_alu instid0(VALU_DEP_4) | instskip(NEXT) | instid1(VALU_DEP_3)
	v_add3_u32 v8, v8, v12, v11
	v_add_co_u32 v9, vcc_lo, s4, v3
	s_wait_alu 0xfffd
	s_delay_alu instid0(VALU_DEP_4) | instskip(NEXT) | instid1(VALU_DEP_3)
	v_add_co_ci_u32_e64 v10, null, s5, v4, vcc_lo
	v_lshlrev_b64_e32 v[3:4], 2, v[7:8]
	s_delay_alu instid0(VALU_DEP_3) | instskip(SKIP_1) | instid1(VALU_DEP_3)
	v_add_co_u32 v5, vcc_lo, v9, v5
	s_wait_alu 0xfffd
	v_add_co_ci_u32_e64 v6, null, v10, v6, vcc_lo
	s_delay_alu instid0(VALU_DEP_2) | instskip(SKIP_1) | instid1(VALU_DEP_2)
	v_add_co_u32 v3, vcc_lo, v5, v3
	s_wait_alu 0xfffd
	v_add_co_ci_u32_e64 v4, null, v6, v4, vcc_lo
	s_and_not1_b32 vcc_lo, exec_lo, s83
	s_wait_alu 0xfffe
	s_cbranch_vccnz .LBB93_2
; %bb.34:                               ;   in Loop: Header=BB93_3 Depth=1
	global_load_b32 v5, v[3:4], off
	s_wait_loadcnt 0x0
	v_cvt_f64_f32_e32 v[5:6], v5
	s_delay_alu instid0(VALU_DEP_1) | instskip(NEXT) | instid1(VALU_DEP_1)
	v_mul_f64_e32 v[5:6], s[26:27], v[5:6]
	v_fma_f64 v[1:2], s[24:25], v[1:2], v[5:6]
	s_branch .LBB93_2
.LBB93_35:
	s_endpgm
	.section	.rodata,"a",@progbits
	.p2align	6, 0x0
	.amdhsa_kernel naive_conv_ab_nonpacked_bwd_ndhwc_float_double_float_0
		.amdhsa_group_segment_fixed_size 0
		.amdhsa_private_segment_fixed_size 0
		.amdhsa_kernarg_size 528
		.amdhsa_user_sgpr_count 2
		.amdhsa_user_sgpr_dispatch_ptr 0
		.amdhsa_user_sgpr_queue_ptr 0
		.amdhsa_user_sgpr_kernarg_segment_ptr 1
		.amdhsa_user_sgpr_dispatch_id 0
		.amdhsa_user_sgpr_private_segment_size 0
		.amdhsa_wavefront_size32 1
		.amdhsa_uses_dynamic_stack 0
		.amdhsa_enable_private_segment 0
		.amdhsa_system_sgpr_workgroup_id_x 1
		.amdhsa_system_sgpr_workgroup_id_y 0
		.amdhsa_system_sgpr_workgroup_id_z 0
		.amdhsa_system_sgpr_workgroup_info 0
		.amdhsa_system_vgpr_workitem_id 0
		.amdhsa_next_free_vgpr 26
		.amdhsa_next_free_sgpr 90
		.amdhsa_reserve_vcc 1
		.amdhsa_float_round_mode_32 0
		.amdhsa_float_round_mode_16_64 0
		.amdhsa_float_denorm_mode_32 3
		.amdhsa_float_denorm_mode_16_64 3
		.amdhsa_fp16_overflow 0
		.amdhsa_workgroup_processor_mode 1
		.amdhsa_memory_ordered 1
		.amdhsa_forward_progress 1
		.amdhsa_inst_pref_size 26
		.amdhsa_round_robin_scheduling 0
		.amdhsa_exception_fp_ieee_invalid_op 0
		.amdhsa_exception_fp_denorm_src 0
		.amdhsa_exception_fp_ieee_div_zero 0
		.amdhsa_exception_fp_ieee_overflow 0
		.amdhsa_exception_fp_ieee_underflow 0
		.amdhsa_exception_fp_ieee_inexact 0
		.amdhsa_exception_int_div_zero 0
	.end_amdhsa_kernel
	.text
.Lfunc_end93:
	.size	naive_conv_ab_nonpacked_bwd_ndhwc_float_double_float_0, .Lfunc_end93-naive_conv_ab_nonpacked_bwd_ndhwc_float_double_float_0
                                        ; -- End function
	.set naive_conv_ab_nonpacked_bwd_ndhwc_float_double_float_0.num_vgpr, 26
	.set naive_conv_ab_nonpacked_bwd_ndhwc_float_double_float_0.num_agpr, 0
	.set naive_conv_ab_nonpacked_bwd_ndhwc_float_double_float_0.numbered_sgpr, 90
	.set naive_conv_ab_nonpacked_bwd_ndhwc_float_double_float_0.num_named_barrier, 0
	.set naive_conv_ab_nonpacked_bwd_ndhwc_float_double_float_0.private_seg_size, 0
	.set naive_conv_ab_nonpacked_bwd_ndhwc_float_double_float_0.uses_vcc, 1
	.set naive_conv_ab_nonpacked_bwd_ndhwc_float_double_float_0.uses_flat_scratch, 0
	.set naive_conv_ab_nonpacked_bwd_ndhwc_float_double_float_0.has_dyn_sized_stack, 0
	.set naive_conv_ab_nonpacked_bwd_ndhwc_float_double_float_0.has_recursion, 0
	.set naive_conv_ab_nonpacked_bwd_ndhwc_float_double_float_0.has_indirect_call, 0
	.section	.AMDGPU.csdata,"",@progbits
; Kernel info:
; codeLenInByte = 3216
; TotalNumSgprs: 92
; NumVgprs: 26
; ScratchSize: 0
; MemoryBound: 0
; FloatMode: 240
; IeeeMode: 1
; LDSByteSize: 0 bytes/workgroup (compile time only)
; SGPRBlocks: 0
; VGPRBlocks: 3
; NumSGPRsForWavesPerEU: 92
; NumVGPRsForWavesPerEU: 26
; Occupancy: 16
; WaveLimiterHint : 1
; COMPUTE_PGM_RSRC2:SCRATCH_EN: 0
; COMPUTE_PGM_RSRC2:USER_SGPR: 2
; COMPUTE_PGM_RSRC2:TRAP_HANDLER: 0
; COMPUTE_PGM_RSRC2:TGID_X_EN: 1
; COMPUTE_PGM_RSRC2:TGID_Y_EN: 0
; COMPUTE_PGM_RSRC2:TGID_Z_EN: 0
; COMPUTE_PGM_RSRC2:TIDIG_COMP_CNT: 0
	.text
	.protected	naive_conv_ab_packed_bwd_ndhwc_float_double_float_1 ; -- Begin function naive_conv_ab_packed_bwd_ndhwc_float_double_float_1
	.globl	naive_conv_ab_packed_bwd_ndhwc_float_double_float_1
	.p2align	8
	.type	naive_conv_ab_packed_bwd_ndhwc_float_double_float_1,@function
naive_conv_ab_packed_bwd_ndhwc_float_double_float_1: ; @naive_conv_ab_packed_bwd_ndhwc_float_double_float_1
; %bb.0:
	s_load_b512 s[4:19], s[0:1], 0xb8
	s_mov_b32 s25, exec_lo
	s_wait_kmcnt 0x0
	s_abs_i32 s3, s4
	s_mul_i32 s54, s9, s6
	s_cvt_f32_u32 s2, s3
	s_mul_i32 s33, s54, s5
	s_delay_alu instid0(SALU_CYCLE_2) | instskip(NEXT) | instid1(TRANS32_DEP_1)
	v_rcp_iflag_f32_e32 v1, s2
	v_readfirstlane_b32 s2, v1
	s_mul_f32 s2, s2, 0x4f7ffffe
	s_wait_alu 0xfffe
	s_delay_alu instid0(SALU_CYCLE_2) | instskip(SKIP_2) | instid1(SALU_CYCLE_1)
	s_cvt_u32_f32 s20, s2
	s_sub_co_i32 s2, 0, s3
	s_wait_alu 0xfffe
	s_mul_i32 s2, s2, s20
	s_wait_alu 0xfffe
	s_mul_hi_u32 s21, s20, s2
	s_abs_i32 s2, ttmp9
	s_add_co_i32 s20, s20, s21
	s_wait_alu 0xfffe
	s_mul_hi_u32 s20, s2, s20
	s_delay_alu instid0(SALU_CYCLE_1) | instskip(SKIP_2) | instid1(SALU_CYCLE_1)
	s_mul_i32 s21, s20, s3
	s_add_co_i32 s22, s20, 1
	s_sub_co_i32 s21, s2, s21
	s_sub_co_i32 s23, s21, s3
	s_cmp_ge_u32 s21, s3
	s_cselect_b32 s20, s22, s20
	s_cselect_b32 s21, s23, s21
	s_add_co_i32 s22, s20, 1
	s_cmp_ge_u32 s21, s3
	s_mul_i32 s21, s7, s4
	s_cselect_b32 s22, s22, s20
	s_abs_i32 s20, s7
	s_abs_i32 s7, s21
	s_cvt_f32_u32 s3, s20
	s_cvt_f32_u32 s23, s7
	s_wait_alu 0xfffe
	s_delay_alu instid0(SALU_CYCLE_1) | instskip(NEXT) | instid1(SALU_CYCLE_1)
	v_rcp_iflag_f32_e32 v1, s3
	v_rcp_iflag_f32_e32 v2, s23
	s_mov_b32 s3, 0
	s_delay_alu instid0(TRANS32_DEP_2) | instskip(NEXT) | instid1(TRANS32_DEP_1)
	v_readfirstlane_b32 s24, v1
	v_readfirstlane_b32 s23, v2
	v_cmpx_gt_i32_e64 s33, v0
	s_cbranch_execz .LBB94_35
; %bb.1:
	s_mul_f32 s24, s24, 0x4f7ffffe
	s_ashr_i32 s26, ttmp9, 31
	s_ashr_i32 s39, s4, 31
	s_sub_co_i32 s25, 0, s20
	s_cvt_u32_f32 s24, s24
	s_xor_b32 s27, s26, s39
	s_mul_f32 s28, s23, 0x4f7ffffe
	s_xor_b32 s22, s22, s27
	s_mul_i32 s25, s25, s24
	s_wait_alu 0xfffe
	s_sub_co_i32 s27, s22, s27
	s_mul_hi_u32 s23, s24, s25
	s_abs_i32 s22, s27
	s_wait_alu 0xfffe
	s_add_co_i32 s24, s24, s23
	s_mov_b32 s23, s3
	s_cvt_u32_f32 s28, s28
	s_mov_b32 s25, s3
	s_sub_co_i32 s29, 0, s7
	s_wait_alu 0xfffe
	s_mul_u64 s[24:25], s[22:23], s[24:25]
	s_mul_i32 s29, s29, s28
	s_mul_i32 s25, s25, s20
	s_ashr_i32 s23, s27, 31
	s_mul_hi_u32 s24, s28, s29
	s_mul_i32 s27, s27, s4
	s_sub_co_i32 s22, s22, s25
	s_ashr_i32 s21, s21, 31
	s_add_co_i32 s24, s28, s24
	s_sub_co_i32 s40, ttmp9, s27
	s_wait_alu 0xfffe
	s_sub_co_i32 s27, s22, s20
	s_cmp_ge_u32 s22, s20
	s_mov_b32 s25, s3
	s_cselect_b32 s22, s27, s22
	s_mul_u64 s[28:29], s[2:3], s[24:25]
	s_wait_alu 0xfffe
	s_sub_co_i32 s24, s22, s20
	s_cmp_ge_u32 s22, s20
	s_load_b64 s[34:35], s[0:1], 0x108
	s_cselect_b32 s20, s24, s22
	s_xor_b32 s37, s26, s21
	s_xor_b32 s20, s20, s23
	s_add_co_i32 s28, s29, 1
	s_sub_co_i32 s48, s20, s23
	s_mul_i32 s20, s29, s7
	s_mov_b32 s42, s5
	s_sub_co_i32 s2, s2, s20
	s_load_b256 s[20:27], s[0:1], 0x0
	s_sub_co_i32 s30, s2, s7
	s_cmp_ge_u32 s2, s7
	s_mov_b32 s46, s12
	s_cselect_b32 s36, s28, s29
	s_cselect_b32 s2, s30, s2
	s_load_b128 s[28:31], s[0:1], 0xf8
	s_add_co_i32 s38, s36, 1
	s_cmp_ge_u32 s2, s7
	s_load_b32 s55, s[0:1], 0x11c
	s_cselect_b32 s2, s38, s36
	s_wait_kmcnt 0x0
	s_mul_i32 s36, s35, s9
	s_wait_alu 0xfffe
	s_xor_b32 s2, s2, s37
	s_ashr_i32 s49, s48, 31
	s_mov_b32 s38, s4
	s_ashr_i32 s43, s5, 31
	s_ashr_i32 s7, s6, 31
	s_wait_alu 0xfffe
	s_sub_co_i32 s50, s2, s37
	s_mul_u64 s[38:39], s[48:49], s[38:39]
	s_ashr_i32 s37, s36, 31
	s_ashr_i32 s41, s40, 31
	s_mul_u64 s[42:43], s[6:7], s[42:43]
	s_add_nc_u64 s[38:39], s[38:39], s[40:41]
	s_ashr_i32 s51, s50, 31
	s_ashr_i32 s5, s9, 31
	s_mov_b32 s4, s9
	s_mul_u64 s[42:43], s[42:43], s[36:37]
	s_mul_u64 s[44:45], s[50:51], s[4:5]
	;; [unrolled: 1-line block ×3, first 2 shown]
	s_mul_i32 s7, s35, s8
	s_lshl_b64 s[62:63], s[38:39], 2
	s_lshl_b64 s[64:65], s[44:45], 2
	s_ashr_i32 s53, s8, 31
	s_ashr_i32 s39, s30, 31
	;; [unrolled: 1-line block ×8, first 2 shown]
	s_cmp_lt_i32 s30, 1
	v_cmp_neq_f64_e64 s2, s[24:25], 1.0
	s_cselect_b32 s57, -1, 0
	s_add_co_i32 s19, s40, s19
	v_cmp_neq_f64_e64 s66, s[26:27], 0
	s_cmp_gt_i32 s31, 0
	s_add_nc_u64 s[20:21], s[20:21], s[62:63]
	s_cselect_b32 s58, -1, 0
	s_cmp_gt_i32 s34, 0
	s_add_nc_u64 s[20:21], s[20:21], s[64:65]
	s_cselect_b32 s59, -1, 0
	s_cmp_gt_i32 s8, 0
	s_mov_b32 s44, s11
	s_cselect_b32 s60, -1, 0
	s_abs_i32 s9, s9
	s_abs_i32 s61, s6
	s_cvt_f32_u32 s38, s9
	s_cvt_f32_u32 s40, s61
	s_abs_i32 s62, s54
	s_abs_i32 s64, s13
	v_rcp_iflag_f32_e32 v1, s38
	s_mov_b32 s38, s30
	s_cvt_f32_u32 s12, s62
	s_sub_co_i32 s11, 0, s9
	s_abs_i32 s67, s14
	s_abs_i32 s69, s15
	s_load_b64 s[0:1], s[0:1], 0x20
	s_ashr_i32 s72, s13, 31
	s_sub_co_i32 s13, 0, s67
	s_ashr_i32 s70, s54, 31
	v_readfirstlane_b32 s42, v1
	v_rcp_iflag_f32_e32 v1, s40
	s_mov_b32 s52, s8
	s_mov_b32 s40, s31
	s_ashr_i32 s73, s14, 31
	s_mul_f32 s30, s42, 0x4f7ffffe
	s_mov_b32 s42, s10
	s_ashr_i32 s75, s15, 31
	s_wait_alu 0xfffe
	s_mul_u64 s[14:15], s[34:35], s[40:41]
	s_cvt_u32_f32 s10, s30
	s_and_b32 s65, s55, 0xffff
	v_readfirstlane_b32 s30, v1
	s_or_b32 s63, s2, s66
	v_rcp_iflag_f32_e32 v1, s12
	s_cvt_f32_u32 s12, s64
	s_mul_i32 s11, s11, s10
	s_mul_f32 s2, s30, 0x4f7ffffe
	s_mul_hi_u32 s11, s10, s11
	s_wait_alu 0xfffe
	v_rcp_iflag_f32_e32 v2, s12
	s_sub_co_i32 s12, 0, s61
	s_cvt_u32_f32 s2, s2
	s_add_co_i32 s66, s10, s11
	v_readfirstlane_b32 s10, v1
	s_wait_alu 0xfffe
	s_mul_i32 s12, s12, s2
	s_wait_alu 0xfffe
	s_mul_hi_u32 s11, s2, s12
	s_cvt_f32_u32 s12, s67
	s_add_co_i32 s68, s2, s11
	s_cvt_f32_u32 s11, s69
	s_mul_f32 s2, s10, 0x4f7ffffe
	s_wait_alu 0xfffe
	v_rcp_iflag_f32_e32 v1, s12
	v_readfirstlane_b32 s10, v2
	v_rcp_iflag_f32_e32 v2, s11
	s_cvt_u32_f32 s2, s2
	s_sub_co_i32 s12, 0, s62
	s_sub_co_i32 s11, 0, s64
	s_mul_f32 s10, s10, 0x4f7ffffe
	s_wait_alu 0xfffe
	s_mul_i32 s12, s12, s2
	s_wait_alu 0xfffe
	s_mul_hi_u32 s12, s2, s12
	v_readfirstlane_b32 s30, v1
	s_cvt_u32_f32 s10, s10
	s_wait_alu 0xfffe
	s_add_co_i32 s71, s2, s12
	s_mul_f32 s12, s30, 0x4f7ffffe
	v_readfirstlane_b32 s30, v2
	s_mul_i32 s11, s11, s10
	s_wait_alu 0xfffe
	s_mul_hi_u32 s2, s10, s11
	s_mov_b32 s11, s3
	s_wait_alu 0xfffe
	s_add_co_i32 s10, s10, s2
	s_cvt_u32_f32 s2, s12
	s_mul_f32 s12, s30, 0x4f7ffffe
	s_mul_u64 s[30:31], s[52:53], s[50:51]
	s_mul_u64 s[50:51], s[46:47], s[44:45]
	s_wait_alu 0xfffe
	s_mul_i32 s13, s13, s2
	s_cvt_u32_f32 s54, s12
	s_wait_alu 0xfffe
	s_mul_hi_u32 s12, s2, s13
	s_sub_co_i32 s13, 0, s69
	s_wait_alu 0xfffe
	s_add_co_i32 s74, s2, s12
	s_mul_i32 s13, s13, s54
	s_wait_alu 0xfffe
	s_mul_hi_u32 s2, s54, s13
	s_lshl_b64 s[12:13], s[30:31], 2
	s_wait_alu 0xfffe
	s_add_co_i32 s41, s54, s2
	s_wait_kmcnt 0x0
	s_add_nc_u64 s[12:13], s[0:1], s[12:13]
	s_mul_u64 s[0:1], s[14:15], s[4:5]
	s_mul_u64 s[14:15], s[50:51], s[42:43]
	;; [unrolled: 1-line block ×6, first 2 shown]
	s_lshl_b64 s[30:31], s[30:31], 2
	s_lshl_b64 s[14:15], s[14:15], 2
	s_add_nc_u64 s[22:23], s[22:23], s[30:31]
	s_lshl_b64 s[30:31], s[0:1], 2
	s_lshl_b64 s[48:49], s[48:49], 2
	;; [unrolled: 1-line block ×4, first 2 shown]
	s_mov_b32 s35, 0
	s_branch .LBB94_3
.LBB94_2:                               ;   in Loop: Header=BB94_3 Depth=1
	s_delay_alu instid0(VALU_DEP_1) | instskip(SKIP_1) | instid1(VALU_DEP_1)
	v_cvt_f32_f64_e32 v3, v[3:4]
	v_add_nc_u32_e32 v0, s65, v0
	v_cmp_le_i32_e32 vcc_lo, s33, v0
	s_or_b32 s35, vcc_lo, s35
	global_store_b32 v[1:2], v3, off
	s_and_not1_b32 exec_lo, exec_lo, s35
	s_cbranch_execz .LBB94_35
.LBB94_3:                               ; =>This Loop Header: Depth=1
                                        ;     Child Loop BB94_8 Depth 2
                                        ;       Child Loop BB94_17 Depth 3
                                        ;         Child Loop BB94_24 Depth 4
                                        ;           Child Loop BB94_31 Depth 5
	v_sub_nc_u32_e32 v1, 0, v0
	s_mov_b32 s39, -1
	s_delay_alu instid0(VALU_DEP_1) | instskip(NEXT) | instid1(VALU_DEP_1)
	v_max_i32_e32 v1, v0, v1
	v_mul_hi_u32 v2, v1, s66
	s_delay_alu instid0(VALU_DEP_1) | instskip(NEXT) | instid1(VALU_DEP_1)
	v_mul_lo_u32 v3, v2, s9
	v_sub_nc_u32_e32 v4, v1, v3
	s_delay_alu instid0(VALU_DEP_1) | instskip(SKIP_2) | instid1(VALU_DEP_2)
	v_subrev_nc_u32_e32 v5, s9, v4
	v_cmp_le_u32_e32 vcc_lo, s9, v4
	s_wait_alu 0xfffd
	v_dual_cndmask_b32 v4, v4, v5 :: v_dual_add_nc_u32 v3, 1, v2
	s_delay_alu instid0(VALU_DEP_1) | instskip(SKIP_1) | instid1(VALU_DEP_3)
	v_cndmask_b32_e32 v2, v2, v3, vcc_lo
	v_ashrrev_i32_e32 v3, 31, v0
	v_cmp_le_u32_e32 vcc_lo, s9, v4
	s_delay_alu instid0(VALU_DEP_3) | instskip(NEXT) | instid1(VALU_DEP_3)
	v_add_nc_u32_e32 v5, 1, v2
	v_xor_b32_e32 v6, s5, v3
	s_wait_alu 0xfffd
	s_delay_alu instid0(VALU_DEP_2) | instskip(SKIP_1) | instid1(VALU_DEP_2)
	v_cndmask_b32_e32 v2, v2, v5, vcc_lo
	v_mul_hi_u32 v5, v1, s71
	v_xor_b32_e32 v2, v2, v6
	s_delay_alu instid0(VALU_DEP_2) | instskip(NEXT) | instid1(VALU_DEP_2)
	v_mul_lo_u32 v7, v5, s62
	v_sub_nc_u32_e32 v4, v2, v6
	s_delay_alu instid0(VALU_DEP_1) | instskip(SKIP_1) | instid1(VALU_DEP_4)
	v_sub_nc_u32_e32 v2, 0, v4
	v_mul_lo_u32 v8, v4, s4
	v_sub_nc_u32_e32 v1, v1, v7
	s_delay_alu instid0(VALU_DEP_3) | instskip(NEXT) | instid1(VALU_DEP_2)
	v_max_i32_e32 v2, v4, v2
	v_subrev_nc_u32_e32 v7, s62, v1
	v_cmp_le_u32_e64 s0, s62, v1
	s_delay_alu instid0(VALU_DEP_3) | instskip(NEXT) | instid1(VALU_DEP_1)
	v_mul_hi_u32 v6, v2, s68
	v_mul_lo_u32 v6, v6, s61
	s_delay_alu instid0(VALU_DEP_1) | instskip(NEXT) | instid1(VALU_DEP_1)
	v_sub_nc_u32_e32 v2, v2, v6
	v_subrev_nc_u32_e32 v6, s61, v2
	v_cmp_le_u32_e32 vcc_lo, s61, v2
	s_wait_alu 0xfffd
	s_delay_alu instid0(VALU_DEP_2)
	v_cndmask_b32_e32 v6, v2, v6, vcc_lo
	s_wait_alu 0xf1ff
	v_cndmask_b32_e64 v2, v1, v7, s0
	v_sub_nc_u32_e32 v1, v0, v8
	s_and_not1_b32 vcc_lo, exec_lo, s57
	v_cmp_le_u32_e64 s2, s61, v6
	s_delay_alu instid0(VALU_DEP_3)
	v_cmp_le_u32_e64 s1, s62, v2
	s_wait_alu 0xfffe
	s_cbranch_vccnz .LBB94_5
; %bb.4:                                ;   in Loop: Header=BB94_3 Depth=1
	v_ashrrev_i32_e32 v2, 31, v1
	s_mov_b32 s39, 0
.LBB94_5:                               ;   in Loop: Header=BB94_3 Depth=1
	v_add_nc_u32_e32 v7, 1, v5
	v_ashrrev_i32_e32 v4, 31, v4
	s_wait_alu 0xfffe
	s_and_not1_b32 vcc_lo, exec_lo, s39
	s_delay_alu instid0(VALU_DEP_2) | instskip(SKIP_1) | instid1(VALU_DEP_2)
	v_cndmask_b32_e64 v5, v5, v7, s0
	v_subrev_nc_u32_e32 v7, s61, v6
	v_add_nc_u32_e32 v8, 1, v5
	s_delay_alu instid0(VALU_DEP_2) | instskip(SKIP_1) | instid1(VALU_DEP_3)
	v_cndmask_b32_e64 v6, v6, v7, s2
	v_xor_b32_e32 v7, s70, v3
	v_cndmask_b32_e64 v3, v5, v8, s1
	s_delay_alu instid0(VALU_DEP_3) | instskip(NEXT) | instid1(VALU_DEP_2)
	v_xor_b32_e32 v5, v6, v4
	v_xor_b32_e32 v6, v3, v7
	s_delay_alu instid0(VALU_DEP_2) | instskip(SKIP_2) | instid1(VALU_DEP_4)
	v_sub_nc_u32_e32 v5, v5, v4
	v_mov_b32_e32 v3, 0
	v_mov_b32_e32 v4, 0
	v_sub_nc_u32_e32 v18, v6, v7
	s_wait_alu 0xfffe
	s_cbranch_vccnz .LBB94_33
; %bb.6:                                ;   in Loop: Header=BB94_3 Depth=1
	v_ashrrev_i32_e32 v2, 31, v1
	v_dual_mov_b32 v3, 0 :: v_dual_add_nc_u32 v20, s29, v5
	v_dual_mov_b32 v4, 0 :: v_dual_add_nc_u32 v19, s28, v18
	s_delay_alu instid0(VALU_DEP_3) | instskip(SKIP_1) | instid1(VALU_DEP_1)
	v_lshlrev_b64_e32 v[6:7], 2, v[1:2]
	s_mov_b32 s39, 0
	v_add_co_u32 v6, vcc_lo, s22, v6
	s_wait_alu 0xfffd
	s_delay_alu instid0(VALU_DEP_2)
	v_add_co_ci_u32_e64 v7, null, s23, v7, vcc_lo
	s_branch .LBB94_8
.LBB94_7:                               ;   in Loop: Header=BB94_8 Depth=2
	v_add_co_u32 v6, vcc_lo, v6, s30
	s_wait_alu 0xfffd
	v_add_co_ci_u32_e64 v7, null, s31, v7, vcc_lo
	s_add_co_i32 s39, s39, 1
	s_wait_alu 0xfffe
	s_cmp_eq_u32 s39, s38
	s_cbranch_scc1 .LBB94_33
.LBB94_8:                               ;   Parent Loop BB94_3 Depth=1
                                        ; =>  This Loop Header: Depth=2
                                        ;       Child Loop BB94_17 Depth 3
                                        ;         Child Loop BB94_24 Depth 4
                                        ;           Child Loop BB94_31 Depth 5
	s_wait_alu 0xfffe
	s_mul_i32 s0, s16, s39
	s_mov_b32 s76, -1
	s_wait_alu 0xfffe
	s_sub_co_i32 s54, s19, s0
	s_mov_b32 s55, 0
	s_wait_alu 0xfffe
	s_cmp_gt_i32 s54, -1
                                        ; implicit-def: $sgpr2
                                        ; implicit-def: $sgpr1
                                        ; implicit-def: $sgpr0
                                        ; implicit-def: $sgpr43
	s_cbranch_scc1 .LBB94_12
; %bb.9:                                ;   in Loop: Header=BB94_8 Depth=2
	s_and_not1_b32 vcc_lo, exec_lo, s76
	s_wait_alu 0xfffe
	s_cbranch_vccz .LBB94_13
.LBB94_10:                              ;   in Loop: Header=BB94_8 Depth=2
	s_wait_alu 0xfffe
	s_and_not1_b32 vcc_lo, exec_lo, s55
	s_mov_b32 s54, 1
	s_wait_alu 0xfffe
	s_cbranch_vccz .LBB94_14
; %bb.11:                               ;   in Loop: Header=BB94_8 Depth=2
	s_and_not1_b32 vcc_lo, exec_lo, s58
	s_wait_alu 0xfffe
	s_cbranch_vccz .LBB94_15
	s_branch .LBB94_7
.LBB94_12:                              ;   in Loop: Header=BB94_8 Depth=2
	s_abs_i32 s2, s54
	s_wait_alu 0xfffe
	s_mul_u64 s[0:1], s[2:3], s[10:11]
	s_wait_alu 0xfffe
	s_mul_i32 s0, s1, s64
	s_wait_alu 0xfffe
	s_sub_co_i32 s0, s2, s0
	s_ashr_i32 s2, s54, 31
	s_wait_alu 0xfffe
	s_sub_co_i32 s43, s0, s64
	s_cmp_ge_u32 s0, s64
	s_cselect_b32 s55, s43, s0
	s_wait_alu 0xfffe
	s_sub_co_i32 s76, s55, s64
	s_cmp_ge_u32 s55, s64
	s_cselect_b32 s55, s76, s55
	s_wait_alu 0xfffe
	s_xor_b32 s55, s55, s2
	s_wait_alu 0xfffe
	s_sub_co_i32 s55, s55, s2
	s_wait_alu 0xfffe
	s_cmp_lg_u32 s55, 0
	s_cselect_b32 s55, -1, 0
	s_cbranch_execnz .LBB94_10
.LBB94_13:                              ;   in Loop: Header=BB94_8 Depth=2
	s_abs_i32 s2, s54
	s_wait_alu 0xfffe
	s_mul_u64 s[0:1], s[2:3], s[10:11]
	s_wait_alu 0xfffe
	s_mul_i32 s0, s1, s64
	s_wait_alu 0xfffe
	s_sub_co_i32 s0, s2, s0
	s_ashr_i32 s2, s54, 31
	s_wait_alu 0xfffe
	s_sub_co_i32 s43, s0, s64
	s_mov_b32 s54, 1
.LBB94_14:                              ;   in Loop: Header=BB94_8 Depth=2
	s_mov_b32 s54, 0
	s_and_not1_b32 vcc_lo, exec_lo, s58
	s_wait_alu 0xfffe
	s_cbranch_vccnz .LBB94_7
.LBB94_15:                              ;   in Loop: Header=BB94_8 Depth=2
	s_xor_b32 s2, s2, s72
	s_add_co_i32 s55, s1, 1
	s_cmp_ge_u32 s0, s64
	v_dual_mov_b32 v9, v7 :: v_dual_mov_b32 v8, v6
	s_wait_alu 0xfffe
	s_cselect_b32 s1, s55, s1
	s_cselect_b32 s0, s43, s0
	s_wait_alu 0xfffe
	s_add_co_i32 s43, s1, 1
	s_cmp_ge_u32 s0, s64
	s_cselect_b32 s0, s43, s1
	s_wait_alu 0xfffe
	s_xor_b32 s0, s0, s2
	s_wait_alu 0xfffe
	s_sub_co_i32 s76, s0, s2
	s_mov_b32 s2, 0
	s_cmp_lt_i32 s76, s42
	s_cselect_b32 s1, s54, 0
	s_ashr_i32 s77, s76, 31
	s_delay_alu instid0(SALU_CYCLE_1)
	s_mul_u64 s[54:55], s[76:77], s[44:45]
	s_branch .LBB94_17
.LBB94_16:                              ;   in Loop: Header=BB94_17 Depth=3
	v_add_co_u32 v8, vcc_lo, v8, s48
	s_wait_alu 0xfffd
	v_add_co_ci_u32_e64 v9, null, s49, v9, vcc_lo
	s_add_co_i32 s2, s2, 1
	s_wait_alu 0xfffe
	s_cmp_eq_u32 s2, s40
	s_cbranch_scc1 .LBB94_7
.LBB94_17:                              ;   Parent Loop BB94_3 Depth=1
                                        ;     Parent Loop BB94_8 Depth=2
                                        ; =>    This Loop Header: Depth=3
                                        ;         Child Loop BB94_24 Depth 4
                                        ;           Child Loop BB94_31 Depth 5
	s_wait_alu 0xfffe
	s_mul_i32 s0, s17, s2
	s_mov_b32 s43, exec_lo
	s_wait_alu 0xfffe
	v_subrev_nc_u32_e32 v11, s0, v19
	s_delay_alu instid0(VALU_DEP_1)
	v_cmp_gt_i32_e64 s0, 0, v11
	v_ashrrev_i32_e32 v10, 31, v11
	v_sub_nc_u32_e32 v12, 0, v11
	v_cmpx_lt_i32_e32 -1, v11
	s_cbranch_execnz .LBB94_20
; %bb.18:                               ;   in Loop: Header=BB94_17 Depth=3
	s_or_b32 exec_lo, exec_lo, s43
	v_mov_b32_e32 v13, 1
	s_and_saveexec_b32 s43, s0
	s_cbranch_execnz .LBB94_21
.LBB94_19:                              ;   in Loop: Header=BB94_17 Depth=3
	s_or_b32 exec_lo, exec_lo, s43
	s_delay_alu instid0(SALU_CYCLE_1)
	s_and_not1_b32 vcc_lo, exec_lo, s59
	s_wait_alu 0xfffe
	s_cbranch_vccz .LBB94_22
	s_branch .LBB94_16
.LBB94_20:                              ;   in Loop: Header=BB94_17 Depth=3
	s_delay_alu instid0(VALU_DEP_2) | instskip(SKIP_1) | instid1(VALU_DEP_1)
	v_max_i32_e32 v13, v11, v12
	s_and_not1_b32 s0, s0, exec_lo
	v_mul_hi_u32 v14, v13, s74
	s_delay_alu instid0(VALU_DEP_1) | instskip(NEXT) | instid1(VALU_DEP_1)
	v_mul_lo_u32 v14, v14, s67
	v_sub_nc_u32_e32 v13, v13, v14
	s_delay_alu instid0(VALU_DEP_1) | instskip(SKIP_2) | instid1(VALU_DEP_2)
	v_subrev_nc_u32_e32 v14, s67, v13
	v_cmp_le_u32_e32 vcc_lo, s67, v13
	s_wait_alu 0xfffd
	v_cndmask_b32_e32 v13, v13, v14, vcc_lo
	s_delay_alu instid0(VALU_DEP_1) | instskip(SKIP_2) | instid1(VALU_DEP_2)
	v_subrev_nc_u32_e32 v14, s67, v13
	v_cmp_le_u32_e32 vcc_lo, s67, v13
	s_wait_alu 0xfffd
	v_cndmask_b32_e32 v13, v13, v14, vcc_lo
	s_delay_alu instid0(VALU_DEP_1) | instskip(NEXT) | instid1(VALU_DEP_1)
	v_xor_b32_e32 v13, v13, v10
	v_sub_nc_u32_e32 v13, v13, v10
	s_delay_alu instid0(VALU_DEP_1)
	v_cmp_ne_u32_e32 vcc_lo, 0, v13
	s_and_b32 s76, vcc_lo, exec_lo
	s_wait_alu 0xfffe
	s_or_b32 s0, s0, s76
	s_or_b32 exec_lo, exec_lo, s43
	v_mov_b32_e32 v13, 1
	s_wait_alu 0xfffe
	s_and_saveexec_b32 s43, s0
	s_cbranch_execz .LBB94_19
.LBB94_21:                              ;   in Loop: Header=BB94_17 Depth=3
	v_mov_b32_e32 v13, 0
	s_or_b32 exec_lo, exec_lo, s43
	s_delay_alu instid0(SALU_CYCLE_1)
	s_and_not1_b32 vcc_lo, exec_lo, s59
	s_wait_alu 0xfffe
	s_cbranch_vccnz .LBB94_16
.LBB94_22:                              ;   in Loop: Header=BB94_17 Depth=3
	v_max_i32_e32 v11, v11, v12
	v_xor_b32_e32 v10, s73, v10
	s_mov_b32 s43, 0
	s_delay_alu instid0(VALU_DEP_2) | instskip(NEXT) | instid1(VALU_DEP_1)
	v_mul_hi_u32 v12, v11, s74
	v_mul_lo_u32 v14, v12, s67
	s_delay_alu instid0(VALU_DEP_1) | instskip(NEXT) | instid1(VALU_DEP_1)
	v_sub_nc_u32_e32 v11, v11, v14
	v_subrev_nc_u32_e32 v15, s67, v11
	v_cmp_le_u32_e32 vcc_lo, s67, v11
	s_wait_alu 0xfffd
	s_delay_alu instid0(VALU_DEP_2) | instskip(NEXT) | instid1(VALU_DEP_1)
	v_dual_cndmask_b32 v11, v11, v15 :: v_dual_add_nc_u32 v14, 1, v12
	v_cndmask_b32_e32 v12, v12, v14, vcc_lo
	s_delay_alu instid0(VALU_DEP_2) | instskip(NEXT) | instid1(VALU_DEP_2)
	v_cmp_le_u32_e32 vcc_lo, s67, v11
	v_add_nc_u32_e32 v14, 1, v12
	s_wait_alu 0xfffd
	s_delay_alu instid0(VALU_DEP_1) | instskip(NEXT) | instid1(VALU_DEP_1)
	v_cndmask_b32_e32 v11, v12, v14, vcc_lo
	v_xor_b32_e32 v11, v11, v10
	s_delay_alu instid0(VALU_DEP_1) | instskip(NEXT) | instid1(VALU_DEP_1)
	v_sub_nc_u32_e32 v12, v11, v10
	v_ashrrev_i32_e32 v10, 31, v12
	v_add_co_u32 v11, vcc_lo, s54, v12
	s_wait_alu 0xfffd
	s_delay_alu instid0(VALU_DEP_2) | instskip(SKIP_1) | instid1(VALU_DEP_3)
	v_add_co_ci_u32_e64 v14, null, s55, v10, vcc_lo
	v_cmp_gt_i32_e32 vcc_lo, s44, v12
	v_mul_lo_u32 v15, v11, s47
	v_mad_co_u64_u32 v[10:11], null, v11, s46, 0
	s_delay_alu instid0(VALU_DEP_4) | instskip(SKIP_2) | instid1(VALU_DEP_1)
	v_mul_lo_u32 v14, v14, s46
	s_wait_alu 0xfffd
	v_cndmask_b32_e32 v12, 0, v13, vcc_lo
	v_and_b32_e32 v21, s1, v12
	v_mov_b32_e32 v13, v9
	s_delay_alu instid0(VALU_DEP_4)
	v_add3_u32 v11, v11, v15, v14
	v_mov_b32_e32 v12, v8
	s_branch .LBB94_24
.LBB94_23:                              ;   in Loop: Header=BB94_24 Depth=4
	v_add_co_u32 v12, vcc_lo, v12, s50
	s_wait_alu 0xfffd
	v_add_co_ci_u32_e64 v13, null, s51, v13, vcc_lo
	s_add_co_i32 s43, s43, 1
	s_delay_alu instid0(SALU_CYCLE_1)
	s_cmp_eq_u32 s43, s34
	s_cbranch_scc1 .LBB94_16
.LBB94_24:                              ;   Parent Loop BB94_3 Depth=1
                                        ;     Parent Loop BB94_8 Depth=2
                                        ;       Parent Loop BB94_17 Depth=3
                                        ; =>      This Loop Header: Depth=4
                                        ;           Child Loop BB94_31 Depth 5
	s_mul_i32 s0, s18, s43
	s_wait_alu 0xfffe
	v_subrev_nc_u32_e32 v15, s0, v20
	s_delay_alu instid0(VALU_DEP_1) | instskip(SKIP_3) | instid1(VALU_DEP_4)
	v_sub_nc_u32_e32 v16, 0, v15
	v_cmp_gt_i32_e64 s0, 0, v15
	v_cmp_lt_i32_e32 vcc_lo, -1, v15
	v_ashrrev_i32_e32 v14, 31, v15
	v_max_i32_e32 v15, v15, v16
	s_and_saveexec_b32 s76, vcc_lo
	s_cbranch_execnz .LBB94_27
; %bb.25:                               ;   in Loop: Header=BB94_24 Depth=4
	s_or_b32 exec_lo, exec_lo, s76
	v_mov_b32_e32 v16, 1
	s_and_saveexec_b32 s76, s0
	s_cbranch_execnz .LBB94_28
.LBB94_26:                              ;   in Loop: Header=BB94_24 Depth=4
	s_or_b32 exec_lo, exec_lo, s76
	s_delay_alu instid0(SALU_CYCLE_1)
	s_and_not1_b32 vcc_lo, exec_lo, s60
	s_wait_alu 0xfffe
	s_cbranch_vccz .LBB94_29
	s_branch .LBB94_23
.LBB94_27:                              ;   in Loop: Header=BB94_24 Depth=4
	s_delay_alu instid0(VALU_DEP_1) | instskip(SKIP_1) | instid1(VALU_DEP_1)
	v_mul_hi_u32 v16, v15, s41
	s_and_not1_b32 s0, s0, exec_lo
	v_mul_lo_u32 v16, v16, s69
	s_delay_alu instid0(VALU_DEP_1) | instskip(NEXT) | instid1(VALU_DEP_1)
	v_sub_nc_u32_e32 v16, v15, v16
	v_subrev_nc_u32_e32 v17, s69, v16
	v_cmp_le_u32_e32 vcc_lo, s69, v16
	s_wait_alu 0xfffd
	s_delay_alu instid0(VALU_DEP_2) | instskip(NEXT) | instid1(VALU_DEP_1)
	v_cndmask_b32_e32 v16, v16, v17, vcc_lo
	v_subrev_nc_u32_e32 v17, s69, v16
	v_cmp_le_u32_e32 vcc_lo, s69, v16
	s_wait_alu 0xfffd
	s_delay_alu instid0(VALU_DEP_2) | instskip(NEXT) | instid1(VALU_DEP_1)
	v_cndmask_b32_e32 v16, v16, v17, vcc_lo
	v_xor_b32_e32 v16, v16, v14
	s_delay_alu instid0(VALU_DEP_1) | instskip(NEXT) | instid1(VALU_DEP_1)
	v_sub_nc_u32_e32 v16, v16, v14
	v_cmp_ne_u32_e32 vcc_lo, 0, v16
	s_and_b32 s77, vcc_lo, exec_lo
	s_wait_alu 0xfffe
	s_or_b32 s0, s0, s77
	s_or_b32 exec_lo, exec_lo, s76
	v_mov_b32_e32 v16, 1
	s_wait_alu 0xfffe
	s_and_saveexec_b32 s76, s0
	s_cbranch_execz .LBB94_26
.LBB94_28:                              ;   in Loop: Header=BB94_24 Depth=4
	v_mov_b32_e32 v16, 0
	s_or_b32 exec_lo, exec_lo, s76
	s_delay_alu instid0(SALU_CYCLE_1)
	s_and_not1_b32 vcc_lo, exec_lo, s60
	s_wait_alu 0xfffe
	s_cbranch_vccnz .LBB94_23
.LBB94_29:                              ;   in Loop: Header=BB94_24 Depth=4
	v_mul_hi_u32 v17, v15, s41
	v_xor_b32_e32 v14, s75, v14
	s_mov_b32 s76, s8
	s_delay_alu instid0(VALU_DEP_2) | instskip(NEXT) | instid1(VALU_DEP_1)
	v_mul_lo_u32 v22, v17, s69
	v_sub_nc_u32_e32 v15, v15, v22
	s_delay_alu instid0(VALU_DEP_1) | instskip(SKIP_2) | instid1(VALU_DEP_2)
	v_subrev_nc_u32_e32 v23, s69, v15
	v_cmp_le_u32_e32 vcc_lo, s69, v15
	s_wait_alu 0xfffd
	v_dual_cndmask_b32 v15, v15, v23 :: v_dual_add_nc_u32 v22, 1, v17
	s_delay_alu instid0(VALU_DEP_1) | instskip(NEXT) | instid1(VALU_DEP_2)
	v_cndmask_b32_e32 v17, v17, v22, vcc_lo
	v_cmp_le_u32_e32 vcc_lo, s69, v15
	s_delay_alu instid0(VALU_DEP_2) | instskip(SKIP_1) | instid1(VALU_DEP_1)
	v_add_nc_u32_e32 v22, 1, v17
	s_wait_alu 0xfffd
	v_cndmask_b32_e32 v15, v17, v22, vcc_lo
	s_delay_alu instid0(VALU_DEP_1) | instskip(NEXT) | instid1(VALU_DEP_1)
	v_xor_b32_e32 v15, v15, v14
	v_sub_nc_u32_e32 v17, v15, v14
	s_delay_alu instid0(VALU_DEP_1) | instskip(SKIP_2) | instid1(VALU_DEP_2)
	v_ashrrev_i32_e32 v15, 31, v17
	v_add_co_u32 v14, vcc_lo, v10, v17
	s_wait_alu 0xfffd
	v_add_co_ci_u32_e64 v15, null, v11, v15, vcc_lo
	v_cmp_gt_i32_e32 vcc_lo, s46, v17
	s_delay_alu instid0(VALU_DEP_2) | instskip(SKIP_2) | instid1(VALU_DEP_2)
	v_lshlrev_b64_e32 v[14:15], 2, v[14:15]
	s_wait_alu 0xfffd
	v_cndmask_b32_e32 v16, 0, v16, vcc_lo
	v_add_co_u32 v14, vcc_lo, s14, v14
	s_wait_alu 0xfffd
	s_delay_alu instid0(VALU_DEP_3) | instskip(NEXT) | instid1(VALU_DEP_3)
	v_add_co_ci_u32_e64 v15, null, s15, v15, vcc_lo
	v_and_b32_e32 v16, v21, v16
	s_delay_alu instid0(VALU_DEP_3) | instskip(NEXT) | instid1(VALU_DEP_3)
	v_mul_lo_u32 v22, s56, v14
	v_mul_lo_u32 v17, s7, v15
	v_mad_co_u64_u32 v[14:15], null, s7, v14, s[12:13]
	s_delay_alu instid0(VALU_DEP_4) | instskip(NEXT) | instid1(VALU_DEP_1)
	v_and_b32_e32 v16, 1, v16
	v_cmp_eq_u32_e32 vcc_lo, 1, v16
	s_delay_alu instid0(VALU_DEP_3)
	v_add3_u32 v15, v22, v15, v17
	v_dual_mov_b32 v17, v13 :: v_dual_mov_b32 v16, v12
	s_branch .LBB94_31
.LBB94_30:                              ;   in Loop: Header=BB94_31 Depth=5
	s_wait_alu 0xfffe
	s_or_b32 exec_lo, exec_lo, s0
	v_add_co_u32 v14, s0, v14, 4
	s_wait_alu 0xf1ff
	v_add_co_ci_u32_e64 v15, null, 0, v15, s0
	v_add_co_u32 v16, s0, v16, s52
	s_wait_alu 0xf1ff
	v_add_co_ci_u32_e64 v17, null, s53, v17, s0
	s_add_co_i32 s76, s76, -1
	s_delay_alu instid0(SALU_CYCLE_1)
	s_cmp_eq_u32 s76, 0
	s_cbranch_scc1 .LBB94_23
.LBB94_31:                              ;   Parent Loop BB94_3 Depth=1
                                        ;     Parent Loop BB94_8 Depth=2
                                        ;       Parent Loop BB94_17 Depth=3
                                        ;         Parent Loop BB94_24 Depth=4
                                        ; =>        This Inner Loop Header: Depth=5
	s_and_saveexec_b32 s0, vcc_lo
	s_cbranch_execz .LBB94_30
; %bb.32:                               ;   in Loop: Header=BB94_31 Depth=5
	global_load_b32 v22, v[14:15], off
	global_load_b32 v23, v[16:17], off
	s_wait_loadcnt 0x1
	v_and_b32_e32 v22, 0xffffe000, v22
	s_wait_loadcnt 0x0
	v_and_b32_e32 v24, 0xffffe000, v23
	s_delay_alu instid0(VALU_DEP_2) | instskip(NEXT) | instid1(VALU_DEP_2)
	v_cvt_f64_f32_e32 v[22:23], v22
	v_cvt_f64_f32_e32 v[24:25], v24
	s_delay_alu instid0(VALU_DEP_1)
	v_fma_f64 v[3:4], v[22:23], v[24:25], v[3:4]
	s_branch .LBB94_30
.LBB94_33:                              ;   in Loop: Header=BB94_3 Depth=1
	v_ashrrev_i32_e32 v6, 31, v5
	v_lshlrev_b64_e32 v[1:2], 2, v[1:2]
	s_delay_alu instid0(VALU_DEP_2) | instskip(NEXT) | instid1(VALU_DEP_1)
	v_mad_co_i64_i32 v[5:6], null, v18, s6, v[5:6]
	v_mul_lo_u32 v7, v6, s36
	s_delay_alu instid0(VALU_DEP_2) | instskip(SKIP_1) | instid1(VALU_DEP_1)
	v_mul_lo_u32 v8, v5, s37
	v_mad_co_u64_u32 v[5:6], null, v5, s36, 0
	v_add3_u32 v6, v6, v8, v7
	s_delay_alu instid0(VALU_DEP_1) | instskip(NEXT) | instid1(VALU_DEP_1)
	v_lshlrev_b64_e32 v[5:6], 2, v[5:6]
	v_add_co_u32 v5, vcc_lo, s20, v5
	s_wait_alu 0xfffd
	s_delay_alu instid0(VALU_DEP_2) | instskip(NEXT) | instid1(VALU_DEP_2)
	v_add_co_ci_u32_e64 v6, null, s21, v6, vcc_lo
	v_add_co_u32 v1, vcc_lo, v5, v1
	s_wait_alu 0xfffd
	s_delay_alu instid0(VALU_DEP_2)
	v_add_co_ci_u32_e64 v2, null, v6, v2, vcc_lo
	s_and_not1_b32 vcc_lo, exec_lo, s63
	s_wait_alu 0xfffe
	s_cbranch_vccnz .LBB94_2
; %bb.34:                               ;   in Loop: Header=BB94_3 Depth=1
	global_load_b32 v5, v[1:2], off
	s_wait_loadcnt 0x0
	v_cvt_f64_f32_e32 v[5:6], v5
	s_delay_alu instid0(VALU_DEP_1) | instskip(NEXT) | instid1(VALU_DEP_1)
	v_mul_f64_e32 v[5:6], s[26:27], v[5:6]
	v_fma_f64 v[3:4], s[24:25], v[3:4], v[5:6]
	s_branch .LBB94_2
.LBB94_35:
	s_endpgm
	.section	.rodata,"a",@progbits
	.p2align	6, 0x0
	.amdhsa_kernel naive_conv_ab_packed_bwd_ndhwc_float_double_float_1
		.amdhsa_group_segment_fixed_size 0
		.amdhsa_private_segment_fixed_size 0
		.amdhsa_kernarg_size 528
		.amdhsa_user_sgpr_count 2
		.amdhsa_user_sgpr_dispatch_ptr 0
		.amdhsa_user_sgpr_queue_ptr 0
		.amdhsa_user_sgpr_kernarg_segment_ptr 1
		.amdhsa_user_sgpr_dispatch_id 0
		.amdhsa_user_sgpr_private_segment_size 0
		.amdhsa_wavefront_size32 1
		.amdhsa_uses_dynamic_stack 0
		.amdhsa_enable_private_segment 0
		.amdhsa_system_sgpr_workgroup_id_x 1
		.amdhsa_system_sgpr_workgroup_id_y 0
		.amdhsa_system_sgpr_workgroup_id_z 0
		.amdhsa_system_sgpr_workgroup_info 0
		.amdhsa_system_vgpr_workitem_id 0
		.amdhsa_next_free_vgpr 26
		.amdhsa_next_free_sgpr 78
		.amdhsa_reserve_vcc 1
		.amdhsa_float_round_mode_32 0
		.amdhsa_float_round_mode_16_64 0
		.amdhsa_float_denorm_mode_32 3
		.amdhsa_float_denorm_mode_16_64 3
		.amdhsa_fp16_overflow 0
		.amdhsa_workgroup_processor_mode 1
		.amdhsa_memory_ordered 1
		.amdhsa_forward_progress 1
		.amdhsa_inst_pref_size 26
		.amdhsa_round_robin_scheduling 0
		.amdhsa_exception_fp_ieee_invalid_op 0
		.amdhsa_exception_fp_denorm_src 0
		.amdhsa_exception_fp_ieee_div_zero 0
		.amdhsa_exception_fp_ieee_overflow 0
		.amdhsa_exception_fp_ieee_underflow 0
		.amdhsa_exception_fp_ieee_inexact 0
		.amdhsa_exception_int_div_zero 0
	.end_amdhsa_kernel
	.text
.Lfunc_end94:
	.size	naive_conv_ab_packed_bwd_ndhwc_float_double_float_1, .Lfunc_end94-naive_conv_ab_packed_bwd_ndhwc_float_double_float_1
                                        ; -- End function
	.set naive_conv_ab_packed_bwd_ndhwc_float_double_float_1.num_vgpr, 26
	.set naive_conv_ab_packed_bwd_ndhwc_float_double_float_1.num_agpr, 0
	.set naive_conv_ab_packed_bwd_ndhwc_float_double_float_1.numbered_sgpr, 78
	.set naive_conv_ab_packed_bwd_ndhwc_float_double_float_1.num_named_barrier, 0
	.set naive_conv_ab_packed_bwd_ndhwc_float_double_float_1.private_seg_size, 0
	.set naive_conv_ab_packed_bwd_ndhwc_float_double_float_1.uses_vcc, 1
	.set naive_conv_ab_packed_bwd_ndhwc_float_double_float_1.uses_flat_scratch, 0
	.set naive_conv_ab_packed_bwd_ndhwc_float_double_float_1.has_dyn_sized_stack, 0
	.set naive_conv_ab_packed_bwd_ndhwc_float_double_float_1.has_recursion, 0
	.set naive_conv_ab_packed_bwd_ndhwc_float_double_float_1.has_indirect_call, 0
	.section	.AMDGPU.csdata,"",@progbits
; Kernel info:
; codeLenInByte = 3264
; TotalNumSgprs: 80
; NumVgprs: 26
; ScratchSize: 0
; MemoryBound: 0
; FloatMode: 240
; IeeeMode: 1
; LDSByteSize: 0 bytes/workgroup (compile time only)
; SGPRBlocks: 0
; VGPRBlocks: 3
; NumSGPRsForWavesPerEU: 80
; NumVGPRsForWavesPerEU: 26
; Occupancy: 16
; WaveLimiterHint : 1
; COMPUTE_PGM_RSRC2:SCRATCH_EN: 0
; COMPUTE_PGM_RSRC2:USER_SGPR: 2
; COMPUTE_PGM_RSRC2:TRAP_HANDLER: 0
; COMPUTE_PGM_RSRC2:TGID_X_EN: 1
; COMPUTE_PGM_RSRC2:TGID_Y_EN: 0
; COMPUTE_PGM_RSRC2:TGID_Z_EN: 0
; COMPUTE_PGM_RSRC2:TIDIG_COMP_CNT: 0
	.text
	.protected	naive_conv_ab_nonpacked_bwd_ndhwc_float_double_float_1 ; -- Begin function naive_conv_ab_nonpacked_bwd_ndhwc_float_double_float_1
	.globl	naive_conv_ab_nonpacked_bwd_ndhwc_float_double_float_1
	.p2align	8
	.type	naive_conv_ab_nonpacked_bwd_ndhwc_float_double_float_1,@function
naive_conv_ab_nonpacked_bwd_ndhwc_float_double_float_1: ; @naive_conv_ab_nonpacked_bwd_ndhwc_float_double_float_1
; %bb.0:
	s_load_b512 s[4:19], s[0:1], 0xb8
	s_mov_b32 s24, exec_lo
	s_wait_kmcnt 0x0
	s_abs_i32 s3, s4
	s_mul_i32 s85, s9, s6
	s_cvt_f32_u32 s2, s3
	s_mul_i32 s33, s85, s5
	s_delay_alu instid0(SALU_CYCLE_2) | instskip(NEXT) | instid1(TRANS32_DEP_1)
	v_rcp_iflag_f32_e32 v1, s2
	v_readfirstlane_b32 s2, v1
	s_mul_f32 s2, s2, 0x4f7ffffe
	s_wait_alu 0xfffe
	s_delay_alu instid0(SALU_CYCLE_2) | instskip(SKIP_2) | instid1(SALU_CYCLE_1)
	s_cvt_u32_f32 s20, s2
	s_sub_co_i32 s2, 0, s3
	s_wait_alu 0xfffe
	s_mul_i32 s2, s2, s20
	s_wait_alu 0xfffe
	s_mul_hi_u32 s21, s20, s2
	s_abs_i32 s2, ttmp9
	s_add_co_i32 s20, s20, s21
	s_wait_alu 0xfffe
	s_mul_hi_u32 s20, s2, s20
	s_delay_alu instid0(SALU_CYCLE_1) | instskip(SKIP_2) | instid1(SALU_CYCLE_1)
	s_mul_i32 s21, s20, s3
	s_add_co_i32 s22, s20, 1
	s_sub_co_i32 s21, s2, s21
	s_sub_co_i32 s23, s21, s3
	s_cmp_ge_u32 s21, s3
	s_cselect_b32 s20, s22, s20
	s_cselect_b32 s21, s23, s21
	s_add_co_i32 s22, s20, 1
	s_cmp_ge_u32 s21, s3
	s_mul_i32 s21, s7, s4
	s_cselect_b32 s22, s22, s20
	s_abs_i32 s20, s7
	s_abs_i32 s7, s21
	s_cvt_f32_u32 s3, s20
	s_cvt_f32_u32 s23, s7
	s_wait_alu 0xfffe
	s_delay_alu instid0(SALU_CYCLE_1) | instskip(NEXT) | instid1(SALU_CYCLE_1)
	v_rcp_iflag_f32_e32 v1, s3
	v_rcp_iflag_f32_e32 v2, s23
	s_mov_b32 s3, 0
	s_delay_alu instid0(TRANS32_DEP_2) | instskip(NEXT) | instid1(TRANS32_DEP_1)
	v_readfirstlane_b32 s23, v1
	v_readfirstlane_b32 s5, v2
	v_cmpx_gt_i32_e64 s33, v0
	s_cbranch_execz .LBB95_35
; %bb.1:
	s_mul_f32 s23, s23, 0x4f7ffffe
	s_ashr_i32 s26, ttmp9, 31
	s_ashr_i32 s24, s4, 31
	s_mul_f32 s5, s5, 0x4f7ffffe
	s_wait_alu 0xfffe
	s_cvt_u32_f32 s23, s23
	s_sub_co_i32 s25, 0, s20
	s_xor_b32 s24, s26, s24
	s_cvt_u32_f32 s5, s5
	s_xor_b32 s22, s22, s24
	s_wait_alu 0xfffe
	s_mul_i32 s25, s25, s23
	s_sub_co_i32 s27, s22, s24
	s_mul_hi_u32 s24, s23, s25
	s_sub_co_i32 s28, 0, s7
	s_abs_i32 s22, s27
	s_add_co_i32 s24, s23, s24
	s_mov_b32 s23, s3
	s_mov_b32 s25, s3
	s_mul_i32 s28, s28, s5
	s_wait_alu 0xfffe
	s_mul_u64 s[24:25], s[22:23], s[24:25]
	s_mul_hi_u32 s24, s5, s28
	s_ashr_i32 s23, s27, 31
	s_add_co_i32 s24, s5, s24
	s_mul_i32 s5, s25, s20
	s_mul_i32 s27, s27, s4
	s_sub_co_i32 s5, s22, s5
	s_ashr_i32 s21, s21, 31
	s_sub_co_i32 s4, ttmp9, s27
	s_sub_co_i32 s22, s5, s20
	s_cmp_ge_u32 s5, s20
	s_mov_b32 s25, s3
	s_wait_alu 0xfffe
	s_cselect_b32 s5, s22, s5
	s_mul_u64 s[34:35], s[2:3], s[24:25]
	s_sub_co_i32 s22, s5, s20
	s_cmp_ge_u32 s5, s20
	s_load_b512 s[36:51], s[0:1], 0x28
	s_cselect_b32 s5, s22, s5
	s_xor_b32 s34, s26, s21
	s_xor_b32 s5, s5, s23
	s_clause 0x1
	s_load_b128 s[28:31], s[0:1], 0xf8
	s_load_b128 s[68:71], s[0:1], 0xa8
	s_sub_co_i32 s72, s5, s23
	s_mul_i32 s5, s35, s7
	s_load_b256 s[20:27], s[0:1], 0x0
	s_sub_co_i32 s2, s2, s5
	s_add_co_i32 s5, s35, 1
	s_wait_alu 0xfffe
	s_sub_co_i32 s52, s2, s7
	s_cmp_ge_u32 s2, s7
	s_clause 0x1
	s_load_b32 s76, s[0:1], 0x108
	s_load_b32 s88, s[0:1], 0x11c
	s_cselect_b32 s5, s5, s35
	s_cselect_b32 s2, s52, s2
	s_add_co_i32 s35, s5, 1
	s_wait_alu 0xfffe
	s_cmp_ge_u32 s2, s7
	s_load_b512 s[52:67], s[0:1], 0x68
	s_cselect_b32 s2, s35, s5
	s_ashr_i32 s73, s72, 31
	s_wait_alu 0xfffe
	s_xor_b32 s2, s2, s34
	s_ashr_i32 s5, s4, 31
	s_wait_alu 0xfffe
	s_sub_co_i32 s74, s2, s34
	s_wait_kmcnt 0x0
	s_mul_u64 s[34:35], s[46:47], s[72:73]
	s_ashr_i32 s75, s74, 31
	s_mul_u64 s[44:45], s[44:45], s[4:5]
	s_mul_u64 s[38:39], s[38:39], s[74:75]
	v_cmp_neq_f64_e64 s2, s[24:25], 1.0
	v_cmp_neq_f64_e64 s7, s[26:27], 0
	s_lshl_b64 s[34:35], s[34:35], 2
	s_lshl_b64 s[44:45], s[44:45], 2
	;; [unrolled: 1-line block ×3, first 2 shown]
	s_cmp_lt_i32 s30, 1
	s_load_b64 s[0:1], s[0:1], 0x20
	s_cselect_b32 s77, -1, 0
	s_add_co_i32 s19, s4, s19
	s_cmp_gt_i32 s31, 0
	s_mul_u64 s[86:87], s[58:59], s[74:75]
	s_cselect_b32 s78, -1, 0
	s_cmp_gt_i32 s76, 0
	s_cselect_b32 s79, -1, 0
	s_cmp_gt_i32 s8, 0
	s_cselect_b32 s80, -1, 0
	s_abs_i32 s81, s9
	s_abs_i32 s82, s6
	s_cvt_f32_u32 s4, s81
	s_cvt_f32_u32 s6, s82
	s_abs_i32 s84, s85
	s_abs_i32 s59, s13
	v_rcp_iflag_f32_e32 v1, s4
	s_add_nc_u64 s[4:5], s[20:21], s[34:35]
	s_sub_co_i32 s89, 0, s81
	s_lshl_b64 s[34:35], s[56:57], 2
	s_wait_alu 0xfffe
	s_add_nc_u64 s[4:5], s[4:5], s[44:45]
	s_lshl_b64 s[44:45], s[64:65], 2
	s_abs_i32 s64, s15
	s_wait_alu 0xfffe
	s_add_nc_u64 s[4:5], s[4:5], s[38:39]
	s_lshl_b64 s[38:39], s[66:67], 2
	s_ashr_i32 s67, s14, 31
	v_readfirstlane_b32 s46, v1
	v_rcp_iflag_f32_e32 v1, s6
	s_ashr_i32 s65, s85, 31
	s_and_b32 s58, s88, 0xffff
	s_ashr_i32 s13, s13, 31
	s_mul_f32 s20, s46, 0x4f7ffffe
	s_or_b32 s83, s2, s7
	s_lshl_b64 s[6:7], s[54:55], 2
	s_mul_u64 s[54:55], s[62:63], s[74:75]
	s_cvt_u32_f32 s2, s20
	s_lshl_b64 s[20:21], s[52:53], 2
	s_cvt_f32_u32 s52, s84
	v_readfirstlane_b32 s53, v1
	s_wait_alu 0xfffe
	s_mul_i32 s89, s89, s2
	s_abs_i32 s62, s14
	v_rcp_iflag_f32_e32 v1, s52
	s_mul_hi_u32 s56, s2, s89
	s_mul_f32 s52, s53, 0x4f7ffffe
	s_cvt_f32_u32 s53, s59
	s_lshl_b64 s[46:47], s[60:61], 2
	s_add_co_i32 s61, s2, s56
	s_wait_alu 0xfffe
	s_cvt_u32_f32 s52, s52
	v_rcp_iflag_f32_e32 v2, s53
	s_sub_co_i32 s53, 0, s82
	s_cvt_f32_u32 s56, s62
	s_wait_alu 0xfffe
	s_mul_i32 s53, s53, s52
	v_readfirstlane_b32 s2, v1
	s_wait_alu 0xfffe
	s_mul_hi_u32 s53, s52, s53
	v_rcp_iflag_f32_e32 v1, s56
	s_wait_alu 0xfffe
	s_add_co_i32 s63, s52, s53
	s_cvt_f32_u32 s53, s64
	s_mul_f32 s2, s2, 0x4f7ffffe
	v_readfirstlane_b32 s52, v2
	s_sub_co_i32 s56, 0, s84
	s_wait_alu 0xfffe
	v_rcp_iflag_f32_e32 v2, s53
	s_cvt_u32_f32 s2, s2
	s_sub_co_i32 s53, 0, s59
	s_mul_f32 s52, s52, 0x4f7ffffe
	v_readfirstlane_b32 s57, v1
	s_wait_alu 0xfffe
	s_mul_i32 s56, s56, s2
	s_ashr_i32 s75, s15, 31
	s_cvt_u32_f32 s52, s52
	s_wait_alu 0xfffe
	s_mul_hi_u32 s56, s2, s56
	s_lshl_b64 s[54:55], s[54:55], 2
	s_wait_alu 0xfffe
	s_add_co_i32 s66, s2, s56
	s_mul_f32 s56, s57, 0x4f7ffffe
	v_readfirstlane_b32 s57, v2
	s_mul_i32 s53, s53, s52
	s_ashr_i32 s60, s9, 31
	s_wait_alu 0xfffe
	s_mul_hi_u32 s2, s52, s53
	s_mov_b32 s53, s3
	s_wait_alu 0xfffe
	s_add_co_i32 s52, s52, s2
	s_cvt_u32_f32 s2, s56
	s_mul_f32 s56, s57, 0x4f7ffffe
	s_sub_co_i32 s57, 0, s62
	s_wait_alu 0xfffe
	s_mul_i32 s57, s57, s2
	s_cvt_u32_f32 s56, s56
	s_wait_alu 0xfffe
	s_mul_hi_u32 s14, s2, s57
	s_sub_co_i32 s57, 0, s64
	s_add_co_i32 s74, s2, s14
	s_wait_alu 0xfffe
	s_mul_i32 s57, s57, s56
	s_lshl_b64 s[14:15], s[86:87], 2
	s_wait_alu 0xfffe
	s_mul_hi_u32 s2, s56, s57
	s_add_nc_u64 s[14:15], s[22:23], s[14:15]
	s_mul_u64 s[22:23], s[70:71], s[72:73]
	s_wait_alu 0xfffe
	s_add_co_i32 s85, s56, s2
	s_lshl_b64 s[56:57], s[22:23], 2
	s_lshl_b64 s[22:23], s[48:49], 2
	s_wait_alu 0xfffe
	s_add_nc_u64 s[54:55], s[54:55], s[56:57]
	s_lshl_b64 s[48:49], s[50:51], 2
	s_wait_kmcnt 0x0
	s_add_nc_u64 s[50:51], s[0:1], s[54:55]
	s_lshl_b64 s[54:55], s[68:69], 2
	s_mov_b32 s68, 0
	s_branch .LBB95_3
.LBB95_2:                               ;   in Loop: Header=BB95_3 Depth=1
	s_delay_alu instid0(VALU_DEP_1) | instskip(SKIP_1) | instid1(VALU_DEP_1)
	v_cvt_f32_f64_e32 v1, v[1:2]
	v_add_nc_u32_e32 v0, s58, v0
	v_cmp_le_i32_e32 vcc_lo, s33, v0
	s_or_b32 s68, vcc_lo, s68
	global_store_b32 v[3:4], v1, off
	s_and_not1_b32 exec_lo, exec_lo, s68
	s_cbranch_execz .LBB95_35
.LBB95_3:                               ; =>This Loop Header: Depth=1
                                        ;     Child Loop BB95_8 Depth 2
                                        ;       Child Loop BB95_17 Depth 3
                                        ;         Child Loop BB95_24 Depth 4
                                        ;           Child Loop BB95_31 Depth 5
	v_sub_nc_u32_e32 v1, 0, v0
	s_mov_b32 s56, -1
                                        ; implicit-def: $vgpr16
	s_delay_alu instid0(VALU_DEP_1) | instskip(NEXT) | instid1(VALU_DEP_1)
	v_max_i32_e32 v4, v0, v1
	v_mul_hi_u32 v1, v4, s61
	s_delay_alu instid0(VALU_DEP_1) | instskip(SKIP_1) | instid1(VALU_DEP_2)
	v_mul_lo_u32 v2, v1, s81
	v_add_nc_u32_e32 v3, 1, v1
	v_sub_nc_u32_e32 v2, v4, v2
	s_delay_alu instid0(VALU_DEP_1) | instskip(SKIP_2) | instid1(VALU_DEP_2)
	v_subrev_nc_u32_e32 v5, s81, v2
	v_cmp_le_u32_e32 vcc_lo, s81, v2
	s_wait_alu 0xfffd
	v_dual_cndmask_b32 v3, v1, v3 :: v_dual_cndmask_b32 v2, v2, v5
	v_ashrrev_i32_e32 v1, 31, v0
	s_delay_alu instid0(VALU_DEP_2) | instskip(NEXT) | instid1(VALU_DEP_3)
	v_add_nc_u32_e32 v5, 1, v3
	v_cmp_le_u32_e32 vcc_lo, s81, v2
	s_delay_alu instid0(VALU_DEP_3) | instskip(SKIP_1) | instid1(VALU_DEP_3)
	v_xor_b32_e32 v6, s60, v1
	s_wait_alu 0xfffd
	v_cndmask_b32_e32 v2, v3, v5, vcc_lo
	s_delay_alu instid0(VALU_DEP_1) | instskip(NEXT) | instid1(VALU_DEP_1)
	v_xor_b32_e32 v2, v2, v6
	v_sub_nc_u32_e32 v2, v2, v6
	s_delay_alu instid0(VALU_DEP_1) | instskip(SKIP_1) | instid1(VALU_DEP_2)
	v_sub_nc_u32_e32 v3, 0, v2
	v_mul_lo_u32 v8, v2, s9
	v_max_i32_e32 v5, v2, v3
	v_mul_hi_u32 v3, v4, s66
	s_delay_alu instid0(VALU_DEP_3) | instskip(NEXT) | instid1(VALU_DEP_3)
	v_sub_nc_u32_e32 v15, v0, v8
	v_mul_hi_u32 v6, v5, s63
	s_delay_alu instid0(VALU_DEP_3) | instskip(NEXT) | instid1(VALU_DEP_2)
	v_mul_lo_u32 v7, v3, s84
	v_mul_lo_u32 v6, v6, s82
	s_delay_alu instid0(VALU_DEP_1) | instskip(NEXT) | instid1(VALU_DEP_3)
	v_sub_nc_u32_e32 v5, v5, v6
	v_sub_nc_u32_e32 v6, v4, v7
	s_delay_alu instid0(VALU_DEP_2) | instskip(NEXT) | instid1(VALU_DEP_2)
	v_subrev_nc_u32_e32 v4, s82, v5
	v_subrev_nc_u32_e32 v7, s84, v6
	v_cmp_le_u32_e32 vcc_lo, s82, v5
	v_cmp_le_u32_e64 s0, s84, v6
	s_wait_alu 0xfffd
	v_cndmask_b32_e32 v4, v5, v4, vcc_lo
	s_wait_alu 0xf1ff
	s_delay_alu instid0(VALU_DEP_2) | instskip(SKIP_1) | instid1(VALU_DEP_2)
	v_cndmask_b32_e64 v5, v6, v7, s0
	s_and_not1_b32 vcc_lo, exec_lo, s77
	v_cmp_le_u32_e64 s2, s82, v4
	s_delay_alu instid0(VALU_DEP_2)
	v_cmp_le_u32_e64 s1, s84, v5
	s_wait_alu 0xfffe
	s_cbranch_vccnz .LBB95_5
; %bb.4:                                ;   in Loop: Header=BB95_3 Depth=1
	v_ashrrev_i32_e32 v16, 31, v15
	s_mov_b32 s56, 0
.LBB95_5:                               ;   in Loop: Header=BB95_3 Depth=1
	v_add_nc_u32_e32 v5, 1, v3
	v_ashrrev_i32_e32 v2, 31, v2
	s_wait_alu 0xfffe
	s_and_not1_b32 vcc_lo, exec_lo, s56
	s_delay_alu instid0(VALU_DEP_2) | instskip(SKIP_1) | instid1(VALU_DEP_2)
	v_cndmask_b32_e64 v3, v3, v5, s0
	v_subrev_nc_u32_e32 v5, s82, v4
	v_add_nc_u32_e32 v6, 1, v3
	s_delay_alu instid0(VALU_DEP_2) | instskip(SKIP_1) | instid1(VALU_DEP_3)
	v_cndmask_b32_e64 v4, v4, v5, s2
	v_xor_b32_e32 v5, s65, v1
	v_cndmask_b32_e64 v1, v3, v6, s1
	s_delay_alu instid0(VALU_DEP_3) | instskip(NEXT) | instid1(VALU_DEP_2)
	v_xor_b32_e32 v3, v4, v2
	v_xor_b32_e32 v4, v1, v5
	s_delay_alu instid0(VALU_DEP_2) | instskip(SKIP_2) | instid1(VALU_DEP_4)
	v_sub_nc_u32_e32 v17, v3, v2
	v_mov_b32_e32 v1, 0
	v_mov_b32_e32 v2, 0
	v_sub_nc_u32_e32 v18, v4, v5
	s_wait_alu 0xfffe
	s_cbranch_vccnz .LBB95_33
; %bb.6:                                ;   in Loop: Header=BB95_3 Depth=1
	v_ashrrev_i32_e32 v16, 31, v15
	v_mad_co_u64_u32 v[3:4], null, s22, v15, s[14:15]
	v_mul_lo_u32 v5, s23, v15
	v_dual_mov_b32 v1, 0 :: v_dual_add_nc_u32 v20, s29, v17
	s_delay_alu instid0(VALU_DEP_4) | instskip(SKIP_2) | instid1(VALU_DEP_2)
	v_mul_lo_u32 v6, s22, v16
	v_dual_mov_b32 v2, 0 :: v_dual_add_nc_u32 v19, s28, v18
	s_mov_b32 s69, 0
	v_add3_u32 v4, v5, v4, v6
	s_branch .LBB95_8
.LBB95_7:                               ;   in Loop: Header=BB95_8 Depth=2
	v_add_co_u32 v3, vcc_lo, v3, s6
	s_wait_alu 0xfffd
	v_add_co_ci_u32_e64 v4, null, s7, v4, vcc_lo
	s_add_co_i32 s69, s69, 1
	s_delay_alu instid0(SALU_CYCLE_1)
	s_cmp_eq_u32 s69, s30
	s_cbranch_scc1 .LBB95_33
.LBB95_8:                               ;   Parent Loop BB95_3 Depth=1
                                        ; =>  This Loop Header: Depth=2
                                        ;       Child Loop BB95_17 Depth 3
                                        ;         Child Loop BB95_24 Depth 4
                                        ;           Child Loop BB95_31 Depth 5
	s_mul_i32 s0, s16, s69
	s_mov_b32 s71, -1
	s_wait_alu 0xfffe
	s_sub_co_i32 s57, s19, s0
	s_mov_b32 s70, 0
	s_wait_alu 0xfffe
	s_cmp_gt_i32 s57, -1
                                        ; implicit-def: $sgpr2
                                        ; implicit-def: $sgpr1
                                        ; implicit-def: $sgpr0
                                        ; implicit-def: $sgpr56
	s_cbranch_scc1 .LBB95_12
; %bb.9:                                ;   in Loop: Header=BB95_8 Depth=2
	s_and_not1_b32 vcc_lo, exec_lo, s71
	s_wait_alu 0xfffe
	s_cbranch_vccz .LBB95_13
.LBB95_10:                              ;   in Loop: Header=BB95_8 Depth=2
	s_and_not1_b32 vcc_lo, exec_lo, s70
	s_mov_b32 s57, 1
	s_wait_alu 0xfffe
	s_cbranch_vccz .LBB95_14
; %bb.11:                               ;   in Loop: Header=BB95_8 Depth=2
	s_and_not1_b32 vcc_lo, exec_lo, s78
	s_wait_alu 0xfffe
	s_cbranch_vccz .LBB95_15
	s_branch .LBB95_7
.LBB95_12:                              ;   in Loop: Header=BB95_8 Depth=2
	s_abs_i32 s2, s57
	s_wait_alu 0xfffe
	s_mul_u64 s[0:1], s[2:3], s[52:53]
	s_wait_alu 0xfffe
	s_mul_i32 s0, s1, s59
	s_wait_alu 0xfffe
	s_sub_co_i32 s0, s2, s0
	s_ashr_i32 s2, s57, 31
	s_wait_alu 0xfffe
	s_sub_co_i32 s56, s0, s59
	s_cmp_ge_u32 s0, s59
	s_wait_alu 0xfffe
	s_cselect_b32 s70, s56, s0
	s_delay_alu instid0(SALU_CYCLE_1) | instskip(SKIP_2) | instid1(SALU_CYCLE_1)
	s_sub_co_i32 s71, s70, s59
	s_cmp_ge_u32 s70, s59
	s_cselect_b32 s70, s71, s70
	s_xor_b32 s70, s70, s2
	s_delay_alu instid0(SALU_CYCLE_1) | instskip(NEXT) | instid1(SALU_CYCLE_1)
	s_sub_co_i32 s70, s70, s2
	s_cmp_lg_u32 s70, 0
	s_cselect_b32 s70, -1, 0
	s_cbranch_execnz .LBB95_10
.LBB95_13:                              ;   in Loop: Header=BB95_8 Depth=2
	s_abs_i32 s2, s57
	s_wait_alu 0xfffe
	s_mul_u64 s[0:1], s[2:3], s[52:53]
	s_wait_alu 0xfffe
	s_mul_i32 s0, s1, s59
	s_wait_alu 0xfffe
	s_sub_co_i32 s0, s2, s0
	s_ashr_i32 s2, s57, 31
	s_wait_alu 0xfffe
	s_sub_co_i32 s56, s0, s59
	s_mov_b32 s57, 1
.LBB95_14:                              ;   in Loop: Header=BB95_8 Depth=2
	s_mov_b32 s57, 0
	s_and_not1_b32 vcc_lo, exec_lo, s78
	s_wait_alu 0xfffe
	s_cbranch_vccnz .LBB95_7
.LBB95_15:                              ;   in Loop: Header=BB95_8 Depth=2
	s_xor_b32 s2, s2, s13
	s_add_co_i32 s70, s1, 1
	s_cmp_ge_u32 s0, s59
	v_dual_mov_b32 v6, v4 :: v_dual_mov_b32 v5, v3
	s_cselect_b32 s1, s70, s1
	s_cselect_b32 s0, s56, s0
	s_wait_alu 0xfffe
	s_add_co_i32 s56, s1, 1
	s_cmp_ge_u32 s0, s59
	s_wait_alu 0xfffe
	s_cselect_b32 s0, s56, s1
	s_wait_alu 0xfffe
	s_xor_b32 s0, s0, s2
	s_wait_alu 0xfffe
	s_sub_co_i32 s56, s0, s2
	s_mov_b32 s2, 0
	s_wait_alu 0xfffe
	s_cmp_lt_i32 s56, s10
	s_cselect_b32 s1, s57, 0
	s_ashr_i32 s57, s56, 31
	s_wait_alu 0xfffe
	s_mul_u64 s[56:57], s[54:55], s[56:57]
	s_wait_alu 0xfffe
	s_add_nc_u64 s[56:57], s[50:51], s[56:57]
	s_branch .LBB95_17
.LBB95_16:                              ;   in Loop: Header=BB95_17 Depth=3
	v_add_co_u32 v5, vcc_lo, v5, s20
	s_wait_alu 0xfffd
	v_add_co_ci_u32_e64 v6, null, s21, v6, vcc_lo
	s_add_co_i32 s2, s2, 1
	s_wait_alu 0xfffe
	s_cmp_eq_u32 s2, s31
	s_cbranch_scc1 .LBB95_7
.LBB95_17:                              ;   Parent Loop BB95_3 Depth=1
                                        ;     Parent Loop BB95_8 Depth=2
                                        ; =>    This Loop Header: Depth=3
                                        ;         Child Loop BB95_24 Depth 4
                                        ;           Child Loop BB95_31 Depth 5
	s_mul_i32 s0, s17, s2
	s_mov_b32 s70, exec_lo
	s_wait_alu 0xfffe
	v_subrev_nc_u32_e32 v8, s0, v19
	s_delay_alu instid0(VALU_DEP_1)
	v_cmp_gt_i32_e64 s0, 0, v8
	v_ashrrev_i32_e32 v7, 31, v8
	v_sub_nc_u32_e32 v9, 0, v8
	v_cmpx_lt_i32_e32 -1, v8
	s_cbranch_execnz .LBB95_20
; %bb.18:                               ;   in Loop: Header=BB95_17 Depth=3
	s_or_b32 exec_lo, exec_lo, s70
	v_mov_b32_e32 v10, 1
	s_and_saveexec_b32 s70, s0
	s_cbranch_execnz .LBB95_21
.LBB95_19:                              ;   in Loop: Header=BB95_17 Depth=3
	s_or_b32 exec_lo, exec_lo, s70
	s_delay_alu instid0(SALU_CYCLE_1)
	s_and_not1_b32 vcc_lo, exec_lo, s79
	s_wait_alu 0xfffe
	s_cbranch_vccz .LBB95_22
	s_branch .LBB95_16
.LBB95_20:                              ;   in Loop: Header=BB95_17 Depth=3
	s_delay_alu instid0(VALU_DEP_2) | instskip(SKIP_1) | instid1(VALU_DEP_1)
	v_max_i32_e32 v10, v8, v9
	s_and_not1_b32 s0, s0, exec_lo
	v_mul_hi_u32 v11, v10, s74
	s_delay_alu instid0(VALU_DEP_1) | instskip(NEXT) | instid1(VALU_DEP_1)
	v_mul_lo_u32 v11, v11, s62
	v_sub_nc_u32_e32 v10, v10, v11
	s_delay_alu instid0(VALU_DEP_1) | instskip(SKIP_2) | instid1(VALU_DEP_2)
	v_subrev_nc_u32_e32 v11, s62, v10
	v_cmp_le_u32_e32 vcc_lo, s62, v10
	s_wait_alu 0xfffd
	v_cndmask_b32_e32 v10, v10, v11, vcc_lo
	s_delay_alu instid0(VALU_DEP_1) | instskip(SKIP_2) | instid1(VALU_DEP_2)
	v_subrev_nc_u32_e32 v11, s62, v10
	v_cmp_le_u32_e32 vcc_lo, s62, v10
	s_wait_alu 0xfffd
	v_cndmask_b32_e32 v10, v10, v11, vcc_lo
	s_delay_alu instid0(VALU_DEP_1) | instskip(NEXT) | instid1(VALU_DEP_1)
	v_xor_b32_e32 v10, v10, v7
	v_sub_nc_u32_e32 v10, v10, v7
	s_delay_alu instid0(VALU_DEP_1)
	v_cmp_ne_u32_e32 vcc_lo, 0, v10
	s_and_b32 s71, vcc_lo, exec_lo
	s_wait_alu 0xfffe
	s_or_b32 s0, s0, s71
	s_or_b32 exec_lo, exec_lo, s70
	v_mov_b32_e32 v10, 1
	s_wait_alu 0xfffe
	s_and_saveexec_b32 s70, s0
	s_cbranch_execz .LBB95_19
.LBB95_21:                              ;   in Loop: Header=BB95_17 Depth=3
	v_mov_b32_e32 v10, 0
	s_or_b32 exec_lo, exec_lo, s70
	s_delay_alu instid0(SALU_CYCLE_1)
	s_and_not1_b32 vcc_lo, exec_lo, s79
	s_wait_alu 0xfffe
	s_cbranch_vccnz .LBB95_16
.LBB95_22:                              ;   in Loop: Header=BB95_17 Depth=3
	v_max_i32_e32 v8, v8, v9
	v_xor_b32_e32 v7, s67, v7
	s_mov_b32 s70, 0
	s_delay_alu instid0(VALU_DEP_2) | instskip(NEXT) | instid1(VALU_DEP_1)
	v_mul_hi_u32 v9, v8, s74
	v_mul_lo_u32 v11, v9, s62
	s_delay_alu instid0(VALU_DEP_1) | instskip(NEXT) | instid1(VALU_DEP_1)
	v_sub_nc_u32_e32 v8, v8, v11
	v_subrev_nc_u32_e32 v12, s62, v8
	v_cmp_le_u32_e32 vcc_lo, s62, v8
	s_wait_alu 0xfffd
	s_delay_alu instid0(VALU_DEP_2) | instskip(NEXT) | instid1(VALU_DEP_1)
	v_dual_cndmask_b32 v8, v8, v12 :: v_dual_add_nc_u32 v11, 1, v9
	v_cndmask_b32_e32 v9, v9, v11, vcc_lo
	s_delay_alu instid0(VALU_DEP_2) | instskip(NEXT) | instid1(VALU_DEP_2)
	v_cmp_le_u32_e32 vcc_lo, s62, v8
	v_add_nc_u32_e32 v11, 1, v9
	s_wait_alu 0xfffd
	s_delay_alu instid0(VALU_DEP_1) | instskip(NEXT) | instid1(VALU_DEP_1)
	v_cndmask_b32_e32 v8, v9, v11, vcc_lo
	v_xor_b32_e32 v8, v8, v7
	s_delay_alu instid0(VALU_DEP_1) | instskip(NEXT) | instid1(VALU_DEP_1)
	v_sub_nc_u32_e32 v9, v8, v7
	v_ashrrev_i32_e32 v11, 31, v9
	v_cmp_gt_i32_e32 vcc_lo, s11, v9
	v_mul_lo_u32 v12, s39, v9
	v_mad_co_u64_u32 v[7:8], null, s38, v9, s[56:57]
	s_delay_alu instid0(VALU_DEP_4) | instskip(SKIP_2) | instid1(VALU_DEP_1)
	v_mul_lo_u32 v11, s38, v11
	s_wait_alu 0xfffd
	v_cndmask_b32_e32 v9, 0, v10, vcc_lo
	v_dual_mov_b32 v10, v6 :: v_dual_and_b32 v21, s1, v9
	s_delay_alu instid0(VALU_DEP_3)
	v_add3_u32 v8, v12, v8, v11
	v_mov_b32_e32 v9, v5
	s_branch .LBB95_24
.LBB95_23:                              ;   in Loop: Header=BB95_24 Depth=4
	v_add_co_u32 v9, vcc_lo, v9, s48
	s_wait_alu 0xfffd
	v_add_co_ci_u32_e64 v10, null, s49, v10, vcc_lo
	s_add_co_i32 s70, s70, 1
	s_delay_alu instid0(SALU_CYCLE_1)
	s_cmp_eq_u32 s70, s76
	s_cbranch_scc1 .LBB95_16
.LBB95_24:                              ;   Parent Loop BB95_3 Depth=1
                                        ;     Parent Loop BB95_8 Depth=2
                                        ;       Parent Loop BB95_17 Depth=3
                                        ; =>      This Loop Header: Depth=4
                                        ;           Child Loop BB95_31 Depth 5
	s_mul_i32 s0, s18, s70
	s_wait_alu 0xfffe
	v_subrev_nc_u32_e32 v12, s0, v20
	s_delay_alu instid0(VALU_DEP_1) | instskip(SKIP_3) | instid1(VALU_DEP_4)
	v_sub_nc_u32_e32 v13, 0, v12
	v_cmp_gt_i32_e64 s0, 0, v12
	v_cmp_lt_i32_e32 vcc_lo, -1, v12
	v_ashrrev_i32_e32 v11, 31, v12
	v_max_i32_e32 v12, v12, v13
	s_and_saveexec_b32 s71, vcc_lo
	s_cbranch_execnz .LBB95_27
; %bb.25:                               ;   in Loop: Header=BB95_24 Depth=4
	s_or_b32 exec_lo, exec_lo, s71
	v_mov_b32_e32 v13, 1
	s_and_saveexec_b32 s71, s0
	s_cbranch_execnz .LBB95_28
.LBB95_26:                              ;   in Loop: Header=BB95_24 Depth=4
	s_or_b32 exec_lo, exec_lo, s71
	s_delay_alu instid0(SALU_CYCLE_1)
	s_and_not1_b32 vcc_lo, exec_lo, s80
	s_wait_alu 0xfffe
	s_cbranch_vccz .LBB95_29
	s_branch .LBB95_23
.LBB95_27:                              ;   in Loop: Header=BB95_24 Depth=4
	s_delay_alu instid0(VALU_DEP_1) | instskip(SKIP_1) | instid1(VALU_DEP_1)
	v_mul_hi_u32 v13, v12, s85
	s_and_not1_b32 s0, s0, exec_lo
	v_mul_lo_u32 v13, v13, s64
	s_delay_alu instid0(VALU_DEP_1) | instskip(NEXT) | instid1(VALU_DEP_1)
	v_sub_nc_u32_e32 v13, v12, v13
	v_subrev_nc_u32_e32 v14, s64, v13
	v_cmp_le_u32_e32 vcc_lo, s64, v13
	s_wait_alu 0xfffd
	s_delay_alu instid0(VALU_DEP_2) | instskip(NEXT) | instid1(VALU_DEP_1)
	v_cndmask_b32_e32 v13, v13, v14, vcc_lo
	v_subrev_nc_u32_e32 v14, s64, v13
	v_cmp_le_u32_e32 vcc_lo, s64, v13
	s_wait_alu 0xfffd
	s_delay_alu instid0(VALU_DEP_2) | instskip(NEXT) | instid1(VALU_DEP_1)
	v_cndmask_b32_e32 v13, v13, v14, vcc_lo
	v_xor_b32_e32 v13, v13, v11
	s_delay_alu instid0(VALU_DEP_1) | instskip(NEXT) | instid1(VALU_DEP_1)
	v_sub_nc_u32_e32 v13, v13, v11
	v_cmp_ne_u32_e32 vcc_lo, 0, v13
	s_and_b32 s72, vcc_lo, exec_lo
	s_wait_alu 0xfffe
	s_or_b32 s0, s0, s72
	s_or_b32 exec_lo, exec_lo, s71
	v_mov_b32_e32 v13, 1
	s_wait_alu 0xfffe
	s_and_saveexec_b32 s71, s0
	s_cbranch_execz .LBB95_26
.LBB95_28:                              ;   in Loop: Header=BB95_24 Depth=4
	v_mov_b32_e32 v13, 0
	s_or_b32 exec_lo, exec_lo, s71
	s_delay_alu instid0(SALU_CYCLE_1)
	s_and_not1_b32 vcc_lo, exec_lo, s80
	s_wait_alu 0xfffe
	s_cbranch_vccnz .LBB95_23
.LBB95_29:                              ;   in Loop: Header=BB95_24 Depth=4
	v_mul_hi_u32 v14, v12, s85
	v_xor_b32_e32 v11, s75, v11
	s_mov_b32 s71, s8
	s_delay_alu instid0(VALU_DEP_2) | instskip(NEXT) | instid1(VALU_DEP_1)
	v_mul_lo_u32 v22, v14, s64
	v_sub_nc_u32_e32 v12, v12, v22
	v_add_nc_u32_e32 v22, 1, v14
	s_delay_alu instid0(VALU_DEP_2) | instskip(SKIP_2) | instid1(VALU_DEP_3)
	v_subrev_nc_u32_e32 v23, s64, v12
	v_cmp_le_u32_e32 vcc_lo, s64, v12
	s_wait_alu 0xfffd
	v_cndmask_b32_e32 v14, v14, v22, vcc_lo
	s_delay_alu instid0(VALU_DEP_3) | instskip(NEXT) | instid1(VALU_DEP_2)
	v_cndmask_b32_e32 v12, v12, v23, vcc_lo
	v_add_nc_u32_e32 v22, 1, v14
	s_delay_alu instid0(VALU_DEP_2) | instskip(SKIP_1) | instid1(VALU_DEP_2)
	v_cmp_le_u32_e32 vcc_lo, s64, v12
	s_wait_alu 0xfffd
	v_cndmask_b32_e32 v12, v14, v22, vcc_lo
	s_delay_alu instid0(VALU_DEP_1) | instskip(NEXT) | instid1(VALU_DEP_1)
	v_xor_b32_e32 v12, v12, v11
	v_sub_nc_u32_e32 v11, v12, v11
	s_delay_alu instid0(VALU_DEP_1)
	v_cmp_gt_i32_e32 vcc_lo, s12, v11
	v_ashrrev_i32_e32 v14, 31, v11
	v_mul_lo_u32 v22, s45, v11
	v_mad_co_u64_u32 v[11:12], null, s44, v11, v[7:8]
	s_wait_alu 0xfffd
	v_cndmask_b32_e32 v13, 0, v13, vcc_lo
	v_mul_lo_u32 v14, s44, v14
	s_delay_alu instid0(VALU_DEP_2) | instskip(NEXT) | instid1(VALU_DEP_2)
	v_and_b32_e32 v13, v21, v13
	v_add3_u32 v12, v22, v12, v14
	s_delay_alu instid0(VALU_DEP_2) | instskip(NEXT) | instid1(VALU_DEP_1)
	v_and_b32_e32 v13, 1, v13
	v_cmp_eq_u32_e32 vcc_lo, 1, v13
	v_dual_mov_b32 v14, v10 :: v_dual_mov_b32 v13, v9
	s_branch .LBB95_31
.LBB95_30:                              ;   in Loop: Header=BB95_31 Depth=5
	s_wait_alu 0xfffe
	s_or_b32 exec_lo, exec_lo, s0
	v_add_co_u32 v13, s0, v13, s34
	s_wait_alu 0xf1ff
	v_add_co_ci_u32_e64 v14, null, s35, v14, s0
	v_add_co_u32 v11, s0, v11, s46
	s_wait_alu 0xf1ff
	v_add_co_ci_u32_e64 v12, null, s47, v12, s0
	s_add_co_i32 s71, s71, -1
	s_delay_alu instid0(SALU_CYCLE_1)
	s_cmp_eq_u32 s71, 0
	s_cbranch_scc1 .LBB95_23
.LBB95_31:                              ;   Parent Loop BB95_3 Depth=1
                                        ;     Parent Loop BB95_8 Depth=2
                                        ;       Parent Loop BB95_17 Depth=3
                                        ;         Parent Loop BB95_24 Depth=4
                                        ; =>        This Inner Loop Header: Depth=5
	s_and_saveexec_b32 s0, vcc_lo
	s_cbranch_execz .LBB95_30
; %bb.32:                               ;   in Loop: Header=BB95_31 Depth=5
	global_load_b32 v22, v[11:12], off
	global_load_b32 v23, v[13:14], off
	s_wait_loadcnt 0x1
	v_and_b32_e32 v22, 0xffffe000, v22
	s_wait_loadcnt 0x0
	v_and_b32_e32 v24, 0xffffe000, v23
	s_delay_alu instid0(VALU_DEP_2) | instskip(NEXT) | instid1(VALU_DEP_2)
	v_cvt_f64_f32_e32 v[22:23], v22
	v_cvt_f64_f32_e32 v[24:25], v24
	s_delay_alu instid0(VALU_DEP_1)
	v_fma_f64 v[1:2], v[22:23], v[24:25], v[1:2]
	s_branch .LBB95_30
.LBB95_33:                              ;   in Loop: Header=BB95_3 Depth=1
	s_delay_alu instid0(VALU_DEP_1) | instskip(SKIP_3) | instid1(VALU_DEP_4)
	v_ashrrev_i32_e32 v5, 31, v18
	v_mul_lo_u32 v7, s43, v18
	v_mad_co_u64_u32 v[3:4], null, s42, v18, 0
	v_ashrrev_i32_e32 v9, 31, v17
	v_mul_lo_u32 v8, s42, v5
	v_mul_lo_u32 v10, s41, v17
	v_mad_co_u64_u32 v[5:6], null, s40, v17, 0
	s_delay_alu instid0(VALU_DEP_4)
	v_mul_lo_u32 v9, s40, v9
	v_mul_lo_u32 v11, v16, s36
	;; [unrolled: 1-line block ×3, first 2 shown]
	v_add3_u32 v4, v4, v8, v7
	v_mad_co_u64_u32 v[7:8], null, v15, s36, 0
	v_add3_u32 v6, v6, v9, v10
	s_delay_alu instid0(VALU_DEP_3) | instskip(NEXT) | instid1(VALU_DEP_2)
	v_lshlrev_b64_e32 v[3:4], 2, v[3:4]
	v_lshlrev_b64_e32 v[5:6], 2, v[5:6]
	s_delay_alu instid0(VALU_DEP_4) | instskip(NEXT) | instid1(VALU_DEP_3)
	v_add3_u32 v8, v8, v12, v11
	v_add_co_u32 v9, vcc_lo, s4, v3
	s_wait_alu 0xfffd
	s_delay_alu instid0(VALU_DEP_4) | instskip(NEXT) | instid1(VALU_DEP_3)
	v_add_co_ci_u32_e64 v10, null, s5, v4, vcc_lo
	v_lshlrev_b64_e32 v[3:4], 2, v[7:8]
	s_delay_alu instid0(VALU_DEP_3) | instskip(SKIP_1) | instid1(VALU_DEP_3)
	v_add_co_u32 v5, vcc_lo, v9, v5
	s_wait_alu 0xfffd
	v_add_co_ci_u32_e64 v6, null, v10, v6, vcc_lo
	s_delay_alu instid0(VALU_DEP_2) | instskip(SKIP_1) | instid1(VALU_DEP_2)
	v_add_co_u32 v3, vcc_lo, v5, v3
	s_wait_alu 0xfffd
	v_add_co_ci_u32_e64 v4, null, v6, v4, vcc_lo
	s_and_not1_b32 vcc_lo, exec_lo, s83
	s_wait_alu 0xfffe
	s_cbranch_vccnz .LBB95_2
; %bb.34:                               ;   in Loop: Header=BB95_3 Depth=1
	global_load_b32 v5, v[3:4], off
	s_wait_loadcnt 0x0
	v_cvt_f64_f32_e32 v[5:6], v5
	s_delay_alu instid0(VALU_DEP_1) | instskip(NEXT) | instid1(VALU_DEP_1)
	v_mul_f64_e32 v[5:6], s[26:27], v[5:6]
	v_fma_f64 v[1:2], s[24:25], v[1:2], v[5:6]
	s_branch .LBB95_2
.LBB95_35:
	s_endpgm
	.section	.rodata,"a",@progbits
	.p2align	6, 0x0
	.amdhsa_kernel naive_conv_ab_nonpacked_bwd_ndhwc_float_double_float_1
		.amdhsa_group_segment_fixed_size 0
		.amdhsa_private_segment_fixed_size 0
		.amdhsa_kernarg_size 528
		.amdhsa_user_sgpr_count 2
		.amdhsa_user_sgpr_dispatch_ptr 0
		.amdhsa_user_sgpr_queue_ptr 0
		.amdhsa_user_sgpr_kernarg_segment_ptr 1
		.amdhsa_user_sgpr_dispatch_id 0
		.amdhsa_user_sgpr_private_segment_size 0
		.amdhsa_wavefront_size32 1
		.amdhsa_uses_dynamic_stack 0
		.amdhsa_enable_private_segment 0
		.amdhsa_system_sgpr_workgroup_id_x 1
		.amdhsa_system_sgpr_workgroup_id_y 0
		.amdhsa_system_sgpr_workgroup_id_z 0
		.amdhsa_system_sgpr_workgroup_info 0
		.amdhsa_system_vgpr_workitem_id 0
		.amdhsa_next_free_vgpr 26
		.amdhsa_next_free_sgpr 90
		.amdhsa_reserve_vcc 1
		.amdhsa_float_round_mode_32 0
		.amdhsa_float_round_mode_16_64 0
		.amdhsa_float_denorm_mode_32 3
		.amdhsa_float_denorm_mode_16_64 3
		.amdhsa_fp16_overflow 0
		.amdhsa_workgroup_processor_mode 1
		.amdhsa_memory_ordered 1
		.amdhsa_forward_progress 1
		.amdhsa_inst_pref_size 26
		.amdhsa_round_robin_scheduling 0
		.amdhsa_exception_fp_ieee_invalid_op 0
		.amdhsa_exception_fp_denorm_src 0
		.amdhsa_exception_fp_ieee_div_zero 0
		.amdhsa_exception_fp_ieee_overflow 0
		.amdhsa_exception_fp_ieee_underflow 0
		.amdhsa_exception_fp_ieee_inexact 0
		.amdhsa_exception_int_div_zero 0
	.end_amdhsa_kernel
	.text
.Lfunc_end95:
	.size	naive_conv_ab_nonpacked_bwd_ndhwc_float_double_float_1, .Lfunc_end95-naive_conv_ab_nonpacked_bwd_ndhwc_float_double_float_1
                                        ; -- End function
	.set naive_conv_ab_nonpacked_bwd_ndhwc_float_double_float_1.num_vgpr, 26
	.set naive_conv_ab_nonpacked_bwd_ndhwc_float_double_float_1.num_agpr, 0
	.set naive_conv_ab_nonpacked_bwd_ndhwc_float_double_float_1.numbered_sgpr, 90
	.set naive_conv_ab_nonpacked_bwd_ndhwc_float_double_float_1.num_named_barrier, 0
	.set naive_conv_ab_nonpacked_bwd_ndhwc_float_double_float_1.private_seg_size, 0
	.set naive_conv_ab_nonpacked_bwd_ndhwc_float_double_float_1.uses_vcc, 1
	.set naive_conv_ab_nonpacked_bwd_ndhwc_float_double_float_1.uses_flat_scratch, 0
	.set naive_conv_ab_nonpacked_bwd_ndhwc_float_double_float_1.has_dyn_sized_stack, 0
	.set naive_conv_ab_nonpacked_bwd_ndhwc_float_double_float_1.has_recursion, 0
	.set naive_conv_ab_nonpacked_bwd_ndhwc_float_double_float_1.has_indirect_call, 0
	.section	.AMDGPU.csdata,"",@progbits
; Kernel info:
; codeLenInByte = 3236
; TotalNumSgprs: 92
; NumVgprs: 26
; ScratchSize: 0
; MemoryBound: 0
; FloatMode: 240
; IeeeMode: 1
; LDSByteSize: 0 bytes/workgroup (compile time only)
; SGPRBlocks: 0
; VGPRBlocks: 3
; NumSGPRsForWavesPerEU: 92
; NumVGPRsForWavesPerEU: 26
; Occupancy: 16
; WaveLimiterHint : 1
; COMPUTE_PGM_RSRC2:SCRATCH_EN: 0
; COMPUTE_PGM_RSRC2:USER_SGPR: 2
; COMPUTE_PGM_RSRC2:TRAP_HANDLER: 0
; COMPUTE_PGM_RSRC2:TGID_X_EN: 1
; COMPUTE_PGM_RSRC2:TGID_Y_EN: 0
; COMPUTE_PGM_RSRC2:TGID_Z_EN: 0
; COMPUTE_PGM_RSRC2:TIDIG_COMP_CNT: 0
	.text
	.protected	naive_conv_ab_packed_bwd_ndhwc_half_double_half_0 ; -- Begin function naive_conv_ab_packed_bwd_ndhwc_half_double_half_0
	.globl	naive_conv_ab_packed_bwd_ndhwc_half_double_half_0
	.p2align	8
	.type	naive_conv_ab_packed_bwd_ndhwc_half_double_half_0,@function
naive_conv_ab_packed_bwd_ndhwc_half_double_half_0: ; @naive_conv_ab_packed_bwd_ndhwc_half_double_half_0
; %bb.0:
	s_load_b512 s[4:19], s[0:1], 0xb8
	s_mov_b32 s25, exec_lo
	s_wait_kmcnt 0x0
	s_abs_i32 s3, s4
	s_mul_i32 s54, s9, s6
	s_cvt_f32_u32 s2, s3
	s_mul_i32 s33, s54, s5
	s_delay_alu instid0(SALU_CYCLE_2) | instskip(NEXT) | instid1(TRANS32_DEP_1)
	v_rcp_iflag_f32_e32 v1, s2
	v_readfirstlane_b32 s2, v1
	s_mul_f32 s2, s2, 0x4f7ffffe
	s_wait_alu 0xfffe
	s_delay_alu instid0(SALU_CYCLE_2) | instskip(SKIP_2) | instid1(SALU_CYCLE_1)
	s_cvt_u32_f32 s20, s2
	s_sub_co_i32 s2, 0, s3
	s_wait_alu 0xfffe
	s_mul_i32 s2, s2, s20
	s_wait_alu 0xfffe
	s_mul_hi_u32 s21, s20, s2
	s_abs_i32 s2, ttmp9
	s_add_co_i32 s20, s20, s21
	s_wait_alu 0xfffe
	s_mul_hi_u32 s20, s2, s20
	s_delay_alu instid0(SALU_CYCLE_1) | instskip(SKIP_2) | instid1(SALU_CYCLE_1)
	s_mul_i32 s21, s20, s3
	s_add_co_i32 s22, s20, 1
	s_sub_co_i32 s21, s2, s21
	s_sub_co_i32 s23, s21, s3
	s_cmp_ge_u32 s21, s3
	s_cselect_b32 s20, s22, s20
	s_cselect_b32 s21, s23, s21
	s_add_co_i32 s22, s20, 1
	s_cmp_ge_u32 s21, s3
	s_mul_i32 s21, s7, s4
	s_cselect_b32 s22, s22, s20
	s_abs_i32 s20, s7
	s_abs_i32 s7, s21
	s_cvt_f32_u32 s3, s20
	s_cvt_f32_u32 s23, s7
	s_wait_alu 0xfffe
	s_delay_alu instid0(SALU_CYCLE_1) | instskip(NEXT) | instid1(SALU_CYCLE_1)
	v_rcp_iflag_f32_e32 v1, s3
	v_rcp_iflag_f32_e32 v2, s23
	s_mov_b32 s3, 0
	s_delay_alu instid0(TRANS32_DEP_2) | instskip(NEXT) | instid1(TRANS32_DEP_1)
	v_readfirstlane_b32 s24, v1
	v_readfirstlane_b32 s23, v2
	v_cmpx_gt_i32_e64 s33, v0
	s_cbranch_execz .LBB96_37
; %bb.1:
	s_mul_f32 s24, s24, 0x4f7ffffe
	s_ashr_i32 s26, ttmp9, 31
	s_ashr_i32 s39, s4, 31
	s_sub_co_i32 s25, 0, s20
	s_cvt_u32_f32 s24, s24
	s_xor_b32 s27, s26, s39
	s_mul_f32 s28, s23, 0x4f7ffffe
	s_xor_b32 s22, s22, s27
	s_mul_i32 s25, s25, s24
	s_wait_alu 0xfffe
	s_sub_co_i32 s27, s22, s27
	s_mul_hi_u32 s23, s24, s25
	s_abs_i32 s22, s27
	s_wait_alu 0xfffe
	s_add_co_i32 s24, s24, s23
	s_mov_b32 s23, s3
	s_cvt_u32_f32 s28, s28
	s_mov_b32 s25, s3
	s_sub_co_i32 s29, 0, s7
	s_wait_alu 0xfffe
	s_mul_u64 s[24:25], s[22:23], s[24:25]
	s_mul_i32 s29, s29, s28
	s_mul_i32 s25, s25, s20
	s_ashr_i32 s23, s27, 31
	s_mul_hi_u32 s24, s28, s29
	s_mul_i32 s27, s27, s4
	s_sub_co_i32 s22, s22, s25
	s_ashr_i32 s21, s21, 31
	s_add_co_i32 s24, s28, s24
	s_sub_co_i32 s40, ttmp9, s27
	s_wait_alu 0xfffe
	s_sub_co_i32 s27, s22, s20
	s_cmp_ge_u32 s22, s20
	s_mov_b32 s25, s3
	s_cselect_b32 s22, s27, s22
	s_mul_u64 s[28:29], s[2:3], s[24:25]
	s_wait_alu 0xfffe
	s_sub_co_i32 s24, s22, s20
	s_cmp_ge_u32 s22, s20
	s_load_b64 s[34:35], s[0:1], 0x108
	s_cselect_b32 s20, s24, s22
	s_xor_b32 s37, s26, s21
	s_xor_b32 s20, s20, s23
	s_add_co_i32 s28, s29, 1
	s_sub_co_i32 s48, s20, s23
	s_mul_i32 s20, s29, s7
	s_mov_b32 s42, s5
	s_sub_co_i32 s2, s2, s20
	s_load_b256 s[20:27], s[0:1], 0x0
	s_sub_co_i32 s30, s2, s7
	s_cmp_ge_u32 s2, s7
	s_mov_b32 s46, s12
	s_cselect_b32 s36, s28, s29
	s_cselect_b32 s2, s30, s2
	s_load_b128 s[28:31], s[0:1], 0xf8
	s_add_co_i32 s38, s36, 1
	s_cmp_ge_u32 s2, s7
	s_load_b32 s55, s[0:1], 0x11c
	s_cselect_b32 s2, s38, s36
	s_wait_kmcnt 0x0
	s_mul_i32 s36, s35, s9
	s_wait_alu 0xfffe
	s_xor_b32 s2, s2, s37
	s_ashr_i32 s49, s48, 31
	s_mov_b32 s38, s4
	s_ashr_i32 s43, s5, 31
	s_ashr_i32 s7, s6, 31
	s_wait_alu 0xfffe
	s_sub_co_i32 s50, s2, s37
	s_mul_u64 s[38:39], s[48:49], s[38:39]
	s_ashr_i32 s37, s36, 31
	s_ashr_i32 s41, s40, 31
	s_mul_u64 s[42:43], s[6:7], s[42:43]
	s_add_nc_u64 s[38:39], s[38:39], s[40:41]
	s_ashr_i32 s51, s50, 31
	s_ashr_i32 s5, s9, 31
	s_mov_b32 s4, s9
	s_mul_u64 s[42:43], s[42:43], s[36:37]
	s_mul_u64 s[44:45], s[50:51], s[4:5]
	;; [unrolled: 1-line block ×3, first 2 shown]
	s_mul_i32 s7, s35, s8
	s_lshl_b64 s[62:63], s[38:39], 1
	s_lshl_b64 s[64:65], s[44:45], 1
	s_ashr_i32 s53, s8, 31
	s_ashr_i32 s39, s30, 31
	;; [unrolled: 1-line block ×8, first 2 shown]
	s_cmp_lt_i32 s30, 1
	v_cmp_neq_f64_e64 s2, s[24:25], 1.0
	s_cselect_b32 s57, -1, 0
	s_add_co_i32 s19, s40, s19
	v_cmp_neq_f64_e64 s66, s[26:27], 0
	s_cmp_gt_i32 s31, 0
	s_add_nc_u64 s[20:21], s[20:21], s[62:63]
	s_cselect_b32 s58, -1, 0
	s_cmp_gt_i32 s34, 0
	s_add_nc_u64 s[20:21], s[20:21], s[64:65]
	s_cselect_b32 s59, -1, 0
	s_cmp_gt_i32 s8, 0
	s_mov_b32 s44, s11
	s_cselect_b32 s60, -1, 0
	s_abs_i32 s9, s9
	s_abs_i32 s61, s6
	s_cvt_f32_u32 s38, s9
	s_cvt_f32_u32 s40, s61
	s_abs_i32 s62, s54
	s_abs_i32 s64, s13
	v_rcp_iflag_f32_e32 v1, s38
	s_mov_b32 s38, s30
	s_cvt_f32_u32 s12, s62
	s_sub_co_i32 s11, 0, s9
	s_abs_i32 s67, s14
	s_abs_i32 s69, s15
	s_load_b64 s[0:1], s[0:1], 0x20
	s_ashr_i32 s72, s13, 31
	s_sub_co_i32 s13, 0, s67
	s_ashr_i32 s70, s54, 31
	v_readfirstlane_b32 s42, v1
	v_rcp_iflag_f32_e32 v1, s40
	s_mov_b32 s52, s8
	s_mov_b32 s40, s31
	s_ashr_i32 s73, s14, 31
	s_mul_f32 s30, s42, 0x4f7ffffe
	s_mov_b32 s42, s10
	s_ashr_i32 s75, s15, 31
	s_wait_alu 0xfffe
	s_mul_u64 s[14:15], s[34:35], s[40:41]
	s_cvt_u32_f32 s10, s30
	v_mov_b32_e32 v18, 0x7e00
	v_readfirstlane_b32 s30, v1
	s_or_b32 s63, s2, s66
	v_rcp_iflag_f32_e32 v1, s12
	s_cvt_f32_u32 s12, s64
	s_mul_i32 s11, s11, s10
	s_mul_f32 s2, s30, 0x4f7ffffe
	s_mul_hi_u32 s11, s10, s11
	s_wait_alu 0xfffe
	v_rcp_iflag_f32_e32 v2, s12
	s_sub_co_i32 s12, 0, s61
	s_cvt_u32_f32 s2, s2
	s_add_co_i32 s66, s10, s11
	s_and_b32 s65, s55, 0xffff
	v_readfirstlane_b32 s10, v1
	s_wait_alu 0xfffe
	s_mul_i32 s12, s12, s2
	s_wait_alu 0xfffe
	s_mul_hi_u32 s11, s2, s12
	s_cvt_f32_u32 s12, s67
	s_add_co_i32 s68, s2, s11
	s_cvt_f32_u32 s11, s69
	s_mul_f32 s2, s10, 0x4f7ffffe
	s_wait_alu 0xfffe
	v_rcp_iflag_f32_e32 v1, s12
	v_readfirstlane_b32 s10, v2
	v_rcp_iflag_f32_e32 v2, s11
	s_cvt_u32_f32 s2, s2
	s_sub_co_i32 s12, 0, s62
	s_sub_co_i32 s11, 0, s64
	s_mul_f32 s10, s10, 0x4f7ffffe
	s_wait_alu 0xfffe
	s_mul_i32 s12, s12, s2
	s_wait_alu 0xfffe
	s_mul_hi_u32 s12, s2, s12
	v_readfirstlane_b32 s30, v1
	s_cvt_u32_f32 s10, s10
	s_wait_alu 0xfffe
	s_add_co_i32 s71, s2, s12
	s_mul_f32 s12, s30, 0x4f7ffffe
	v_readfirstlane_b32 s30, v2
	s_mul_i32 s11, s11, s10
	s_wait_alu 0xfffe
	s_mul_hi_u32 s2, s10, s11
	s_mov_b32 s11, s3
	s_wait_alu 0xfffe
	s_add_co_i32 s10, s10, s2
	s_cvt_u32_f32 s2, s12
	s_mul_f32 s12, s30, 0x4f7ffffe
	s_mul_u64 s[30:31], s[52:53], s[50:51]
	s_mul_u64 s[50:51], s[46:47], s[44:45]
	s_wait_alu 0xfffe
	s_mul_i32 s13, s13, s2
	s_cvt_u32_f32 s54, s12
	s_wait_alu 0xfffe
	s_mul_hi_u32 s12, s2, s13
	s_sub_co_i32 s13, 0, s69
	s_wait_alu 0xfffe
	s_add_co_i32 s74, s2, s12
	s_mul_i32 s13, s13, s54
	s_wait_alu 0xfffe
	s_mul_hi_u32 s2, s54, s13
	s_lshl_b64 s[12:13], s[30:31], 1
	s_wait_alu 0xfffe
	s_add_co_i32 s41, s54, s2
	s_wait_kmcnt 0x0
	s_add_nc_u64 s[12:13], s[0:1], s[12:13]
	s_mul_u64 s[0:1], s[14:15], s[4:5]
	s_mul_u64 s[14:15], s[50:51], s[42:43]
	;; [unrolled: 1-line block ×6, first 2 shown]
	s_lshl_b64 s[30:31], s[30:31], 1
	s_lshl_b64 s[14:15], s[14:15], 1
	s_add_nc_u64 s[22:23], s[22:23], s[30:31]
	s_lshl_b64 s[30:31], s[0:1], 1
	s_lshl_b64 s[48:49], s[48:49], 1
	;; [unrolled: 1-line block ×4, first 2 shown]
	s_mov_b32 s35, 0
	s_branch .LBB96_3
.LBB96_2:                               ;   in Loop: Header=BB96_3 Depth=1
	v_add_nc_u32_e32 v0, s65, v0
	s_delay_alu instid0(VALU_DEP_1) | instskip(SKIP_1) | instid1(SALU_CYCLE_1)
	v_cmp_le_i32_e32 vcc_lo, s33, v0
	s_or_b32 s35, vcc_lo, s35
	s_and_not1_b32 exec_lo, exec_lo, s35
	s_cbranch_execz .LBB96_37
.LBB96_3:                               ; =>This Loop Header: Depth=1
                                        ;     Child Loop BB96_8 Depth 2
                                        ;       Child Loop BB96_17 Depth 3
                                        ;         Child Loop BB96_24 Depth 4
                                        ;           Child Loop BB96_31 Depth 5
	v_sub_nc_u32_e32 v1, 0, v0
	s_mov_b32 s39, -1
	s_delay_alu instid0(VALU_DEP_1) | instskip(NEXT) | instid1(VALU_DEP_1)
	v_max_i32_e32 v3, v0, v1
	v_mul_hi_u32 v1, v3, s66
	s_delay_alu instid0(VALU_DEP_1) | instskip(SKIP_1) | instid1(VALU_DEP_2)
	v_mul_lo_u32 v2, v1, s9
	v_add_nc_u32_e32 v4, 1, v1
	v_sub_nc_u32_e32 v2, v3, v2
	s_delay_alu instid0(VALU_DEP_1) | instskip(SKIP_3) | instid1(VALU_DEP_3)
	v_subrev_nc_u32_e32 v5, s9, v2
	v_cmp_le_u32_e32 vcc_lo, s9, v2
	s_wait_alu 0xfffd
	v_cndmask_b32_e32 v4, v1, v4, vcc_lo
	v_cndmask_b32_e32 v2, v2, v5, vcc_lo
	v_ashrrev_i32_e32 v1, 31, v0
	s_delay_alu instid0(VALU_DEP_3) | instskip(NEXT) | instid1(VALU_DEP_3)
	v_add_nc_u32_e32 v5, 1, v4
	v_cmp_le_u32_e32 vcc_lo, s9, v2
	s_delay_alu instid0(VALU_DEP_3) | instskip(SKIP_1) | instid1(VALU_DEP_3)
	v_xor_b32_e32 v6, s5, v1
	s_wait_alu 0xfffd
	v_cndmask_b32_e32 v2, v4, v5, vcc_lo
	v_mul_hi_u32 v5, v3, s71
	s_delay_alu instid0(VALU_DEP_2) | instskip(NEXT) | instid1(VALU_DEP_2)
	v_xor_b32_e32 v2, v2, v6
	v_mul_lo_u32 v7, v5, s62
	s_delay_alu instid0(VALU_DEP_2) | instskip(NEXT) | instid1(VALU_DEP_1)
	v_sub_nc_u32_e32 v2, v2, v6
	v_sub_nc_u32_e32 v4, 0, v2
	v_mul_lo_u32 v8, v2, s4
	s_delay_alu instid0(VALU_DEP_4) | instskip(NEXT) | instid1(VALU_DEP_3)
	v_sub_nc_u32_e32 v3, v3, v7
	v_max_i32_e32 v4, v2, v4
	s_delay_alu instid0(VALU_DEP_2) | instskip(SKIP_1) | instid1(VALU_DEP_3)
	v_subrev_nc_u32_e32 v7, s62, v3
	v_cmp_le_u32_e64 s0, s62, v3
	v_mul_hi_u32 v6, v4, s68
	s_delay_alu instid0(VALU_DEP_1) | instskip(NEXT) | instid1(VALU_DEP_1)
	v_mul_lo_u32 v6, v6, s61
	v_sub_nc_u32_e32 v4, v4, v6
	s_delay_alu instid0(VALU_DEP_1) | instskip(SKIP_2) | instid1(VALU_DEP_2)
	v_subrev_nc_u32_e32 v6, s61, v4
	v_cmp_le_u32_e32 vcc_lo, s61, v4
	s_wait_alu 0xfffd
	v_cndmask_b32_e32 v6, v4, v6, vcc_lo
	s_wait_alu 0xf1ff
	v_cndmask_b32_e64 v4, v3, v7, s0
	v_sub_nc_u32_e32 v3, v0, v8
	s_and_not1_b32 vcc_lo, exec_lo, s57
	v_cmp_le_u32_e64 s2, s61, v6
	s_delay_alu instid0(VALU_DEP_3)
	v_cmp_le_u32_e64 s1, s62, v4
	s_wait_alu 0xfffe
	s_cbranch_vccnz .LBB96_5
; %bb.4:                                ;   in Loop: Header=BB96_3 Depth=1
	v_ashrrev_i32_e32 v4, 31, v3
	s_mov_b32 s39, 0
.LBB96_5:                               ;   in Loop: Header=BB96_3 Depth=1
	v_add_nc_u32_e32 v7, 1, v5
	v_ashrrev_i32_e32 v2, 31, v2
	s_wait_alu 0xfffe
	s_and_not1_b32 vcc_lo, exec_lo, s39
	s_delay_alu instid0(VALU_DEP_2) | instskip(SKIP_1) | instid1(VALU_DEP_2)
	v_cndmask_b32_e64 v5, v5, v7, s0
	v_subrev_nc_u32_e32 v7, s61, v6
	v_add_nc_u32_e32 v8, 1, v5
	s_delay_alu instid0(VALU_DEP_2) | instskip(SKIP_1) | instid1(VALU_DEP_3)
	v_cndmask_b32_e64 v6, v6, v7, s2
	v_xor_b32_e32 v7, s70, v1
	v_cndmask_b32_e64 v1, v5, v8, s1
	s_delay_alu instid0(VALU_DEP_3) | instskip(NEXT) | instid1(VALU_DEP_2)
	v_xor_b32_e32 v5, v6, v2
	v_xor_b32_e32 v6, v1, v7
	s_delay_alu instid0(VALU_DEP_2) | instskip(SKIP_2) | instid1(VALU_DEP_4)
	v_sub_nc_u32_e32 v5, v5, v2
	v_mov_b32_e32 v1, 0
	v_mov_b32_e32 v2, 0
	v_sub_nc_u32_e32 v19, v6, v7
	s_wait_alu 0xfffe
	s_cbranch_vccnz .LBB96_33
; %bb.6:                                ;   in Loop: Header=BB96_3 Depth=1
	v_ashrrev_i32_e32 v4, 31, v3
	s_delay_alu instid0(VALU_DEP_2) | instskip(SKIP_1) | instid1(VALU_DEP_3)
	v_dual_mov_b32 v1, 0 :: v_dual_add_nc_u32 v20, s28, v19
	v_dual_mov_b32 v2, 0 :: v_dual_add_nc_u32 v21, s29, v5
	v_lshlrev_b64_e32 v[6:7], 1, v[3:4]
	s_mov_b32 s39, 0
	s_delay_alu instid0(VALU_DEP_1) | instskip(SKIP_1) | instid1(VALU_DEP_2)
	v_add_co_u32 v6, vcc_lo, s22, v6
	s_wait_alu 0xfffd
	v_add_co_ci_u32_e64 v7, null, s23, v7, vcc_lo
	s_branch .LBB96_8
.LBB96_7:                               ;   in Loop: Header=BB96_8 Depth=2
	v_add_co_u32 v6, vcc_lo, v6, s30
	s_wait_alu 0xfffd
	v_add_co_ci_u32_e64 v7, null, s31, v7, vcc_lo
	s_add_co_i32 s39, s39, 1
	s_wait_alu 0xfffe
	s_cmp_eq_u32 s39, s38
	s_cbranch_scc1 .LBB96_33
.LBB96_8:                               ;   Parent Loop BB96_3 Depth=1
                                        ; =>  This Loop Header: Depth=2
                                        ;       Child Loop BB96_17 Depth 3
                                        ;         Child Loop BB96_24 Depth 4
                                        ;           Child Loop BB96_31 Depth 5
	s_wait_alu 0xfffe
	s_mul_i32 s0, s16, s39
	s_mov_b32 s76, -1
	s_wait_alu 0xfffe
	s_sub_co_i32 s54, s19, s0
	s_mov_b32 s55, 0
	s_wait_alu 0xfffe
	s_cmp_gt_i32 s54, -1
                                        ; implicit-def: $sgpr2
                                        ; implicit-def: $sgpr1
                                        ; implicit-def: $sgpr0
                                        ; implicit-def: $sgpr43
	s_cbranch_scc1 .LBB96_12
; %bb.9:                                ;   in Loop: Header=BB96_8 Depth=2
	s_and_not1_b32 vcc_lo, exec_lo, s76
	s_wait_alu 0xfffe
	s_cbranch_vccz .LBB96_13
.LBB96_10:                              ;   in Loop: Header=BB96_8 Depth=2
	s_wait_alu 0xfffe
	s_and_not1_b32 vcc_lo, exec_lo, s55
	s_mov_b32 s54, 1
	s_wait_alu 0xfffe
	s_cbranch_vccz .LBB96_14
; %bb.11:                               ;   in Loop: Header=BB96_8 Depth=2
	s_and_not1_b32 vcc_lo, exec_lo, s58
	s_wait_alu 0xfffe
	s_cbranch_vccz .LBB96_15
	s_branch .LBB96_7
.LBB96_12:                              ;   in Loop: Header=BB96_8 Depth=2
	s_abs_i32 s2, s54
	s_wait_alu 0xfffe
	s_mul_u64 s[0:1], s[2:3], s[10:11]
	s_wait_alu 0xfffe
	s_mul_i32 s0, s1, s64
	s_wait_alu 0xfffe
	s_sub_co_i32 s0, s2, s0
	s_ashr_i32 s2, s54, 31
	s_wait_alu 0xfffe
	s_sub_co_i32 s43, s0, s64
	s_cmp_ge_u32 s0, s64
	s_cselect_b32 s55, s43, s0
	s_wait_alu 0xfffe
	s_sub_co_i32 s76, s55, s64
	s_cmp_ge_u32 s55, s64
	s_cselect_b32 s55, s76, s55
	s_wait_alu 0xfffe
	s_xor_b32 s55, s55, s2
	s_wait_alu 0xfffe
	s_sub_co_i32 s55, s55, s2
	s_wait_alu 0xfffe
	s_cmp_lg_u32 s55, 0
	s_cselect_b32 s55, -1, 0
	s_cbranch_execnz .LBB96_10
.LBB96_13:                              ;   in Loop: Header=BB96_8 Depth=2
	s_abs_i32 s2, s54
	s_wait_alu 0xfffe
	s_mul_u64 s[0:1], s[2:3], s[10:11]
	s_wait_alu 0xfffe
	s_mul_i32 s0, s1, s64
	s_wait_alu 0xfffe
	s_sub_co_i32 s0, s2, s0
	s_ashr_i32 s2, s54, 31
	s_wait_alu 0xfffe
	s_sub_co_i32 s43, s0, s64
	s_mov_b32 s54, 1
.LBB96_14:                              ;   in Loop: Header=BB96_8 Depth=2
	s_mov_b32 s54, 0
	s_and_not1_b32 vcc_lo, exec_lo, s58
	s_wait_alu 0xfffe
	s_cbranch_vccnz .LBB96_7
.LBB96_15:                              ;   in Loop: Header=BB96_8 Depth=2
	s_xor_b32 s2, s2, s72
	s_add_co_i32 s55, s1, 1
	s_cmp_ge_u32 s0, s64
	v_dual_mov_b32 v9, v7 :: v_dual_mov_b32 v8, v6
	s_wait_alu 0xfffe
	s_cselect_b32 s1, s55, s1
	s_cselect_b32 s0, s43, s0
	s_wait_alu 0xfffe
	s_add_co_i32 s43, s1, 1
	s_cmp_ge_u32 s0, s64
	s_cselect_b32 s0, s43, s1
	s_wait_alu 0xfffe
	s_xor_b32 s0, s0, s2
	s_wait_alu 0xfffe
	s_sub_co_i32 s76, s0, s2
	s_mov_b32 s2, 0
	s_cmp_lt_i32 s76, s42
	s_cselect_b32 s1, s54, 0
	s_ashr_i32 s77, s76, 31
	s_delay_alu instid0(SALU_CYCLE_1)
	s_mul_u64 s[54:55], s[76:77], s[44:45]
	s_branch .LBB96_17
.LBB96_16:                              ;   in Loop: Header=BB96_17 Depth=3
	v_add_co_u32 v8, vcc_lo, v8, s48
	s_wait_alu 0xfffd
	v_add_co_ci_u32_e64 v9, null, s49, v9, vcc_lo
	s_add_co_i32 s2, s2, 1
	s_wait_alu 0xfffe
	s_cmp_eq_u32 s2, s40
	s_cbranch_scc1 .LBB96_7
.LBB96_17:                              ;   Parent Loop BB96_3 Depth=1
                                        ;     Parent Loop BB96_8 Depth=2
                                        ; =>    This Loop Header: Depth=3
                                        ;         Child Loop BB96_24 Depth 4
                                        ;           Child Loop BB96_31 Depth 5
	s_wait_alu 0xfffe
	s_mul_i32 s0, s17, s2
	s_mov_b32 s43, exec_lo
	s_wait_alu 0xfffe
	v_subrev_nc_u32_e32 v11, s0, v20
	s_delay_alu instid0(VALU_DEP_1)
	v_cmp_gt_i32_e64 s0, 0, v11
	v_ashrrev_i32_e32 v10, 31, v11
	v_sub_nc_u32_e32 v12, 0, v11
	v_cmpx_lt_i32_e32 -1, v11
	s_cbranch_execnz .LBB96_20
; %bb.18:                               ;   in Loop: Header=BB96_17 Depth=3
	s_or_b32 exec_lo, exec_lo, s43
	v_mov_b32_e32 v13, 1
	s_and_saveexec_b32 s43, s0
	s_cbranch_execnz .LBB96_21
.LBB96_19:                              ;   in Loop: Header=BB96_17 Depth=3
	s_or_b32 exec_lo, exec_lo, s43
	s_delay_alu instid0(SALU_CYCLE_1)
	s_and_not1_b32 vcc_lo, exec_lo, s59
	s_wait_alu 0xfffe
	s_cbranch_vccz .LBB96_22
	s_branch .LBB96_16
.LBB96_20:                              ;   in Loop: Header=BB96_17 Depth=3
	s_delay_alu instid0(VALU_DEP_2) | instskip(SKIP_1) | instid1(VALU_DEP_1)
	v_max_i32_e32 v13, v11, v12
	s_and_not1_b32 s0, s0, exec_lo
	v_mul_hi_u32 v14, v13, s74
	s_delay_alu instid0(VALU_DEP_1) | instskip(NEXT) | instid1(VALU_DEP_1)
	v_mul_lo_u32 v14, v14, s67
	v_sub_nc_u32_e32 v13, v13, v14
	s_delay_alu instid0(VALU_DEP_1) | instskip(SKIP_2) | instid1(VALU_DEP_2)
	v_subrev_nc_u32_e32 v14, s67, v13
	v_cmp_le_u32_e32 vcc_lo, s67, v13
	s_wait_alu 0xfffd
	v_cndmask_b32_e32 v13, v13, v14, vcc_lo
	s_delay_alu instid0(VALU_DEP_1) | instskip(SKIP_2) | instid1(VALU_DEP_2)
	v_subrev_nc_u32_e32 v14, s67, v13
	v_cmp_le_u32_e32 vcc_lo, s67, v13
	s_wait_alu 0xfffd
	v_cndmask_b32_e32 v13, v13, v14, vcc_lo
	s_delay_alu instid0(VALU_DEP_1) | instskip(NEXT) | instid1(VALU_DEP_1)
	v_xor_b32_e32 v13, v13, v10
	v_sub_nc_u32_e32 v13, v13, v10
	s_delay_alu instid0(VALU_DEP_1)
	v_cmp_ne_u32_e32 vcc_lo, 0, v13
	s_and_b32 s76, vcc_lo, exec_lo
	s_wait_alu 0xfffe
	s_or_b32 s0, s0, s76
	s_or_b32 exec_lo, exec_lo, s43
	v_mov_b32_e32 v13, 1
	s_wait_alu 0xfffe
	s_and_saveexec_b32 s43, s0
	s_cbranch_execz .LBB96_19
.LBB96_21:                              ;   in Loop: Header=BB96_17 Depth=3
	v_mov_b32_e32 v13, 0
	s_or_b32 exec_lo, exec_lo, s43
	s_delay_alu instid0(SALU_CYCLE_1)
	s_and_not1_b32 vcc_lo, exec_lo, s59
	s_wait_alu 0xfffe
	s_cbranch_vccnz .LBB96_16
.LBB96_22:                              ;   in Loop: Header=BB96_17 Depth=3
	v_max_i32_e32 v11, v11, v12
	v_xor_b32_e32 v10, s73, v10
	s_mov_b32 s43, 0
	s_delay_alu instid0(VALU_DEP_2) | instskip(NEXT) | instid1(VALU_DEP_1)
	v_mul_hi_u32 v12, v11, s74
	v_mul_lo_u32 v14, v12, s67
	s_delay_alu instid0(VALU_DEP_1) | instskip(NEXT) | instid1(VALU_DEP_1)
	v_sub_nc_u32_e32 v11, v11, v14
	v_subrev_nc_u32_e32 v15, s67, v11
	v_cmp_le_u32_e32 vcc_lo, s67, v11
	s_wait_alu 0xfffd
	s_delay_alu instid0(VALU_DEP_2) | instskip(NEXT) | instid1(VALU_DEP_1)
	v_dual_cndmask_b32 v11, v11, v15 :: v_dual_add_nc_u32 v14, 1, v12
	v_cndmask_b32_e32 v12, v12, v14, vcc_lo
	s_delay_alu instid0(VALU_DEP_2) | instskip(NEXT) | instid1(VALU_DEP_2)
	v_cmp_le_u32_e32 vcc_lo, s67, v11
	v_add_nc_u32_e32 v14, 1, v12
	s_wait_alu 0xfffd
	s_delay_alu instid0(VALU_DEP_1) | instskip(NEXT) | instid1(VALU_DEP_1)
	v_cndmask_b32_e32 v11, v12, v14, vcc_lo
	v_xor_b32_e32 v11, v11, v10
	s_delay_alu instid0(VALU_DEP_1) | instskip(NEXT) | instid1(VALU_DEP_1)
	v_sub_nc_u32_e32 v12, v11, v10
	v_ashrrev_i32_e32 v10, 31, v12
	v_add_co_u32 v11, vcc_lo, s54, v12
	s_wait_alu 0xfffd
	s_delay_alu instid0(VALU_DEP_2) | instskip(SKIP_1) | instid1(VALU_DEP_3)
	v_add_co_ci_u32_e64 v14, null, s55, v10, vcc_lo
	v_cmp_gt_i32_e32 vcc_lo, s44, v12
	v_mul_lo_u32 v15, v11, s47
	v_mad_co_u64_u32 v[10:11], null, v11, s46, 0
	s_delay_alu instid0(VALU_DEP_4) | instskip(SKIP_2) | instid1(VALU_DEP_1)
	v_mul_lo_u32 v14, v14, s46
	s_wait_alu 0xfffd
	v_cndmask_b32_e32 v12, 0, v13, vcc_lo
	v_dual_mov_b32 v13, v9 :: v_dual_and_b32 v22, s1, v12
	s_delay_alu instid0(VALU_DEP_3)
	v_add3_u32 v11, v11, v15, v14
	v_mov_b32_e32 v12, v8
	s_branch .LBB96_24
.LBB96_23:                              ;   in Loop: Header=BB96_24 Depth=4
	v_add_co_u32 v12, vcc_lo, v12, s50
	s_wait_alu 0xfffd
	v_add_co_ci_u32_e64 v13, null, s51, v13, vcc_lo
	s_add_co_i32 s43, s43, 1
	s_delay_alu instid0(SALU_CYCLE_1)
	s_cmp_eq_u32 s43, s34
	s_cbranch_scc1 .LBB96_16
.LBB96_24:                              ;   Parent Loop BB96_3 Depth=1
                                        ;     Parent Loop BB96_8 Depth=2
                                        ;       Parent Loop BB96_17 Depth=3
                                        ; =>      This Loop Header: Depth=4
                                        ;           Child Loop BB96_31 Depth 5
	s_mul_i32 s0, s18, s43
	s_wait_alu 0xfffe
	v_subrev_nc_u32_e32 v15, s0, v21
	s_delay_alu instid0(VALU_DEP_1) | instskip(SKIP_3) | instid1(VALU_DEP_4)
	v_sub_nc_u32_e32 v16, 0, v15
	v_cmp_gt_i32_e64 s0, 0, v15
	v_cmp_lt_i32_e32 vcc_lo, -1, v15
	v_ashrrev_i32_e32 v14, 31, v15
	v_max_i32_e32 v15, v15, v16
	s_and_saveexec_b32 s76, vcc_lo
	s_cbranch_execnz .LBB96_27
; %bb.25:                               ;   in Loop: Header=BB96_24 Depth=4
	s_or_b32 exec_lo, exec_lo, s76
	v_mov_b32_e32 v16, 1
	s_and_saveexec_b32 s76, s0
	s_cbranch_execnz .LBB96_28
.LBB96_26:                              ;   in Loop: Header=BB96_24 Depth=4
	s_or_b32 exec_lo, exec_lo, s76
	s_delay_alu instid0(SALU_CYCLE_1)
	s_and_not1_b32 vcc_lo, exec_lo, s60
	s_wait_alu 0xfffe
	s_cbranch_vccz .LBB96_29
	s_branch .LBB96_23
.LBB96_27:                              ;   in Loop: Header=BB96_24 Depth=4
	s_delay_alu instid0(VALU_DEP_1) | instskip(SKIP_1) | instid1(VALU_DEP_1)
	v_mul_hi_u32 v16, v15, s41
	s_and_not1_b32 s0, s0, exec_lo
	v_mul_lo_u32 v16, v16, s69
	s_delay_alu instid0(VALU_DEP_1) | instskip(NEXT) | instid1(VALU_DEP_1)
	v_sub_nc_u32_e32 v16, v15, v16
	v_subrev_nc_u32_e32 v17, s69, v16
	v_cmp_le_u32_e32 vcc_lo, s69, v16
	s_wait_alu 0xfffd
	s_delay_alu instid0(VALU_DEP_2) | instskip(NEXT) | instid1(VALU_DEP_1)
	v_cndmask_b32_e32 v16, v16, v17, vcc_lo
	v_subrev_nc_u32_e32 v17, s69, v16
	v_cmp_le_u32_e32 vcc_lo, s69, v16
	s_wait_alu 0xfffd
	s_delay_alu instid0(VALU_DEP_2) | instskip(NEXT) | instid1(VALU_DEP_1)
	v_cndmask_b32_e32 v16, v16, v17, vcc_lo
	v_xor_b32_e32 v16, v16, v14
	s_delay_alu instid0(VALU_DEP_1) | instskip(NEXT) | instid1(VALU_DEP_1)
	v_sub_nc_u32_e32 v16, v16, v14
	v_cmp_ne_u32_e32 vcc_lo, 0, v16
	s_and_b32 s77, vcc_lo, exec_lo
	s_wait_alu 0xfffe
	s_or_b32 s0, s0, s77
	s_or_b32 exec_lo, exec_lo, s76
	v_mov_b32_e32 v16, 1
	s_wait_alu 0xfffe
	s_and_saveexec_b32 s76, s0
	s_cbranch_execz .LBB96_26
.LBB96_28:                              ;   in Loop: Header=BB96_24 Depth=4
	v_mov_b32_e32 v16, 0
	s_or_b32 exec_lo, exec_lo, s76
	s_delay_alu instid0(SALU_CYCLE_1)
	s_and_not1_b32 vcc_lo, exec_lo, s60
	s_wait_alu 0xfffe
	s_cbranch_vccnz .LBB96_23
.LBB96_29:                              ;   in Loop: Header=BB96_24 Depth=4
	v_mul_hi_u32 v17, v15, s41
	v_xor_b32_e32 v14, s75, v14
	s_mov_b32 s76, s8
	s_delay_alu instid0(VALU_DEP_2) | instskip(NEXT) | instid1(VALU_DEP_1)
	v_mul_lo_u32 v23, v17, s69
	v_sub_nc_u32_e32 v15, v15, v23
	v_add_nc_u32_e32 v23, 1, v17
	s_delay_alu instid0(VALU_DEP_2) | instskip(SKIP_2) | instid1(VALU_DEP_3)
	v_subrev_nc_u32_e32 v24, s69, v15
	v_cmp_le_u32_e32 vcc_lo, s69, v15
	s_wait_alu 0xfffd
	v_cndmask_b32_e32 v17, v17, v23, vcc_lo
	s_delay_alu instid0(VALU_DEP_3) | instskip(NEXT) | instid1(VALU_DEP_2)
	v_cndmask_b32_e32 v15, v15, v24, vcc_lo
	v_add_nc_u32_e32 v23, 1, v17
	s_delay_alu instid0(VALU_DEP_2) | instskip(SKIP_1) | instid1(VALU_DEP_2)
	v_cmp_le_u32_e32 vcc_lo, s69, v15
	s_wait_alu 0xfffd
	v_cndmask_b32_e32 v15, v17, v23, vcc_lo
	s_delay_alu instid0(VALU_DEP_1) | instskip(NEXT) | instid1(VALU_DEP_1)
	v_xor_b32_e32 v15, v15, v14
	v_sub_nc_u32_e32 v17, v15, v14
	s_delay_alu instid0(VALU_DEP_1) | instskip(SKIP_2) | instid1(VALU_DEP_2)
	v_ashrrev_i32_e32 v15, 31, v17
	v_add_co_u32 v14, vcc_lo, v10, v17
	s_wait_alu 0xfffd
	v_add_co_ci_u32_e64 v15, null, v11, v15, vcc_lo
	v_cmp_gt_i32_e32 vcc_lo, s46, v17
	s_delay_alu instid0(VALU_DEP_2) | instskip(SKIP_2) | instid1(VALU_DEP_2)
	v_lshlrev_b64_e32 v[14:15], 1, v[14:15]
	s_wait_alu 0xfffd
	v_cndmask_b32_e32 v16, 0, v16, vcc_lo
	v_add_co_u32 v14, vcc_lo, s14, v14
	s_wait_alu 0xfffd
	s_delay_alu instid0(VALU_DEP_3) | instskip(NEXT) | instid1(VALU_DEP_3)
	v_add_co_ci_u32_e64 v15, null, s15, v15, vcc_lo
	v_and_b32_e32 v16, v22, v16
	s_delay_alu instid0(VALU_DEP_3) | instskip(NEXT) | instid1(VALU_DEP_3)
	v_mul_lo_u32 v23, s56, v14
	v_mul_lo_u32 v17, s7, v15
	v_mad_co_u64_u32 v[14:15], null, s7, v14, s[12:13]
	s_delay_alu instid0(VALU_DEP_4) | instskip(NEXT) | instid1(VALU_DEP_1)
	v_and_b32_e32 v16, 1, v16
	v_cmp_eq_u32_e32 vcc_lo, 1, v16
	s_delay_alu instid0(VALU_DEP_3)
	v_add3_u32 v15, v23, v15, v17
	v_dual_mov_b32 v17, v13 :: v_dual_mov_b32 v16, v12
	s_branch .LBB96_31
.LBB96_30:                              ;   in Loop: Header=BB96_31 Depth=5
	s_wait_alu 0xfffe
	s_or_b32 exec_lo, exec_lo, s0
	v_add_co_u32 v14, s0, v14, 2
	s_wait_alu 0xf1ff
	v_add_co_ci_u32_e64 v15, null, 0, v15, s0
	v_add_co_u32 v16, s0, v16, s52
	s_wait_alu 0xf1ff
	v_add_co_ci_u32_e64 v17, null, s53, v17, s0
	s_add_co_i32 s76, s76, -1
	s_delay_alu instid0(SALU_CYCLE_1)
	s_cmp_eq_u32 s76, 0
	s_cbranch_scc1 .LBB96_23
.LBB96_31:                              ;   Parent Loop BB96_3 Depth=1
                                        ;     Parent Loop BB96_8 Depth=2
                                        ;       Parent Loop BB96_17 Depth=3
                                        ;         Parent Loop BB96_24 Depth=4
                                        ; =>        This Inner Loop Header: Depth=5
	s_and_saveexec_b32 s0, vcc_lo
	s_cbranch_execz .LBB96_30
; %bb.32:                               ;   in Loop: Header=BB96_31 Depth=5
	global_load_u16 v23, v[14:15], off
	global_load_u16 v24, v[16:17], off
	s_wait_loadcnt 0x1
	v_cvt_f32_f16_e32 v23, v23
	s_wait_loadcnt 0x0
	v_cvt_f32_f16_e32 v25, v24
	s_delay_alu instid0(VALU_DEP_2) | instskip(NEXT) | instid1(VALU_DEP_2)
	v_cvt_f64_f32_e32 v[23:24], v23
	v_cvt_f64_f32_e32 v[25:26], v25
	s_delay_alu instid0(VALU_DEP_1)
	v_fma_f64 v[1:2], v[23:24], v[25:26], v[1:2]
	s_branch .LBB96_30
.LBB96_33:                              ;   in Loop: Header=BB96_3 Depth=1
	v_ashrrev_i32_e32 v6, 31, v5
	s_and_b32 vcc_lo, exec_lo, s63
	s_mov_b32 s0, -1
	s_delay_alu instid0(VALU_DEP_1) | instskip(NEXT) | instid1(VALU_DEP_1)
	v_mad_co_i64_i32 v[5:6], null, v19, s6, v[5:6]
	v_mul_lo_u32 v7, v5, s37
	s_delay_alu instid0(VALU_DEP_2) | instskip(SKIP_1) | instid1(VALU_DEP_1)
	v_mul_lo_u32 v6, v6, s36
	v_mad_co_u64_u32 v[3:4], null, v5, s36, v[3:4]
	v_add3_u32 v4, v6, v4, v7
	s_wait_alu 0xfffe
	s_cbranch_vccz .LBB96_35
; %bb.34:                               ;   in Loop: Header=BB96_3 Depth=1
	s_delay_alu instid0(VALU_DEP_1) | instskip(SKIP_1) | instid1(VALU_DEP_1)
	v_lshlrev_b64_e32 v[5:6], 1, v[3:4]
	s_mov_b32 s0, 0
	v_add_co_u32 v5, vcc_lo, s20, v5
	s_wait_alu 0xfffd
	s_delay_alu instid0(VALU_DEP_2) | instskip(SKIP_3) | instid1(VALU_DEP_1)
	v_add_co_ci_u32_e64 v6, null, s21, v6, vcc_lo
	global_load_u16 v7, v[5:6], off
	s_wait_loadcnt 0x0
	v_cvt_f32_f16_e32 v7, v7
	v_cvt_f64_f32_e32 v[7:8], v7
	s_delay_alu instid0(VALU_DEP_1) | instskip(NEXT) | instid1(VALU_DEP_1)
	v_mul_f64_e32 v[7:8], s[26:27], v[7:8]
	v_fma_f64 v[7:8], s[24:25], v[1:2], v[7:8]
	s_delay_alu instid0(VALU_DEP_1) | instskip(SKIP_3) | instid1(VALU_DEP_4)
	v_and_or_b32 v7, 0x1ff, v8, v7
	v_lshrrev_b32_e32 v9, 8, v8
	v_bfe_u32 v10, v8, 20, 11
	v_lshrrev_b32_e32 v8, 16, v8
	v_cmp_ne_u32_e32 vcc_lo, 0, v7
	s_delay_alu instid0(VALU_DEP_3) | instskip(SKIP_2) | instid1(VALU_DEP_1)
	v_sub_nc_u32_e32 v11, 0x3f1, v10
	s_wait_alu 0xfffd
	v_cndmask_b32_e64 v7, 0, 1, vcc_lo
	v_and_or_b32 v7, 0xffe, v9, v7
	s_delay_alu instid0(VALU_DEP_3) | instskip(NEXT) | instid1(VALU_DEP_2)
	v_med3_i32 v9, v11, 0, 13
	v_or_b32_e32 v11, 0x1000, v7
	s_delay_alu instid0(VALU_DEP_1) | instskip(NEXT) | instid1(VALU_DEP_1)
	v_lshrrev_b32_e32 v12, v9, v11
	v_lshlrev_b32_e32 v9, v9, v12
	s_delay_alu instid0(VALU_DEP_1) | instskip(SKIP_2) | instid1(VALU_DEP_1)
	v_cmp_ne_u32_e32 vcc_lo, v9, v11
	s_wait_alu 0xfffd
	v_cndmask_b32_e64 v9, 0, 1, vcc_lo
	v_or_b32_e32 v9, v12, v9
	v_add_nc_u32_e32 v10, 0xfffffc10, v10
	s_delay_alu instid0(VALU_DEP_1) | instskip(SKIP_2) | instid1(VALU_DEP_2)
	v_lshl_or_b32 v11, v10, 12, v7
	v_cmp_gt_i32_e32 vcc_lo, 1, v10
	s_wait_alu 0xfffd
	v_cndmask_b32_e32 v9, v11, v9, vcc_lo
	s_delay_alu instid0(VALU_DEP_1) | instskip(SKIP_1) | instid1(VALU_DEP_2)
	v_and_b32_e32 v11, 7, v9
	v_lshrrev_b32_e32 v9, 2, v9
	v_cmp_lt_i32_e32 vcc_lo, 5, v11
	s_wait_alu 0xfffd
	v_cndmask_b32_e64 v12, 0, 1, vcc_lo
	v_cmp_eq_u32_e32 vcc_lo, 3, v11
	s_wait_alu 0xfffd
	v_cndmask_b32_e64 v11, 0, 1, vcc_lo
	v_cmp_ne_u32_e32 vcc_lo, 0, v7
	s_delay_alu instid0(VALU_DEP_2) | instskip(SKIP_3) | instid1(VALU_DEP_3)
	v_or_b32_e32 v11, v11, v12
	s_wait_alu 0xfffd
	v_cndmask_b32_e32 v7, 0x7c00, v18, vcc_lo
	v_cmp_gt_i32_e32 vcc_lo, 31, v10
	v_add_nc_u32_e32 v9, v9, v11
	s_wait_alu 0xfffd
	s_delay_alu instid0(VALU_DEP_1) | instskip(SKIP_2) | instid1(VALU_DEP_2)
	v_cndmask_b32_e32 v9, 0x7c00, v9, vcc_lo
	v_cmp_eq_u32_e32 vcc_lo, 0x40f, v10
	s_wait_alu 0xfffd
	v_cndmask_b32_e32 v7, v9, v7, vcc_lo
	s_delay_alu instid0(VALU_DEP_1)
	v_and_or_b32 v7, 0x8000, v8, v7
	global_store_b16 v[5:6], v7, off
.LBB96_35:                              ;   in Loop: Header=BB96_3 Depth=1
	s_wait_alu 0xfffe
	s_and_not1_b32 vcc_lo, exec_lo, s0
	s_wait_alu 0xfffe
	s_cbranch_vccnz .LBB96_2
; %bb.36:                               ;   in Loop: Header=BB96_3 Depth=1
	v_and_or_b32 v1, 0x1ff, v2, v1
	v_lshrrev_b32_e32 v5, 8, v2
	v_bfe_u32 v6, v2, 20, 11
	s_delay_alu instid0(VALU_DEP_3) | instskip(NEXT) | instid1(VALU_DEP_2)
	v_cmp_ne_u32_e32 vcc_lo, 0, v1
	v_sub_nc_u32_e32 v7, 0x3f1, v6
	s_wait_alu 0xfffd
	v_cndmask_b32_e64 v1, 0, 1, vcc_lo
	s_delay_alu instid0(VALU_DEP_1) | instskip(NEXT) | instid1(VALU_DEP_3)
	v_and_or_b32 v1, 0xffe, v5, v1
	v_med3_i32 v5, v7, 0, 13
	s_delay_alu instid0(VALU_DEP_2) | instskip(NEXT) | instid1(VALU_DEP_1)
	v_or_b32_e32 v7, 0x1000, v1
	v_lshrrev_b32_e32 v8, v5, v7
	s_delay_alu instid0(VALU_DEP_1) | instskip(NEXT) | instid1(VALU_DEP_1)
	v_lshlrev_b32_e32 v5, v5, v8
	v_cmp_ne_u32_e32 vcc_lo, v5, v7
	s_wait_alu 0xfffd
	v_cndmask_b32_e64 v5, 0, 1, vcc_lo
	s_delay_alu instid0(VALU_DEP_1) | instskip(SKIP_1) | instid1(VALU_DEP_1)
	v_or_b32_e32 v5, v8, v5
	v_add_nc_u32_e32 v6, 0xfffffc10, v6
	v_lshl_or_b32 v7, v6, 12, v1
	v_cmp_gt_i32_e32 vcc_lo, 1, v6
	s_wait_alu 0xfffd
	s_delay_alu instid0(VALU_DEP_2) | instskip(NEXT) | instid1(VALU_DEP_1)
	v_cndmask_b32_e32 v5, v7, v5, vcc_lo
	v_and_b32_e32 v7, 7, v5
	v_lshrrev_b32_e32 v5, 2, v5
	s_delay_alu instid0(VALU_DEP_2)
	v_cmp_lt_i32_e32 vcc_lo, 5, v7
	s_wait_alu 0xfffd
	v_cndmask_b32_e64 v8, 0, 1, vcc_lo
	v_cmp_eq_u32_e32 vcc_lo, 3, v7
	s_wait_alu 0xfffd
	v_cndmask_b32_e64 v7, 0, 1, vcc_lo
	v_cmp_ne_u32_e32 vcc_lo, 0, v1
	s_delay_alu instid0(VALU_DEP_2) | instskip(SKIP_3) | instid1(VALU_DEP_3)
	v_or_b32_e32 v7, v7, v8
	s_wait_alu 0xfffd
	v_cndmask_b32_e32 v1, 0x7c00, v18, vcc_lo
	v_cmp_gt_i32_e32 vcc_lo, 31, v6
	v_add_nc_u32_e32 v5, v5, v7
	v_lshrrev_b32_e32 v7, 16, v2
	s_wait_alu 0xfffd
	s_delay_alu instid0(VALU_DEP_2) | instskip(SKIP_2) | instid1(VALU_DEP_2)
	v_cndmask_b32_e32 v5, 0x7c00, v5, vcc_lo
	v_cmp_eq_u32_e32 vcc_lo, 0x40f, v6
	s_wait_alu 0xfffd
	v_cndmask_b32_e32 v5, v5, v1, vcc_lo
	v_lshlrev_b64_e32 v[1:2], 1, v[3:4]
	s_delay_alu instid0(VALU_DEP_2) | instskip(NEXT) | instid1(VALU_DEP_2)
	v_and_or_b32 v3, 0x8000, v7, v5
	v_add_co_u32 v1, vcc_lo, s20, v1
	s_wait_alu 0xfffd
	s_delay_alu instid0(VALU_DEP_3)
	v_add_co_ci_u32_e64 v2, null, s21, v2, vcc_lo
	global_store_b16 v[1:2], v3, off
	s_branch .LBB96_2
.LBB96_37:
	s_endpgm
	.section	.rodata,"a",@progbits
	.p2align	6, 0x0
	.amdhsa_kernel naive_conv_ab_packed_bwd_ndhwc_half_double_half_0
		.amdhsa_group_segment_fixed_size 0
		.amdhsa_private_segment_fixed_size 0
		.amdhsa_kernarg_size 528
		.amdhsa_user_sgpr_count 2
		.amdhsa_user_sgpr_dispatch_ptr 0
		.amdhsa_user_sgpr_queue_ptr 0
		.amdhsa_user_sgpr_kernarg_segment_ptr 1
		.amdhsa_user_sgpr_dispatch_id 0
		.amdhsa_user_sgpr_private_segment_size 0
		.amdhsa_wavefront_size32 1
		.amdhsa_uses_dynamic_stack 0
		.amdhsa_enable_private_segment 0
		.amdhsa_system_sgpr_workgroup_id_x 1
		.amdhsa_system_sgpr_workgroup_id_y 0
		.amdhsa_system_sgpr_workgroup_id_z 0
		.amdhsa_system_sgpr_workgroup_info 0
		.amdhsa_system_vgpr_workitem_id 0
		.amdhsa_next_free_vgpr 27
		.amdhsa_next_free_sgpr 78
		.amdhsa_reserve_vcc 1
		.amdhsa_float_round_mode_32 0
		.amdhsa_float_round_mode_16_64 0
		.amdhsa_float_denorm_mode_32 3
		.amdhsa_float_denorm_mode_16_64 3
		.amdhsa_fp16_overflow 0
		.amdhsa_workgroup_processor_mode 1
		.amdhsa_memory_ordered 1
		.amdhsa_forward_progress 1
		.amdhsa_inst_pref_size 31
		.amdhsa_round_robin_scheduling 0
		.amdhsa_exception_fp_ieee_invalid_op 0
		.amdhsa_exception_fp_denorm_src 0
		.amdhsa_exception_fp_ieee_div_zero 0
		.amdhsa_exception_fp_ieee_overflow 0
		.amdhsa_exception_fp_ieee_underflow 0
		.amdhsa_exception_fp_ieee_inexact 0
		.amdhsa_exception_int_div_zero 0
	.end_amdhsa_kernel
	.text
.Lfunc_end96:
	.size	naive_conv_ab_packed_bwd_ndhwc_half_double_half_0, .Lfunc_end96-naive_conv_ab_packed_bwd_ndhwc_half_double_half_0
                                        ; -- End function
	.set naive_conv_ab_packed_bwd_ndhwc_half_double_half_0.num_vgpr, 27
	.set naive_conv_ab_packed_bwd_ndhwc_half_double_half_0.num_agpr, 0
	.set naive_conv_ab_packed_bwd_ndhwc_half_double_half_0.numbered_sgpr, 78
	.set naive_conv_ab_packed_bwd_ndhwc_half_double_half_0.num_named_barrier, 0
	.set naive_conv_ab_packed_bwd_ndhwc_half_double_half_0.private_seg_size, 0
	.set naive_conv_ab_packed_bwd_ndhwc_half_double_half_0.uses_vcc, 1
	.set naive_conv_ab_packed_bwd_ndhwc_half_double_half_0.uses_flat_scratch, 0
	.set naive_conv_ab_packed_bwd_ndhwc_half_double_half_0.has_dyn_sized_stack, 0
	.set naive_conv_ab_packed_bwd_ndhwc_half_double_half_0.has_recursion, 0
	.set naive_conv_ab_packed_bwd_ndhwc_half_double_half_0.has_indirect_call, 0
	.section	.AMDGPU.csdata,"",@progbits
; Kernel info:
; codeLenInByte = 3864
; TotalNumSgprs: 80
; NumVgprs: 27
; ScratchSize: 0
; MemoryBound: 0
; FloatMode: 240
; IeeeMode: 1
; LDSByteSize: 0 bytes/workgroup (compile time only)
; SGPRBlocks: 0
; VGPRBlocks: 3
; NumSGPRsForWavesPerEU: 80
; NumVGPRsForWavesPerEU: 27
; Occupancy: 16
; WaveLimiterHint : 1
; COMPUTE_PGM_RSRC2:SCRATCH_EN: 0
; COMPUTE_PGM_RSRC2:USER_SGPR: 2
; COMPUTE_PGM_RSRC2:TRAP_HANDLER: 0
; COMPUTE_PGM_RSRC2:TGID_X_EN: 1
; COMPUTE_PGM_RSRC2:TGID_Y_EN: 0
; COMPUTE_PGM_RSRC2:TGID_Z_EN: 0
; COMPUTE_PGM_RSRC2:TIDIG_COMP_CNT: 0
	.text
	.protected	naive_conv_ab_nonpacked_bwd_ndhwc_half_double_half_0 ; -- Begin function naive_conv_ab_nonpacked_bwd_ndhwc_half_double_half_0
	.globl	naive_conv_ab_nonpacked_bwd_ndhwc_half_double_half_0
	.p2align	8
	.type	naive_conv_ab_nonpacked_bwd_ndhwc_half_double_half_0,@function
naive_conv_ab_nonpacked_bwd_ndhwc_half_double_half_0: ; @naive_conv_ab_nonpacked_bwd_ndhwc_half_double_half_0
; %bb.0:
	s_load_b512 s[4:19], s[0:1], 0xb8
	s_mov_b32 s24, exec_lo
	s_wait_kmcnt 0x0
	s_abs_i32 s3, s4
	s_mul_i32 s85, s9, s6
	s_cvt_f32_u32 s2, s3
	s_mul_i32 s33, s85, s5
	s_delay_alu instid0(SALU_CYCLE_2) | instskip(NEXT) | instid1(TRANS32_DEP_1)
	v_rcp_iflag_f32_e32 v1, s2
	v_readfirstlane_b32 s2, v1
	s_mul_f32 s2, s2, 0x4f7ffffe
	s_wait_alu 0xfffe
	s_delay_alu instid0(SALU_CYCLE_2) | instskip(SKIP_2) | instid1(SALU_CYCLE_1)
	s_cvt_u32_f32 s20, s2
	s_sub_co_i32 s2, 0, s3
	s_wait_alu 0xfffe
	s_mul_i32 s2, s2, s20
	s_wait_alu 0xfffe
	s_mul_hi_u32 s21, s20, s2
	s_abs_i32 s2, ttmp9
	s_add_co_i32 s20, s20, s21
	s_wait_alu 0xfffe
	s_mul_hi_u32 s20, s2, s20
	s_delay_alu instid0(SALU_CYCLE_1) | instskip(SKIP_2) | instid1(SALU_CYCLE_1)
	s_mul_i32 s21, s20, s3
	s_add_co_i32 s22, s20, 1
	s_sub_co_i32 s21, s2, s21
	s_sub_co_i32 s23, s21, s3
	s_cmp_ge_u32 s21, s3
	s_cselect_b32 s20, s22, s20
	s_cselect_b32 s21, s23, s21
	s_add_co_i32 s22, s20, 1
	s_cmp_ge_u32 s21, s3
	s_mul_i32 s21, s7, s4
	s_cselect_b32 s22, s22, s20
	s_abs_i32 s20, s7
	s_abs_i32 s7, s21
	s_cvt_f32_u32 s3, s20
	s_cvt_f32_u32 s23, s7
	s_wait_alu 0xfffe
	s_delay_alu instid0(SALU_CYCLE_1) | instskip(NEXT) | instid1(SALU_CYCLE_1)
	v_rcp_iflag_f32_e32 v1, s3
	v_rcp_iflag_f32_e32 v2, s23
	s_mov_b32 s3, 0
	s_delay_alu instid0(TRANS32_DEP_2) | instskip(NEXT) | instid1(TRANS32_DEP_1)
	v_readfirstlane_b32 s23, v1
	v_readfirstlane_b32 s5, v2
	v_cmpx_gt_i32_e64 s33, v0
	s_cbranch_execz .LBB97_37
; %bb.1:
	s_mul_f32 s23, s23, 0x4f7ffffe
	s_ashr_i32 s26, ttmp9, 31
	s_ashr_i32 s24, s4, 31
	s_mul_f32 s5, s5, 0x4f7ffffe
	s_wait_alu 0xfffe
	s_cvt_u32_f32 s23, s23
	s_sub_co_i32 s25, 0, s20
	s_xor_b32 s24, s26, s24
	s_cvt_u32_f32 s5, s5
	s_xor_b32 s22, s22, s24
	s_wait_alu 0xfffe
	s_mul_i32 s25, s25, s23
	s_sub_co_i32 s27, s22, s24
	s_mul_hi_u32 s24, s23, s25
	s_sub_co_i32 s28, 0, s7
	s_abs_i32 s22, s27
	s_add_co_i32 s24, s23, s24
	s_mov_b32 s23, s3
	s_mov_b32 s25, s3
	s_mul_i32 s28, s28, s5
	s_wait_alu 0xfffe
	s_mul_u64 s[24:25], s[22:23], s[24:25]
	s_mul_hi_u32 s24, s5, s28
	s_ashr_i32 s23, s27, 31
	s_add_co_i32 s24, s5, s24
	s_mul_i32 s5, s25, s20
	s_mul_i32 s27, s27, s4
	s_sub_co_i32 s5, s22, s5
	s_ashr_i32 s21, s21, 31
	s_sub_co_i32 s4, ttmp9, s27
	s_sub_co_i32 s22, s5, s20
	s_cmp_ge_u32 s5, s20
	s_mov_b32 s25, s3
	s_wait_alu 0xfffe
	s_cselect_b32 s5, s22, s5
	s_mul_u64 s[34:35], s[2:3], s[24:25]
	s_sub_co_i32 s22, s5, s20
	s_cmp_ge_u32 s5, s20
	s_load_b512 s[36:51], s[0:1], 0x28
	s_cselect_b32 s5, s22, s5
	s_xor_b32 s34, s26, s21
	s_xor_b32 s5, s5, s23
	s_clause 0x1
	s_load_b128 s[28:31], s[0:1], 0xf8
	s_load_b128 s[68:71], s[0:1], 0xa8
	s_sub_co_i32 s72, s5, s23
	s_mul_i32 s5, s35, s7
	s_load_b256 s[20:27], s[0:1], 0x0
	s_sub_co_i32 s2, s2, s5
	s_add_co_i32 s5, s35, 1
	s_wait_alu 0xfffe
	s_sub_co_i32 s52, s2, s7
	s_cmp_ge_u32 s2, s7
	s_clause 0x1
	s_load_b32 s76, s[0:1], 0x108
	s_load_b32 s88, s[0:1], 0x11c
	s_cselect_b32 s5, s5, s35
	s_cselect_b32 s2, s52, s2
	s_add_co_i32 s35, s5, 1
	s_wait_alu 0xfffe
	s_cmp_ge_u32 s2, s7
	s_load_b512 s[52:67], s[0:1], 0x68
	s_cselect_b32 s2, s35, s5
	s_ashr_i32 s73, s72, 31
	s_wait_alu 0xfffe
	s_xor_b32 s2, s2, s34
	s_ashr_i32 s5, s4, 31
	s_wait_alu 0xfffe
	s_sub_co_i32 s74, s2, s34
	s_wait_kmcnt 0x0
	s_mul_u64 s[34:35], s[46:47], s[72:73]
	s_ashr_i32 s75, s74, 31
	s_mul_u64 s[44:45], s[44:45], s[4:5]
	s_mul_u64 s[38:39], s[38:39], s[74:75]
	v_cmp_neq_f64_e64 s2, s[24:25], 1.0
	v_cmp_neq_f64_e64 s7, s[26:27], 0
	s_lshl_b64 s[34:35], s[34:35], 1
	s_lshl_b64 s[44:45], s[44:45], 1
	;; [unrolled: 1-line block ×3, first 2 shown]
	s_cmp_lt_i32 s30, 1
	s_load_b64 s[0:1], s[0:1], 0x20
	s_cselect_b32 s77, -1, 0
	s_add_co_i32 s19, s4, s19
	s_cmp_gt_i32 s31, 0
	s_mul_u64 s[86:87], s[58:59], s[74:75]
	s_cselect_b32 s78, -1, 0
	s_cmp_gt_i32 s76, 0
	v_mov_b32_e32 v15, 0x7e00
	s_cselect_b32 s79, -1, 0
	s_cmp_gt_i32 s8, 0
	s_cselect_b32 s80, -1, 0
	s_abs_i32 s81, s9
	s_abs_i32 s82, s6
	s_cvt_f32_u32 s4, s81
	s_cvt_f32_u32 s6, s82
	s_abs_i32 s84, s85
	s_abs_i32 s59, s13
	v_rcp_iflag_f32_e32 v1, s4
	s_add_nc_u64 s[4:5], s[20:21], s[34:35]
	s_sub_co_i32 s89, 0, s81
	s_lshl_b64 s[34:35], s[56:57], 1
	s_wait_alu 0xfffe
	s_add_nc_u64 s[4:5], s[4:5], s[44:45]
	s_lshl_b64 s[44:45], s[64:65], 1
	s_abs_i32 s64, s15
	s_wait_alu 0xfffe
	s_add_nc_u64 s[4:5], s[4:5], s[38:39]
	s_lshl_b64 s[38:39], s[66:67], 1
	s_ashr_i32 s67, s14, 31
	v_readfirstlane_b32 s46, v1
	v_rcp_iflag_f32_e32 v1, s6
	s_ashr_i32 s65, s85, 31
	s_and_b32 s58, s88, 0xffff
	s_ashr_i32 s13, s13, 31
	s_mul_f32 s20, s46, 0x4f7ffffe
	s_or_b32 s83, s2, s7
	s_lshl_b64 s[6:7], s[54:55], 1
	s_mul_u64 s[54:55], s[62:63], s[74:75]
	s_cvt_u32_f32 s2, s20
	s_lshl_b64 s[20:21], s[52:53], 1
	s_cvt_f32_u32 s52, s84
	v_readfirstlane_b32 s53, v1
	s_wait_alu 0xfffe
	s_mul_i32 s89, s89, s2
	s_abs_i32 s62, s14
	v_rcp_iflag_f32_e32 v1, s52
	s_mul_hi_u32 s56, s2, s89
	s_mul_f32 s52, s53, 0x4f7ffffe
	s_cvt_f32_u32 s53, s59
	s_lshl_b64 s[46:47], s[60:61], 1
	s_add_co_i32 s61, s2, s56
	s_wait_alu 0xfffe
	s_cvt_u32_f32 s52, s52
	v_rcp_iflag_f32_e32 v2, s53
	s_sub_co_i32 s53, 0, s82
	s_cvt_f32_u32 s56, s62
	s_wait_alu 0xfffe
	s_mul_i32 s53, s53, s52
	v_readfirstlane_b32 s2, v1
	s_wait_alu 0xfffe
	s_mul_hi_u32 s53, s52, s53
	v_rcp_iflag_f32_e32 v1, s56
	s_wait_alu 0xfffe
	s_add_co_i32 s63, s52, s53
	s_cvt_f32_u32 s53, s64
	s_mul_f32 s2, s2, 0x4f7ffffe
	v_readfirstlane_b32 s52, v2
	s_sub_co_i32 s56, 0, s84
	s_wait_alu 0xfffe
	v_rcp_iflag_f32_e32 v2, s53
	s_cvt_u32_f32 s2, s2
	s_sub_co_i32 s53, 0, s59
	s_mul_f32 s52, s52, 0x4f7ffffe
	v_readfirstlane_b32 s57, v1
	s_wait_alu 0xfffe
	s_mul_i32 s56, s56, s2
	s_ashr_i32 s75, s15, 31
	s_cvt_u32_f32 s52, s52
	s_wait_alu 0xfffe
	s_mul_hi_u32 s56, s2, s56
	s_lshl_b64 s[54:55], s[54:55], 1
	s_wait_alu 0xfffe
	s_add_co_i32 s66, s2, s56
	s_mul_f32 s56, s57, 0x4f7ffffe
	v_readfirstlane_b32 s57, v2
	s_mul_i32 s53, s53, s52
	s_ashr_i32 s60, s9, 31
	s_wait_alu 0xfffe
	s_mul_hi_u32 s2, s52, s53
	s_mov_b32 s53, s3
	s_wait_alu 0xfffe
	s_add_co_i32 s52, s52, s2
	s_cvt_u32_f32 s2, s56
	s_mul_f32 s56, s57, 0x4f7ffffe
	s_sub_co_i32 s57, 0, s62
	s_wait_alu 0xfffe
	s_mul_i32 s57, s57, s2
	s_cvt_u32_f32 s56, s56
	s_wait_alu 0xfffe
	s_mul_hi_u32 s14, s2, s57
	s_sub_co_i32 s57, 0, s64
	s_add_co_i32 s74, s2, s14
	s_wait_alu 0xfffe
	s_mul_i32 s57, s57, s56
	s_lshl_b64 s[14:15], s[86:87], 1
	s_wait_alu 0xfffe
	s_mul_hi_u32 s2, s56, s57
	s_add_nc_u64 s[14:15], s[22:23], s[14:15]
	s_mul_u64 s[22:23], s[70:71], s[72:73]
	s_wait_alu 0xfffe
	s_add_co_i32 s85, s56, s2
	s_lshl_b64 s[56:57], s[22:23], 1
	s_lshl_b64 s[22:23], s[48:49], 1
	s_wait_alu 0xfffe
	s_add_nc_u64 s[54:55], s[54:55], s[56:57]
	s_lshl_b64 s[48:49], s[50:51], 1
	s_wait_kmcnt 0x0
	s_add_nc_u64 s[50:51], s[0:1], s[54:55]
	s_lshl_b64 s[54:55], s[68:69], 1
	s_mov_b32 s68, 0
	s_branch .LBB97_3
.LBB97_2:                               ;   in Loop: Header=BB97_3 Depth=1
	v_add_nc_u32_e32 v0, s58, v0
	s_delay_alu instid0(VALU_DEP_1) | instskip(SKIP_1) | instid1(SALU_CYCLE_1)
	v_cmp_le_i32_e32 vcc_lo, s33, v0
	s_or_b32 s68, vcc_lo, s68
	s_and_not1_b32 exec_lo, exec_lo, s68
	s_cbranch_execz .LBB97_37
.LBB97_3:                               ; =>This Loop Header: Depth=1
                                        ;     Child Loop BB97_8 Depth 2
                                        ;       Child Loop BB97_17 Depth 3
                                        ;         Child Loop BB97_24 Depth 4
                                        ;           Child Loop BB97_31 Depth 5
	v_sub_nc_u32_e32 v1, 0, v0
	s_mov_b32 s56, -1
                                        ; implicit-def: $vgpr17
	s_delay_alu instid0(VALU_DEP_1) | instskip(NEXT) | instid1(VALU_DEP_1)
	v_max_i32_e32 v4, v0, v1
	v_mul_hi_u32 v1, v4, s61
	s_delay_alu instid0(VALU_DEP_1) | instskip(SKIP_1) | instid1(VALU_DEP_2)
	v_mul_lo_u32 v2, v1, s81
	v_add_nc_u32_e32 v3, 1, v1
	v_sub_nc_u32_e32 v2, v4, v2
	s_delay_alu instid0(VALU_DEP_1) | instskip(SKIP_2) | instid1(VALU_DEP_2)
	v_subrev_nc_u32_e32 v5, s81, v2
	v_cmp_le_u32_e32 vcc_lo, s81, v2
	s_wait_alu 0xfffd
	v_dual_cndmask_b32 v3, v1, v3 :: v_dual_cndmask_b32 v2, v2, v5
	v_ashrrev_i32_e32 v1, 31, v0
	s_delay_alu instid0(VALU_DEP_2) | instskip(NEXT) | instid1(VALU_DEP_3)
	v_add_nc_u32_e32 v5, 1, v3
	v_cmp_le_u32_e32 vcc_lo, s81, v2
	s_delay_alu instid0(VALU_DEP_3) | instskip(SKIP_1) | instid1(VALU_DEP_3)
	v_xor_b32_e32 v6, s60, v1
	s_wait_alu 0xfffd
	v_cndmask_b32_e32 v2, v3, v5, vcc_lo
	s_delay_alu instid0(VALU_DEP_1) | instskip(NEXT) | instid1(VALU_DEP_1)
	v_xor_b32_e32 v2, v2, v6
	v_sub_nc_u32_e32 v2, v2, v6
	s_delay_alu instid0(VALU_DEP_1) | instskip(SKIP_1) | instid1(VALU_DEP_2)
	v_sub_nc_u32_e32 v3, 0, v2
	v_mul_lo_u32 v8, v2, s9
	v_max_i32_e32 v5, v2, v3
	v_mul_hi_u32 v3, v4, s66
	s_delay_alu instid0(VALU_DEP_3) | instskip(NEXT) | instid1(VALU_DEP_3)
	v_sub_nc_u32_e32 v16, v0, v8
	v_mul_hi_u32 v6, v5, s63
	s_delay_alu instid0(VALU_DEP_3) | instskip(NEXT) | instid1(VALU_DEP_2)
	v_mul_lo_u32 v7, v3, s84
	v_mul_lo_u32 v6, v6, s82
	s_delay_alu instid0(VALU_DEP_1) | instskip(NEXT) | instid1(VALU_DEP_3)
	v_sub_nc_u32_e32 v5, v5, v6
	v_sub_nc_u32_e32 v6, v4, v7
	s_delay_alu instid0(VALU_DEP_2) | instskip(NEXT) | instid1(VALU_DEP_2)
	v_subrev_nc_u32_e32 v4, s82, v5
	v_subrev_nc_u32_e32 v7, s84, v6
	v_cmp_le_u32_e32 vcc_lo, s82, v5
	v_cmp_le_u32_e64 s0, s84, v6
	s_wait_alu 0xfffd
	v_cndmask_b32_e32 v4, v5, v4, vcc_lo
	s_wait_alu 0xf1ff
	s_delay_alu instid0(VALU_DEP_2) | instskip(SKIP_1) | instid1(VALU_DEP_2)
	v_cndmask_b32_e64 v5, v6, v7, s0
	s_and_not1_b32 vcc_lo, exec_lo, s77
	v_cmp_le_u32_e64 s2, s82, v4
	s_delay_alu instid0(VALU_DEP_2)
	v_cmp_le_u32_e64 s1, s84, v5
	s_wait_alu 0xfffe
	s_cbranch_vccnz .LBB97_5
; %bb.4:                                ;   in Loop: Header=BB97_3 Depth=1
	v_ashrrev_i32_e32 v17, 31, v16
	s_mov_b32 s56, 0
.LBB97_5:                               ;   in Loop: Header=BB97_3 Depth=1
	v_add_nc_u32_e32 v5, 1, v3
	v_ashrrev_i32_e32 v2, 31, v2
	s_wait_alu 0xfffe
	s_and_not1_b32 vcc_lo, exec_lo, s56
	s_delay_alu instid0(VALU_DEP_2) | instskip(SKIP_1) | instid1(VALU_DEP_2)
	v_cndmask_b32_e64 v3, v3, v5, s0
	v_subrev_nc_u32_e32 v5, s82, v4
	v_add_nc_u32_e32 v6, 1, v3
	s_delay_alu instid0(VALU_DEP_2) | instskip(SKIP_1) | instid1(VALU_DEP_3)
	v_cndmask_b32_e64 v4, v4, v5, s2
	v_xor_b32_e32 v5, s65, v1
	v_cndmask_b32_e64 v1, v3, v6, s1
	s_delay_alu instid0(VALU_DEP_3) | instskip(NEXT) | instid1(VALU_DEP_2)
	v_xor_b32_e32 v3, v4, v2
	v_xor_b32_e32 v4, v1, v5
	s_delay_alu instid0(VALU_DEP_2) | instskip(SKIP_2) | instid1(VALU_DEP_4)
	v_sub_nc_u32_e32 v19, v3, v2
	v_mov_b32_e32 v1, 0
	v_mov_b32_e32 v2, 0
	v_sub_nc_u32_e32 v18, v4, v5
	s_wait_alu 0xfffe
	s_cbranch_vccnz .LBB97_33
; %bb.6:                                ;   in Loop: Header=BB97_3 Depth=1
	v_ashrrev_i32_e32 v17, 31, v16
	v_mad_co_u64_u32 v[3:4], null, s22, v16, s[14:15]
	v_mul_lo_u32 v5, s23, v16
	v_dual_mov_b32 v1, 0 :: v_dual_add_nc_u32 v20, s28, v18
	s_delay_alu instid0(VALU_DEP_4) | instskip(SKIP_2) | instid1(VALU_DEP_2)
	v_mul_lo_u32 v6, s22, v17
	v_dual_mov_b32 v2, 0 :: v_dual_add_nc_u32 v21, s29, v19
	s_mov_b32 s69, 0
	v_add3_u32 v4, v5, v4, v6
	s_branch .LBB97_8
.LBB97_7:                               ;   in Loop: Header=BB97_8 Depth=2
	v_add_co_u32 v3, vcc_lo, v3, s6
	s_wait_alu 0xfffd
	v_add_co_ci_u32_e64 v4, null, s7, v4, vcc_lo
	s_add_co_i32 s69, s69, 1
	s_delay_alu instid0(SALU_CYCLE_1)
	s_cmp_eq_u32 s69, s30
	s_cbranch_scc1 .LBB97_33
.LBB97_8:                               ;   Parent Loop BB97_3 Depth=1
                                        ; =>  This Loop Header: Depth=2
                                        ;       Child Loop BB97_17 Depth 3
                                        ;         Child Loop BB97_24 Depth 4
                                        ;           Child Loop BB97_31 Depth 5
	s_mul_i32 s0, s16, s69
	s_mov_b32 s71, -1
	s_wait_alu 0xfffe
	s_sub_co_i32 s57, s19, s0
	s_mov_b32 s70, 0
	s_wait_alu 0xfffe
	s_cmp_gt_i32 s57, -1
                                        ; implicit-def: $sgpr2
                                        ; implicit-def: $sgpr1
                                        ; implicit-def: $sgpr0
                                        ; implicit-def: $sgpr56
	s_cbranch_scc1 .LBB97_12
; %bb.9:                                ;   in Loop: Header=BB97_8 Depth=2
	s_and_not1_b32 vcc_lo, exec_lo, s71
	s_wait_alu 0xfffe
	s_cbranch_vccz .LBB97_13
.LBB97_10:                              ;   in Loop: Header=BB97_8 Depth=2
	s_and_not1_b32 vcc_lo, exec_lo, s70
	s_mov_b32 s57, 1
	s_wait_alu 0xfffe
	s_cbranch_vccz .LBB97_14
; %bb.11:                               ;   in Loop: Header=BB97_8 Depth=2
	s_and_not1_b32 vcc_lo, exec_lo, s78
	s_wait_alu 0xfffe
	s_cbranch_vccz .LBB97_15
	s_branch .LBB97_7
.LBB97_12:                              ;   in Loop: Header=BB97_8 Depth=2
	s_abs_i32 s2, s57
	s_wait_alu 0xfffe
	s_mul_u64 s[0:1], s[2:3], s[52:53]
	s_wait_alu 0xfffe
	s_mul_i32 s0, s1, s59
	s_wait_alu 0xfffe
	s_sub_co_i32 s0, s2, s0
	s_ashr_i32 s2, s57, 31
	s_wait_alu 0xfffe
	s_sub_co_i32 s56, s0, s59
	s_cmp_ge_u32 s0, s59
	s_wait_alu 0xfffe
	s_cselect_b32 s70, s56, s0
	s_delay_alu instid0(SALU_CYCLE_1) | instskip(SKIP_2) | instid1(SALU_CYCLE_1)
	s_sub_co_i32 s71, s70, s59
	s_cmp_ge_u32 s70, s59
	s_cselect_b32 s70, s71, s70
	s_xor_b32 s70, s70, s2
	s_delay_alu instid0(SALU_CYCLE_1) | instskip(NEXT) | instid1(SALU_CYCLE_1)
	s_sub_co_i32 s70, s70, s2
	s_cmp_lg_u32 s70, 0
	s_cselect_b32 s70, -1, 0
	s_cbranch_execnz .LBB97_10
.LBB97_13:                              ;   in Loop: Header=BB97_8 Depth=2
	s_abs_i32 s2, s57
	s_wait_alu 0xfffe
	s_mul_u64 s[0:1], s[2:3], s[52:53]
	s_wait_alu 0xfffe
	s_mul_i32 s0, s1, s59
	s_wait_alu 0xfffe
	s_sub_co_i32 s0, s2, s0
	s_ashr_i32 s2, s57, 31
	s_wait_alu 0xfffe
	s_sub_co_i32 s56, s0, s59
	s_mov_b32 s57, 1
.LBB97_14:                              ;   in Loop: Header=BB97_8 Depth=2
	s_mov_b32 s57, 0
	s_and_not1_b32 vcc_lo, exec_lo, s78
	s_wait_alu 0xfffe
	s_cbranch_vccnz .LBB97_7
.LBB97_15:                              ;   in Loop: Header=BB97_8 Depth=2
	s_xor_b32 s2, s2, s13
	s_add_co_i32 s70, s1, 1
	s_cmp_ge_u32 s0, s59
	v_dual_mov_b32 v6, v4 :: v_dual_mov_b32 v5, v3
	s_cselect_b32 s1, s70, s1
	s_cselect_b32 s0, s56, s0
	s_wait_alu 0xfffe
	s_add_co_i32 s56, s1, 1
	s_cmp_ge_u32 s0, s59
	s_wait_alu 0xfffe
	s_cselect_b32 s0, s56, s1
	s_wait_alu 0xfffe
	s_xor_b32 s0, s0, s2
	s_wait_alu 0xfffe
	s_sub_co_i32 s56, s0, s2
	s_mov_b32 s2, 0
	s_wait_alu 0xfffe
	s_cmp_lt_i32 s56, s10
	s_cselect_b32 s1, s57, 0
	s_ashr_i32 s57, s56, 31
	s_wait_alu 0xfffe
	s_mul_u64 s[56:57], s[54:55], s[56:57]
	s_wait_alu 0xfffe
	s_add_nc_u64 s[56:57], s[50:51], s[56:57]
	s_branch .LBB97_17
.LBB97_16:                              ;   in Loop: Header=BB97_17 Depth=3
	v_add_co_u32 v5, vcc_lo, v5, s20
	s_wait_alu 0xfffd
	v_add_co_ci_u32_e64 v6, null, s21, v6, vcc_lo
	s_add_co_i32 s2, s2, 1
	s_wait_alu 0xfffe
	s_cmp_eq_u32 s2, s31
	s_cbranch_scc1 .LBB97_7
.LBB97_17:                              ;   Parent Loop BB97_3 Depth=1
                                        ;     Parent Loop BB97_8 Depth=2
                                        ; =>    This Loop Header: Depth=3
                                        ;         Child Loop BB97_24 Depth 4
                                        ;           Child Loop BB97_31 Depth 5
	s_mul_i32 s0, s17, s2
	s_mov_b32 s70, exec_lo
	s_wait_alu 0xfffe
	v_subrev_nc_u32_e32 v8, s0, v20
	s_delay_alu instid0(VALU_DEP_1)
	v_cmp_gt_i32_e64 s0, 0, v8
	v_ashrrev_i32_e32 v7, 31, v8
	v_sub_nc_u32_e32 v9, 0, v8
	v_cmpx_lt_i32_e32 -1, v8
	s_cbranch_execnz .LBB97_20
; %bb.18:                               ;   in Loop: Header=BB97_17 Depth=3
	s_or_b32 exec_lo, exec_lo, s70
	v_mov_b32_e32 v10, 1
	s_and_saveexec_b32 s70, s0
	s_cbranch_execnz .LBB97_21
.LBB97_19:                              ;   in Loop: Header=BB97_17 Depth=3
	s_or_b32 exec_lo, exec_lo, s70
	s_delay_alu instid0(SALU_CYCLE_1)
	s_and_not1_b32 vcc_lo, exec_lo, s79
	s_wait_alu 0xfffe
	s_cbranch_vccz .LBB97_22
	s_branch .LBB97_16
.LBB97_20:                              ;   in Loop: Header=BB97_17 Depth=3
	s_delay_alu instid0(VALU_DEP_2) | instskip(SKIP_1) | instid1(VALU_DEP_1)
	v_max_i32_e32 v10, v8, v9
	s_and_not1_b32 s0, s0, exec_lo
	v_mul_hi_u32 v11, v10, s74
	s_delay_alu instid0(VALU_DEP_1) | instskip(NEXT) | instid1(VALU_DEP_1)
	v_mul_lo_u32 v11, v11, s62
	v_sub_nc_u32_e32 v10, v10, v11
	s_delay_alu instid0(VALU_DEP_1) | instskip(SKIP_2) | instid1(VALU_DEP_2)
	v_subrev_nc_u32_e32 v11, s62, v10
	v_cmp_le_u32_e32 vcc_lo, s62, v10
	s_wait_alu 0xfffd
	v_cndmask_b32_e32 v10, v10, v11, vcc_lo
	s_delay_alu instid0(VALU_DEP_1) | instskip(SKIP_2) | instid1(VALU_DEP_2)
	v_subrev_nc_u32_e32 v11, s62, v10
	v_cmp_le_u32_e32 vcc_lo, s62, v10
	s_wait_alu 0xfffd
	v_cndmask_b32_e32 v10, v10, v11, vcc_lo
	s_delay_alu instid0(VALU_DEP_1) | instskip(NEXT) | instid1(VALU_DEP_1)
	v_xor_b32_e32 v10, v10, v7
	v_sub_nc_u32_e32 v10, v10, v7
	s_delay_alu instid0(VALU_DEP_1)
	v_cmp_ne_u32_e32 vcc_lo, 0, v10
	s_and_b32 s71, vcc_lo, exec_lo
	s_wait_alu 0xfffe
	s_or_b32 s0, s0, s71
	s_or_b32 exec_lo, exec_lo, s70
	v_mov_b32_e32 v10, 1
	s_wait_alu 0xfffe
	s_and_saveexec_b32 s70, s0
	s_cbranch_execz .LBB97_19
.LBB97_21:                              ;   in Loop: Header=BB97_17 Depth=3
	v_mov_b32_e32 v10, 0
	s_or_b32 exec_lo, exec_lo, s70
	s_delay_alu instid0(SALU_CYCLE_1)
	s_and_not1_b32 vcc_lo, exec_lo, s79
	s_wait_alu 0xfffe
	s_cbranch_vccnz .LBB97_16
.LBB97_22:                              ;   in Loop: Header=BB97_17 Depth=3
	v_max_i32_e32 v8, v8, v9
	v_xor_b32_e32 v7, s67, v7
	s_mov_b32 s70, 0
	s_delay_alu instid0(VALU_DEP_2) | instskip(NEXT) | instid1(VALU_DEP_1)
	v_mul_hi_u32 v9, v8, s74
	v_mul_lo_u32 v11, v9, s62
	s_delay_alu instid0(VALU_DEP_1) | instskip(NEXT) | instid1(VALU_DEP_1)
	v_sub_nc_u32_e32 v8, v8, v11
	v_subrev_nc_u32_e32 v12, s62, v8
	v_cmp_le_u32_e32 vcc_lo, s62, v8
	s_wait_alu 0xfffd
	s_delay_alu instid0(VALU_DEP_2) | instskip(NEXT) | instid1(VALU_DEP_1)
	v_dual_cndmask_b32 v8, v8, v12 :: v_dual_add_nc_u32 v11, 1, v9
	v_cndmask_b32_e32 v9, v9, v11, vcc_lo
	s_delay_alu instid0(VALU_DEP_2) | instskip(NEXT) | instid1(VALU_DEP_2)
	v_cmp_le_u32_e32 vcc_lo, s62, v8
	v_add_nc_u32_e32 v11, 1, v9
	s_wait_alu 0xfffd
	s_delay_alu instid0(VALU_DEP_1) | instskip(NEXT) | instid1(VALU_DEP_1)
	v_cndmask_b32_e32 v8, v9, v11, vcc_lo
	v_xor_b32_e32 v8, v8, v7
	s_delay_alu instid0(VALU_DEP_1) | instskip(NEXT) | instid1(VALU_DEP_1)
	v_sub_nc_u32_e32 v9, v8, v7
	v_ashrrev_i32_e32 v11, 31, v9
	v_cmp_gt_i32_e32 vcc_lo, s11, v9
	v_mul_lo_u32 v12, s39, v9
	v_mad_co_u64_u32 v[7:8], null, s38, v9, s[56:57]
	s_delay_alu instid0(VALU_DEP_4) | instskip(SKIP_2) | instid1(VALU_DEP_1)
	v_mul_lo_u32 v11, s38, v11
	s_wait_alu 0xfffd
	v_cndmask_b32_e32 v9, 0, v10, vcc_lo
	v_and_b32_e32 v22, s1, v9
	v_mov_b32_e32 v10, v6
	s_delay_alu instid0(VALU_DEP_4)
	v_add3_u32 v8, v12, v8, v11
	v_mov_b32_e32 v9, v5
	s_branch .LBB97_24
.LBB97_23:                              ;   in Loop: Header=BB97_24 Depth=4
	v_add_co_u32 v9, vcc_lo, v9, s48
	s_wait_alu 0xfffd
	v_add_co_ci_u32_e64 v10, null, s49, v10, vcc_lo
	s_add_co_i32 s70, s70, 1
	s_delay_alu instid0(SALU_CYCLE_1)
	s_cmp_eq_u32 s70, s76
	s_cbranch_scc1 .LBB97_16
.LBB97_24:                              ;   Parent Loop BB97_3 Depth=1
                                        ;     Parent Loop BB97_8 Depth=2
                                        ;       Parent Loop BB97_17 Depth=3
                                        ; =>      This Loop Header: Depth=4
                                        ;           Child Loop BB97_31 Depth 5
	s_mul_i32 s0, s18, s70
	s_wait_alu 0xfffe
	v_subrev_nc_u32_e32 v12, s0, v21
	s_delay_alu instid0(VALU_DEP_1) | instskip(SKIP_3) | instid1(VALU_DEP_4)
	v_sub_nc_u32_e32 v13, 0, v12
	v_cmp_gt_i32_e64 s0, 0, v12
	v_cmp_lt_i32_e32 vcc_lo, -1, v12
	v_ashrrev_i32_e32 v11, 31, v12
	v_max_i32_e32 v12, v12, v13
	s_and_saveexec_b32 s71, vcc_lo
	s_cbranch_execnz .LBB97_27
; %bb.25:                               ;   in Loop: Header=BB97_24 Depth=4
	s_or_b32 exec_lo, exec_lo, s71
	v_mov_b32_e32 v13, 1
	s_and_saveexec_b32 s71, s0
	s_cbranch_execnz .LBB97_28
.LBB97_26:                              ;   in Loop: Header=BB97_24 Depth=4
	s_or_b32 exec_lo, exec_lo, s71
	s_delay_alu instid0(SALU_CYCLE_1)
	s_and_not1_b32 vcc_lo, exec_lo, s80
	s_wait_alu 0xfffe
	s_cbranch_vccz .LBB97_29
	s_branch .LBB97_23
.LBB97_27:                              ;   in Loop: Header=BB97_24 Depth=4
	s_delay_alu instid0(VALU_DEP_1) | instskip(SKIP_1) | instid1(VALU_DEP_1)
	v_mul_hi_u32 v13, v12, s85
	s_and_not1_b32 s0, s0, exec_lo
	v_mul_lo_u32 v13, v13, s64
	s_delay_alu instid0(VALU_DEP_1) | instskip(NEXT) | instid1(VALU_DEP_1)
	v_sub_nc_u32_e32 v13, v12, v13
	v_subrev_nc_u32_e32 v14, s64, v13
	v_cmp_le_u32_e32 vcc_lo, s64, v13
	s_wait_alu 0xfffd
	s_delay_alu instid0(VALU_DEP_2) | instskip(NEXT) | instid1(VALU_DEP_1)
	v_cndmask_b32_e32 v13, v13, v14, vcc_lo
	v_subrev_nc_u32_e32 v14, s64, v13
	v_cmp_le_u32_e32 vcc_lo, s64, v13
	s_wait_alu 0xfffd
	s_delay_alu instid0(VALU_DEP_2) | instskip(NEXT) | instid1(VALU_DEP_1)
	v_cndmask_b32_e32 v13, v13, v14, vcc_lo
	v_xor_b32_e32 v13, v13, v11
	s_delay_alu instid0(VALU_DEP_1) | instskip(NEXT) | instid1(VALU_DEP_1)
	v_sub_nc_u32_e32 v13, v13, v11
	v_cmp_ne_u32_e32 vcc_lo, 0, v13
	s_and_b32 s72, vcc_lo, exec_lo
	s_wait_alu 0xfffe
	s_or_b32 s0, s0, s72
	s_or_b32 exec_lo, exec_lo, s71
	v_mov_b32_e32 v13, 1
	s_wait_alu 0xfffe
	s_and_saveexec_b32 s71, s0
	s_cbranch_execz .LBB97_26
.LBB97_28:                              ;   in Loop: Header=BB97_24 Depth=4
	v_mov_b32_e32 v13, 0
	s_or_b32 exec_lo, exec_lo, s71
	s_delay_alu instid0(SALU_CYCLE_1)
	s_and_not1_b32 vcc_lo, exec_lo, s80
	s_wait_alu 0xfffe
	s_cbranch_vccnz .LBB97_23
.LBB97_29:                              ;   in Loop: Header=BB97_24 Depth=4
	v_mul_hi_u32 v14, v12, s85
	v_xor_b32_e32 v11, s75, v11
	s_mov_b32 s71, s8
	s_delay_alu instid0(VALU_DEP_2) | instskip(NEXT) | instid1(VALU_DEP_1)
	v_mul_lo_u32 v23, v14, s64
	v_sub_nc_u32_e32 v12, v12, v23
	s_delay_alu instid0(VALU_DEP_1) | instskip(SKIP_2) | instid1(VALU_DEP_2)
	v_subrev_nc_u32_e32 v24, s64, v12
	v_cmp_le_u32_e32 vcc_lo, s64, v12
	s_wait_alu 0xfffd
	v_dual_cndmask_b32 v12, v12, v24 :: v_dual_add_nc_u32 v23, 1, v14
	s_delay_alu instid0(VALU_DEP_1) | instskip(NEXT) | instid1(VALU_DEP_2)
	v_cndmask_b32_e32 v14, v14, v23, vcc_lo
	v_cmp_le_u32_e32 vcc_lo, s64, v12
	s_delay_alu instid0(VALU_DEP_2) | instskip(SKIP_1) | instid1(VALU_DEP_1)
	v_add_nc_u32_e32 v23, 1, v14
	s_wait_alu 0xfffd
	v_cndmask_b32_e32 v12, v14, v23, vcc_lo
	s_delay_alu instid0(VALU_DEP_1) | instskip(NEXT) | instid1(VALU_DEP_1)
	v_xor_b32_e32 v12, v12, v11
	v_sub_nc_u32_e32 v11, v12, v11
	s_delay_alu instid0(VALU_DEP_1)
	v_cmp_gt_i32_e32 vcc_lo, s12, v11
	v_ashrrev_i32_e32 v14, 31, v11
	v_mul_lo_u32 v23, s45, v11
	v_mad_co_u64_u32 v[11:12], null, s44, v11, v[7:8]
	s_wait_alu 0xfffd
	v_cndmask_b32_e32 v13, 0, v13, vcc_lo
	v_mul_lo_u32 v14, s44, v14
	s_delay_alu instid0(VALU_DEP_2) | instskip(NEXT) | instid1(VALU_DEP_2)
	v_and_b32_e32 v13, v22, v13
	v_add3_u32 v12, v23, v12, v14
	s_delay_alu instid0(VALU_DEP_2) | instskip(NEXT) | instid1(VALU_DEP_1)
	v_and_b32_e32 v13, 1, v13
	v_cmp_eq_u32_e32 vcc_lo, 1, v13
	v_dual_mov_b32 v14, v10 :: v_dual_mov_b32 v13, v9
	s_branch .LBB97_31
.LBB97_30:                              ;   in Loop: Header=BB97_31 Depth=5
	s_wait_alu 0xfffe
	s_or_b32 exec_lo, exec_lo, s0
	v_add_co_u32 v13, s0, v13, s34
	s_wait_alu 0xf1ff
	v_add_co_ci_u32_e64 v14, null, s35, v14, s0
	v_add_co_u32 v11, s0, v11, s46
	s_wait_alu 0xf1ff
	v_add_co_ci_u32_e64 v12, null, s47, v12, s0
	s_add_co_i32 s71, s71, -1
	s_delay_alu instid0(SALU_CYCLE_1)
	s_cmp_eq_u32 s71, 0
	s_cbranch_scc1 .LBB97_23
.LBB97_31:                              ;   Parent Loop BB97_3 Depth=1
                                        ;     Parent Loop BB97_8 Depth=2
                                        ;       Parent Loop BB97_17 Depth=3
                                        ;         Parent Loop BB97_24 Depth=4
                                        ; =>        This Inner Loop Header: Depth=5
	s_and_saveexec_b32 s0, vcc_lo
	s_cbranch_execz .LBB97_30
; %bb.32:                               ;   in Loop: Header=BB97_31 Depth=5
	global_load_u16 v23, v[11:12], off
	global_load_u16 v24, v[13:14], off
	s_wait_loadcnt 0x1
	v_cvt_f32_f16_e32 v23, v23
	s_wait_loadcnt 0x0
	v_cvt_f32_f16_e32 v25, v24
	s_delay_alu instid0(VALU_DEP_2) | instskip(NEXT) | instid1(VALU_DEP_2)
	v_cvt_f64_f32_e32 v[23:24], v23
	v_cvt_f64_f32_e32 v[25:26], v25
	s_delay_alu instid0(VALU_DEP_1)
	v_fma_f64 v[1:2], v[23:24], v[25:26], v[1:2]
	s_branch .LBB97_30
.LBB97_33:                              ;   in Loop: Header=BB97_3 Depth=1
	v_ashrrev_i32_e32 v5, 31, v19
	v_mul_lo_u32 v6, s41, v19
	v_mad_co_u64_u32 v[3:4], null, s40, v19, 0
	v_ashrrev_i32_e32 v7, 31, v18
	s_delay_alu instid0(VALU_DEP_4) | instskip(SKIP_2) | instid1(VALU_DEP_1)
	v_mul_lo_u32 v5, s40, v5
	s_and_b32 vcc_lo, exec_lo, s83
	s_mov_b32 s0, -1
	v_add3_u32 v4, v4, v5, v6
	v_mul_lo_u32 v5, s43, v18
	v_mul_lo_u32 v6, s42, v7
	s_delay_alu instid0(VALU_DEP_3) | instskip(NEXT) | instid1(VALU_DEP_1)
	v_mad_co_u64_u32 v[3:4], null, s42, v18, v[3:4]
	v_add3_u32 v4, v5, v4, v6
	v_mul_lo_u32 v5, v16, s37
	v_mul_lo_u32 v6, v17, s36
	s_delay_alu instid0(VALU_DEP_3) | instskip(NEXT) | instid1(VALU_DEP_1)
	v_mad_co_u64_u32 v[3:4], null, v16, s36, v[3:4]
	v_add3_u32 v4, v6, v4, v5
	s_wait_alu 0xfffe
	s_cbranch_vccz .LBB97_35
; %bb.34:                               ;   in Loop: Header=BB97_3 Depth=1
	s_delay_alu instid0(VALU_DEP_1) | instskip(SKIP_1) | instid1(VALU_DEP_1)
	v_lshlrev_b64_e32 v[5:6], 1, v[3:4]
	s_mov_b32 s0, 0
	v_add_co_u32 v5, vcc_lo, s4, v5
	s_wait_alu 0xfffd
	s_delay_alu instid0(VALU_DEP_2) | instskip(SKIP_3) | instid1(VALU_DEP_1)
	v_add_co_ci_u32_e64 v6, null, s5, v6, vcc_lo
	global_load_u16 v7, v[5:6], off
	s_wait_loadcnt 0x0
	v_cvt_f32_f16_e32 v7, v7
	v_cvt_f64_f32_e32 v[7:8], v7
	s_delay_alu instid0(VALU_DEP_1) | instskip(NEXT) | instid1(VALU_DEP_1)
	v_mul_f64_e32 v[7:8], s[26:27], v[7:8]
	v_fma_f64 v[7:8], s[24:25], v[1:2], v[7:8]
	s_delay_alu instid0(VALU_DEP_1) | instskip(SKIP_3) | instid1(VALU_DEP_4)
	v_and_or_b32 v7, 0x1ff, v8, v7
	v_lshrrev_b32_e32 v9, 8, v8
	v_bfe_u32 v10, v8, 20, 11
	v_lshrrev_b32_e32 v8, 16, v8
	v_cmp_ne_u32_e32 vcc_lo, 0, v7
	s_delay_alu instid0(VALU_DEP_3) | instskip(SKIP_2) | instid1(VALU_DEP_1)
	v_sub_nc_u32_e32 v11, 0x3f1, v10
	s_wait_alu 0xfffd
	v_cndmask_b32_e64 v7, 0, 1, vcc_lo
	v_and_or_b32 v7, 0xffe, v9, v7
	s_delay_alu instid0(VALU_DEP_3) | instskip(NEXT) | instid1(VALU_DEP_2)
	v_med3_i32 v9, v11, 0, 13
	v_or_b32_e32 v11, 0x1000, v7
	s_delay_alu instid0(VALU_DEP_1) | instskip(NEXT) | instid1(VALU_DEP_1)
	v_lshrrev_b32_e32 v12, v9, v11
	v_lshlrev_b32_e32 v9, v9, v12
	s_delay_alu instid0(VALU_DEP_1) | instskip(SKIP_2) | instid1(VALU_DEP_1)
	v_cmp_ne_u32_e32 vcc_lo, v9, v11
	s_wait_alu 0xfffd
	v_cndmask_b32_e64 v9, 0, 1, vcc_lo
	v_or_b32_e32 v9, v12, v9
	v_add_nc_u32_e32 v10, 0xfffffc10, v10
	s_delay_alu instid0(VALU_DEP_1) | instskip(SKIP_2) | instid1(VALU_DEP_2)
	v_lshl_or_b32 v11, v10, 12, v7
	v_cmp_gt_i32_e32 vcc_lo, 1, v10
	s_wait_alu 0xfffd
	v_cndmask_b32_e32 v9, v11, v9, vcc_lo
	s_delay_alu instid0(VALU_DEP_1) | instskip(SKIP_1) | instid1(VALU_DEP_2)
	v_and_b32_e32 v11, 7, v9
	v_lshrrev_b32_e32 v9, 2, v9
	v_cmp_lt_i32_e32 vcc_lo, 5, v11
	s_wait_alu 0xfffd
	v_cndmask_b32_e64 v12, 0, 1, vcc_lo
	v_cmp_eq_u32_e32 vcc_lo, 3, v11
	s_wait_alu 0xfffd
	v_cndmask_b32_e64 v11, 0, 1, vcc_lo
	v_cmp_ne_u32_e32 vcc_lo, 0, v7
	s_delay_alu instid0(VALU_DEP_2) | instskip(SKIP_3) | instid1(VALU_DEP_3)
	v_or_b32_e32 v11, v11, v12
	s_wait_alu 0xfffd
	v_cndmask_b32_e32 v7, 0x7c00, v15, vcc_lo
	v_cmp_gt_i32_e32 vcc_lo, 31, v10
	v_add_nc_u32_e32 v9, v9, v11
	s_wait_alu 0xfffd
	s_delay_alu instid0(VALU_DEP_1) | instskip(SKIP_2) | instid1(VALU_DEP_2)
	v_cndmask_b32_e32 v9, 0x7c00, v9, vcc_lo
	v_cmp_eq_u32_e32 vcc_lo, 0x40f, v10
	s_wait_alu 0xfffd
	v_cndmask_b32_e32 v7, v9, v7, vcc_lo
	s_delay_alu instid0(VALU_DEP_1)
	v_and_or_b32 v7, 0x8000, v8, v7
	global_store_b16 v[5:6], v7, off
.LBB97_35:                              ;   in Loop: Header=BB97_3 Depth=1
	s_wait_alu 0xfffe
	s_and_not1_b32 vcc_lo, exec_lo, s0
	s_wait_alu 0xfffe
	s_cbranch_vccnz .LBB97_2
; %bb.36:                               ;   in Loop: Header=BB97_3 Depth=1
	v_and_or_b32 v1, 0x1ff, v2, v1
	v_lshrrev_b32_e32 v5, 8, v2
	v_bfe_u32 v6, v2, 20, 11
	s_delay_alu instid0(VALU_DEP_3) | instskip(NEXT) | instid1(VALU_DEP_2)
	v_cmp_ne_u32_e32 vcc_lo, 0, v1
	v_sub_nc_u32_e32 v7, 0x3f1, v6
	s_wait_alu 0xfffd
	v_cndmask_b32_e64 v1, 0, 1, vcc_lo
	s_delay_alu instid0(VALU_DEP_1) | instskip(NEXT) | instid1(VALU_DEP_3)
	v_and_or_b32 v1, 0xffe, v5, v1
	v_med3_i32 v5, v7, 0, 13
	s_delay_alu instid0(VALU_DEP_2) | instskip(NEXT) | instid1(VALU_DEP_1)
	v_or_b32_e32 v7, 0x1000, v1
	v_lshrrev_b32_e32 v8, v5, v7
	s_delay_alu instid0(VALU_DEP_1) | instskip(NEXT) | instid1(VALU_DEP_1)
	v_lshlrev_b32_e32 v5, v5, v8
	v_cmp_ne_u32_e32 vcc_lo, v5, v7
	s_wait_alu 0xfffd
	v_cndmask_b32_e64 v5, 0, 1, vcc_lo
	s_delay_alu instid0(VALU_DEP_1) | instskip(SKIP_1) | instid1(VALU_DEP_1)
	v_or_b32_e32 v5, v8, v5
	v_add_nc_u32_e32 v6, 0xfffffc10, v6
	v_lshl_or_b32 v7, v6, 12, v1
	v_cmp_gt_i32_e32 vcc_lo, 1, v6
	s_wait_alu 0xfffd
	s_delay_alu instid0(VALU_DEP_2) | instskip(NEXT) | instid1(VALU_DEP_1)
	v_cndmask_b32_e32 v5, v7, v5, vcc_lo
	v_and_b32_e32 v7, 7, v5
	v_lshrrev_b32_e32 v5, 2, v5
	s_delay_alu instid0(VALU_DEP_2)
	v_cmp_lt_i32_e32 vcc_lo, 5, v7
	s_wait_alu 0xfffd
	v_cndmask_b32_e64 v8, 0, 1, vcc_lo
	v_cmp_eq_u32_e32 vcc_lo, 3, v7
	s_wait_alu 0xfffd
	v_cndmask_b32_e64 v7, 0, 1, vcc_lo
	v_cmp_ne_u32_e32 vcc_lo, 0, v1
	s_delay_alu instid0(VALU_DEP_2) | instskip(SKIP_3) | instid1(VALU_DEP_3)
	v_or_b32_e32 v7, v7, v8
	s_wait_alu 0xfffd
	v_cndmask_b32_e32 v1, 0x7c00, v15, vcc_lo
	v_cmp_gt_i32_e32 vcc_lo, 31, v6
	v_add_nc_u32_e32 v5, v5, v7
	v_lshrrev_b32_e32 v7, 16, v2
	s_wait_alu 0xfffd
	s_delay_alu instid0(VALU_DEP_2) | instskip(SKIP_2) | instid1(VALU_DEP_2)
	v_cndmask_b32_e32 v5, 0x7c00, v5, vcc_lo
	v_cmp_eq_u32_e32 vcc_lo, 0x40f, v6
	s_wait_alu 0xfffd
	v_cndmask_b32_e32 v5, v5, v1, vcc_lo
	v_lshlrev_b64_e32 v[1:2], 1, v[3:4]
	s_delay_alu instid0(VALU_DEP_2) | instskip(NEXT) | instid1(VALU_DEP_2)
	v_and_or_b32 v3, 0x8000, v7, v5
	v_add_co_u32 v1, vcc_lo, s4, v1
	s_wait_alu 0xfffd
	s_delay_alu instid0(VALU_DEP_3)
	v_add_co_ci_u32_e64 v2, null, s5, v2, vcc_lo
	global_store_b16 v[1:2], v3, off
	s_branch .LBB97_2
.LBB97_37:
	s_endpgm
	.section	.rodata,"a",@progbits
	.p2align	6, 0x0
	.amdhsa_kernel naive_conv_ab_nonpacked_bwd_ndhwc_half_double_half_0
		.amdhsa_group_segment_fixed_size 0
		.amdhsa_private_segment_fixed_size 0
		.amdhsa_kernarg_size 528
		.amdhsa_user_sgpr_count 2
		.amdhsa_user_sgpr_dispatch_ptr 0
		.amdhsa_user_sgpr_queue_ptr 0
		.amdhsa_user_sgpr_kernarg_segment_ptr 1
		.amdhsa_user_sgpr_dispatch_id 0
		.amdhsa_user_sgpr_private_segment_size 0
		.amdhsa_wavefront_size32 1
		.amdhsa_uses_dynamic_stack 0
		.amdhsa_enable_private_segment 0
		.amdhsa_system_sgpr_workgroup_id_x 1
		.amdhsa_system_sgpr_workgroup_id_y 0
		.amdhsa_system_sgpr_workgroup_id_z 0
		.amdhsa_system_sgpr_workgroup_info 0
		.amdhsa_system_vgpr_workitem_id 0
		.amdhsa_next_free_vgpr 27
		.amdhsa_next_free_sgpr 90
		.amdhsa_reserve_vcc 1
		.amdhsa_float_round_mode_32 0
		.amdhsa_float_round_mode_16_64 0
		.amdhsa_float_denorm_mode_32 3
		.amdhsa_float_denorm_mode_16_64 3
		.amdhsa_fp16_overflow 0
		.amdhsa_workgroup_processor_mode 1
		.amdhsa_memory_ordered 1
		.amdhsa_forward_progress 1
		.amdhsa_inst_pref_size 30
		.amdhsa_round_robin_scheduling 0
		.amdhsa_exception_fp_ieee_invalid_op 0
		.amdhsa_exception_fp_denorm_src 0
		.amdhsa_exception_fp_ieee_div_zero 0
		.amdhsa_exception_fp_ieee_overflow 0
		.amdhsa_exception_fp_ieee_underflow 0
		.amdhsa_exception_fp_ieee_inexact 0
		.amdhsa_exception_int_div_zero 0
	.end_amdhsa_kernel
	.text
.Lfunc_end97:
	.size	naive_conv_ab_nonpacked_bwd_ndhwc_half_double_half_0, .Lfunc_end97-naive_conv_ab_nonpacked_bwd_ndhwc_half_double_half_0
                                        ; -- End function
	.set naive_conv_ab_nonpacked_bwd_ndhwc_half_double_half_0.num_vgpr, 27
	.set naive_conv_ab_nonpacked_bwd_ndhwc_half_double_half_0.num_agpr, 0
	.set naive_conv_ab_nonpacked_bwd_ndhwc_half_double_half_0.numbered_sgpr, 90
	.set naive_conv_ab_nonpacked_bwd_ndhwc_half_double_half_0.num_named_barrier, 0
	.set naive_conv_ab_nonpacked_bwd_ndhwc_half_double_half_0.private_seg_size, 0
	.set naive_conv_ab_nonpacked_bwd_ndhwc_half_double_half_0.uses_vcc, 1
	.set naive_conv_ab_nonpacked_bwd_ndhwc_half_double_half_0.uses_flat_scratch, 0
	.set naive_conv_ab_nonpacked_bwd_ndhwc_half_double_half_0.has_dyn_sized_stack, 0
	.set naive_conv_ab_nonpacked_bwd_ndhwc_half_double_half_0.has_recursion, 0
	.set naive_conv_ab_nonpacked_bwd_ndhwc_half_double_half_0.has_indirect_call, 0
	.section	.AMDGPU.csdata,"",@progbits
; Kernel info:
; codeLenInByte = 3812
; TotalNumSgprs: 92
; NumVgprs: 27
; ScratchSize: 0
; MemoryBound: 0
; FloatMode: 240
; IeeeMode: 1
; LDSByteSize: 0 bytes/workgroup (compile time only)
; SGPRBlocks: 0
; VGPRBlocks: 3
; NumSGPRsForWavesPerEU: 92
; NumVGPRsForWavesPerEU: 27
; Occupancy: 16
; WaveLimiterHint : 1
; COMPUTE_PGM_RSRC2:SCRATCH_EN: 0
; COMPUTE_PGM_RSRC2:USER_SGPR: 2
; COMPUTE_PGM_RSRC2:TRAP_HANDLER: 0
; COMPUTE_PGM_RSRC2:TGID_X_EN: 1
; COMPUTE_PGM_RSRC2:TGID_Y_EN: 0
; COMPUTE_PGM_RSRC2:TGID_Z_EN: 0
; COMPUTE_PGM_RSRC2:TIDIG_COMP_CNT: 0
	.text
	.protected	naive_conv_ab_packed_bwd_ndhwc_ushort_double_ushort_0 ; -- Begin function naive_conv_ab_packed_bwd_ndhwc_ushort_double_ushort_0
	.globl	naive_conv_ab_packed_bwd_ndhwc_ushort_double_ushort_0
	.p2align	8
	.type	naive_conv_ab_packed_bwd_ndhwc_ushort_double_ushort_0,@function
naive_conv_ab_packed_bwd_ndhwc_ushort_double_ushort_0: ; @naive_conv_ab_packed_bwd_ndhwc_ushort_double_ushort_0
; %bb.0:
	s_load_b512 s[4:19], s[0:1], 0xb8
	s_mov_b32 s25, exec_lo
	s_wait_kmcnt 0x0
	s_abs_i32 s3, s4
	s_mul_i32 s54, s9, s6
	s_cvt_f32_u32 s2, s3
	s_mul_i32 s33, s54, s5
	s_delay_alu instid0(SALU_CYCLE_2) | instskip(NEXT) | instid1(TRANS32_DEP_1)
	v_rcp_iflag_f32_e32 v1, s2
	v_readfirstlane_b32 s2, v1
	s_mul_f32 s2, s2, 0x4f7ffffe
	s_wait_alu 0xfffe
	s_delay_alu instid0(SALU_CYCLE_2) | instskip(SKIP_2) | instid1(SALU_CYCLE_1)
	s_cvt_u32_f32 s20, s2
	s_sub_co_i32 s2, 0, s3
	s_wait_alu 0xfffe
	s_mul_i32 s2, s2, s20
	s_wait_alu 0xfffe
	s_mul_hi_u32 s21, s20, s2
	s_abs_i32 s2, ttmp9
	s_add_co_i32 s20, s20, s21
	s_wait_alu 0xfffe
	s_mul_hi_u32 s20, s2, s20
	s_delay_alu instid0(SALU_CYCLE_1) | instskip(SKIP_2) | instid1(SALU_CYCLE_1)
	s_mul_i32 s21, s20, s3
	s_add_co_i32 s22, s20, 1
	s_sub_co_i32 s21, s2, s21
	s_sub_co_i32 s23, s21, s3
	s_cmp_ge_u32 s21, s3
	s_cselect_b32 s20, s22, s20
	s_cselect_b32 s21, s23, s21
	s_add_co_i32 s22, s20, 1
	s_cmp_ge_u32 s21, s3
	s_mul_i32 s21, s7, s4
	s_cselect_b32 s22, s22, s20
	s_abs_i32 s20, s7
	s_abs_i32 s7, s21
	s_cvt_f32_u32 s3, s20
	s_cvt_f32_u32 s23, s7
	s_wait_alu 0xfffe
	s_delay_alu instid0(SALU_CYCLE_1) | instskip(NEXT) | instid1(SALU_CYCLE_1)
	v_rcp_iflag_f32_e32 v1, s3
	v_rcp_iflag_f32_e32 v2, s23
	s_mov_b32 s3, 0
	s_delay_alu instid0(TRANS32_DEP_2) | instskip(NEXT) | instid1(TRANS32_DEP_1)
	v_readfirstlane_b32 s24, v1
	v_readfirstlane_b32 s23, v2
	v_cmpx_gt_i32_e64 s33, v0
	s_cbranch_execz .LBB98_37
; %bb.1:
	s_mul_f32 s24, s24, 0x4f7ffffe
	s_ashr_i32 s26, ttmp9, 31
	s_ashr_i32 s39, s4, 31
	s_sub_co_i32 s25, 0, s20
	s_cvt_u32_f32 s24, s24
	s_xor_b32 s27, s26, s39
	s_mul_f32 s28, s23, 0x4f7ffffe
	s_xor_b32 s22, s22, s27
	s_mul_i32 s25, s25, s24
	s_wait_alu 0xfffe
	s_sub_co_i32 s27, s22, s27
	s_mul_hi_u32 s23, s24, s25
	s_abs_i32 s22, s27
	s_wait_alu 0xfffe
	s_add_co_i32 s24, s24, s23
	s_mov_b32 s23, s3
	s_cvt_u32_f32 s28, s28
	s_mov_b32 s25, s3
	s_sub_co_i32 s29, 0, s7
	s_wait_alu 0xfffe
	s_mul_u64 s[24:25], s[22:23], s[24:25]
	s_mul_i32 s29, s29, s28
	s_mul_i32 s25, s25, s20
	s_ashr_i32 s23, s27, 31
	s_mul_hi_u32 s24, s28, s29
	s_mul_i32 s27, s27, s4
	s_sub_co_i32 s22, s22, s25
	s_ashr_i32 s21, s21, 31
	s_add_co_i32 s24, s28, s24
	s_sub_co_i32 s40, ttmp9, s27
	s_wait_alu 0xfffe
	s_sub_co_i32 s27, s22, s20
	s_cmp_ge_u32 s22, s20
	s_mov_b32 s25, s3
	s_cselect_b32 s22, s27, s22
	s_mul_u64 s[28:29], s[2:3], s[24:25]
	s_wait_alu 0xfffe
	s_sub_co_i32 s24, s22, s20
	s_cmp_ge_u32 s22, s20
	s_load_b64 s[34:35], s[0:1], 0x108
	s_cselect_b32 s20, s24, s22
	s_xor_b32 s37, s26, s21
	s_xor_b32 s20, s20, s23
	s_add_co_i32 s28, s29, 1
	s_sub_co_i32 s48, s20, s23
	s_mul_i32 s20, s29, s7
	s_mov_b32 s42, s5
	s_sub_co_i32 s2, s2, s20
	s_load_b256 s[20:27], s[0:1], 0x0
	s_sub_co_i32 s30, s2, s7
	s_cmp_ge_u32 s2, s7
	s_mov_b32 s46, s12
	s_cselect_b32 s36, s28, s29
	s_cselect_b32 s2, s30, s2
	s_load_b128 s[28:31], s[0:1], 0xf8
	s_add_co_i32 s38, s36, 1
	s_cmp_ge_u32 s2, s7
	s_load_b32 s55, s[0:1], 0x11c
	s_cselect_b32 s2, s38, s36
	s_wait_kmcnt 0x0
	s_mul_i32 s36, s35, s9
	s_wait_alu 0xfffe
	s_xor_b32 s2, s2, s37
	s_ashr_i32 s49, s48, 31
	s_mov_b32 s38, s4
	s_ashr_i32 s43, s5, 31
	s_ashr_i32 s7, s6, 31
	s_wait_alu 0xfffe
	s_sub_co_i32 s50, s2, s37
	s_mul_u64 s[38:39], s[48:49], s[38:39]
	s_ashr_i32 s37, s36, 31
	s_ashr_i32 s41, s40, 31
	s_mul_u64 s[42:43], s[6:7], s[42:43]
	s_add_nc_u64 s[38:39], s[38:39], s[40:41]
	s_ashr_i32 s51, s50, 31
	s_ashr_i32 s5, s9, 31
	s_mov_b32 s4, s9
	s_mul_u64 s[42:43], s[42:43], s[36:37]
	s_mul_u64 s[44:45], s[50:51], s[4:5]
	;; [unrolled: 1-line block ×3, first 2 shown]
	s_mul_i32 s7, s35, s8
	s_lshl_b64 s[62:63], s[38:39], 1
	s_lshl_b64 s[64:65], s[44:45], 1
	s_ashr_i32 s53, s8, 31
	s_ashr_i32 s39, s30, 31
	;; [unrolled: 1-line block ×8, first 2 shown]
	s_cmp_lt_i32 s30, 1
	v_cmp_neq_f64_e64 s2, s[24:25], 1.0
	s_cselect_b32 s57, -1, 0
	s_add_co_i32 s19, s40, s19
	v_cmp_neq_f64_e64 s66, s[26:27], 0
	s_cmp_gt_i32 s31, 0
	s_add_nc_u64 s[20:21], s[20:21], s[62:63]
	s_cselect_b32 s58, -1, 0
	s_cmp_gt_i32 s34, 0
	s_add_nc_u64 s[20:21], s[20:21], s[64:65]
	s_cselect_b32 s59, -1, 0
	s_cmp_gt_i32 s8, 0
	s_mov_b32 s44, s11
	s_cselect_b32 s60, -1, 0
	s_abs_i32 s9, s9
	s_abs_i32 s61, s6
	s_cvt_f32_u32 s38, s9
	s_cvt_f32_u32 s40, s61
	s_abs_i32 s62, s54
	s_abs_i32 s64, s13
	v_rcp_iflag_f32_e32 v1, s38
	s_mov_b32 s38, s30
	s_cvt_f32_u32 s12, s62
	s_sub_co_i32 s11, 0, s9
	s_abs_i32 s67, s14
	s_abs_i32 s69, s15
	s_load_b64 s[0:1], s[0:1], 0x20
	s_ashr_i32 s72, s13, 31
	s_sub_co_i32 s13, 0, s67
	s_ashr_i32 s70, s54, 31
	v_readfirstlane_b32 s42, v1
	v_rcp_iflag_f32_e32 v1, s40
	s_mov_b32 s52, s8
	s_mov_b32 s40, s31
	s_ashr_i32 s73, s14, 31
	s_mul_f32 s30, s42, 0x4f7ffffe
	s_mov_b32 s42, s10
	s_ashr_i32 s75, s15, 31
	s_wait_alu 0xfffe
	s_mul_u64 s[14:15], s[34:35], s[40:41]
	s_cvt_u32_f32 s10, s30
	s_and_b32 s65, s55, 0xffff
	v_readfirstlane_b32 s30, v1
	s_or_b32 s63, s2, s66
	v_rcp_iflag_f32_e32 v1, s12
	s_cvt_f32_u32 s12, s64
	s_mul_i32 s11, s11, s10
	s_mul_f32 s2, s30, 0x4f7ffffe
	s_mul_hi_u32 s11, s10, s11
	s_wait_alu 0xfffe
	v_rcp_iflag_f32_e32 v2, s12
	s_sub_co_i32 s12, 0, s61
	s_cvt_u32_f32 s2, s2
	s_add_co_i32 s66, s10, s11
	v_readfirstlane_b32 s10, v1
	s_wait_alu 0xfffe
	s_mul_i32 s12, s12, s2
	s_wait_alu 0xfffe
	s_mul_hi_u32 s11, s2, s12
	s_cvt_f32_u32 s12, s67
	s_add_co_i32 s68, s2, s11
	s_cvt_f32_u32 s11, s69
	s_mul_f32 s2, s10, 0x4f7ffffe
	s_wait_alu 0xfffe
	v_rcp_iflag_f32_e32 v1, s12
	v_readfirstlane_b32 s10, v2
	v_rcp_iflag_f32_e32 v2, s11
	s_cvt_u32_f32 s2, s2
	s_sub_co_i32 s12, 0, s62
	s_sub_co_i32 s11, 0, s64
	s_mul_f32 s10, s10, 0x4f7ffffe
	s_wait_alu 0xfffe
	s_mul_i32 s12, s12, s2
	s_wait_alu 0xfffe
	s_mul_hi_u32 s12, s2, s12
	v_readfirstlane_b32 s30, v1
	s_cvt_u32_f32 s10, s10
	s_wait_alu 0xfffe
	s_add_co_i32 s71, s2, s12
	s_mul_f32 s12, s30, 0x4f7ffffe
	v_readfirstlane_b32 s30, v2
	s_mul_i32 s11, s11, s10
	s_wait_alu 0xfffe
	s_mul_hi_u32 s2, s10, s11
	s_mov_b32 s11, s3
	s_wait_alu 0xfffe
	s_add_co_i32 s10, s10, s2
	s_cvt_u32_f32 s2, s12
	s_mul_f32 s12, s30, 0x4f7ffffe
	s_mul_u64 s[30:31], s[52:53], s[50:51]
	s_mul_u64 s[50:51], s[46:47], s[44:45]
	s_wait_alu 0xfffe
	s_mul_i32 s13, s13, s2
	s_cvt_u32_f32 s54, s12
	s_wait_alu 0xfffe
	s_mul_hi_u32 s12, s2, s13
	s_sub_co_i32 s13, 0, s69
	s_wait_alu 0xfffe
	s_add_co_i32 s74, s2, s12
	s_mul_i32 s13, s13, s54
	s_wait_alu 0xfffe
	s_mul_hi_u32 s2, s54, s13
	s_lshl_b64 s[12:13], s[30:31], 1
	s_wait_alu 0xfffe
	s_add_co_i32 s41, s54, s2
	s_wait_kmcnt 0x0
	s_add_nc_u64 s[12:13], s[0:1], s[12:13]
	s_mul_u64 s[0:1], s[14:15], s[4:5]
	s_mul_u64 s[14:15], s[50:51], s[42:43]
	;; [unrolled: 1-line block ×6, first 2 shown]
	s_lshl_b64 s[30:31], s[30:31], 1
	s_lshl_b64 s[14:15], s[14:15], 1
	s_add_nc_u64 s[22:23], s[22:23], s[30:31]
	s_lshl_b64 s[30:31], s[0:1], 1
	s_lshl_b64 s[48:49], s[48:49], 1
	;; [unrolled: 1-line block ×4, first 2 shown]
	s_mov_b32 s35, 0
	s_branch .LBB98_3
.LBB98_2:                               ;   in Loop: Header=BB98_3 Depth=1
	v_add_nc_u32_e32 v0, s65, v0
	s_delay_alu instid0(VALU_DEP_1) | instskip(SKIP_1) | instid1(SALU_CYCLE_1)
	v_cmp_le_i32_e32 vcc_lo, s33, v0
	s_or_b32 s35, vcc_lo, s35
	s_and_not1_b32 exec_lo, exec_lo, s35
	s_cbranch_execz .LBB98_37
.LBB98_3:                               ; =>This Loop Header: Depth=1
                                        ;     Child Loop BB98_8 Depth 2
                                        ;       Child Loop BB98_17 Depth 3
                                        ;         Child Loop BB98_24 Depth 4
                                        ;           Child Loop BB98_31 Depth 5
	v_sub_nc_u32_e32 v1, 0, v0
	s_mov_b32 s39, -1
	s_delay_alu instid0(VALU_DEP_1) | instskip(NEXT) | instid1(VALU_DEP_1)
	v_max_i32_e32 v1, v0, v1
	v_mul_hi_u32 v2, v1, s66
	s_delay_alu instid0(VALU_DEP_1) | instskip(NEXT) | instid1(VALU_DEP_1)
	v_mul_lo_u32 v3, v2, s9
	v_sub_nc_u32_e32 v4, v1, v3
	s_delay_alu instid0(VALU_DEP_1) | instskip(SKIP_2) | instid1(VALU_DEP_2)
	v_subrev_nc_u32_e32 v5, s9, v4
	v_cmp_le_u32_e32 vcc_lo, s9, v4
	s_wait_alu 0xfffd
	v_dual_cndmask_b32 v4, v4, v5 :: v_dual_add_nc_u32 v3, 1, v2
	s_delay_alu instid0(VALU_DEP_1) | instskip(SKIP_1) | instid1(VALU_DEP_3)
	v_cndmask_b32_e32 v2, v2, v3, vcc_lo
	v_ashrrev_i32_e32 v3, 31, v0
	v_cmp_le_u32_e32 vcc_lo, s9, v4
	s_delay_alu instid0(VALU_DEP_3) | instskip(NEXT) | instid1(VALU_DEP_3)
	v_add_nc_u32_e32 v5, 1, v2
	v_xor_b32_e32 v6, s5, v3
	s_wait_alu 0xfffd
	s_delay_alu instid0(VALU_DEP_2) | instskip(SKIP_1) | instid1(VALU_DEP_2)
	v_cndmask_b32_e32 v2, v2, v5, vcc_lo
	v_mul_hi_u32 v5, v1, s71
	v_xor_b32_e32 v2, v2, v6
	s_delay_alu instid0(VALU_DEP_2) | instskip(NEXT) | instid1(VALU_DEP_2)
	v_mul_lo_u32 v7, v5, s62
	v_sub_nc_u32_e32 v4, v2, v6
	s_delay_alu instid0(VALU_DEP_1) | instskip(SKIP_1) | instid1(VALU_DEP_4)
	v_sub_nc_u32_e32 v2, 0, v4
	v_mul_lo_u32 v8, v4, s4
	v_sub_nc_u32_e32 v1, v1, v7
	s_delay_alu instid0(VALU_DEP_3) | instskip(NEXT) | instid1(VALU_DEP_2)
	v_max_i32_e32 v2, v4, v2
	v_subrev_nc_u32_e32 v7, s62, v1
	v_cmp_le_u32_e64 s0, s62, v1
	s_delay_alu instid0(VALU_DEP_3) | instskip(NEXT) | instid1(VALU_DEP_1)
	v_mul_hi_u32 v6, v2, s68
	v_mul_lo_u32 v6, v6, s61
	s_delay_alu instid0(VALU_DEP_1) | instskip(NEXT) | instid1(VALU_DEP_1)
	v_sub_nc_u32_e32 v2, v2, v6
	v_subrev_nc_u32_e32 v6, s61, v2
	v_cmp_le_u32_e32 vcc_lo, s61, v2
	s_wait_alu 0xfffd
	s_delay_alu instid0(VALU_DEP_2)
	v_cndmask_b32_e32 v6, v2, v6, vcc_lo
	s_wait_alu 0xf1ff
	v_cndmask_b32_e64 v2, v1, v7, s0
	v_sub_nc_u32_e32 v1, v0, v8
	s_and_not1_b32 vcc_lo, exec_lo, s57
	v_cmp_le_u32_e64 s2, s61, v6
	s_delay_alu instid0(VALU_DEP_3)
	v_cmp_le_u32_e64 s1, s62, v2
	s_wait_alu 0xfffe
	s_cbranch_vccnz .LBB98_5
; %bb.4:                                ;   in Loop: Header=BB98_3 Depth=1
	v_ashrrev_i32_e32 v2, 31, v1
	s_mov_b32 s39, 0
.LBB98_5:                               ;   in Loop: Header=BB98_3 Depth=1
	v_add_nc_u32_e32 v7, 1, v5
	v_ashrrev_i32_e32 v4, 31, v4
	s_wait_alu 0xfffe
	s_and_not1_b32 vcc_lo, exec_lo, s39
	s_delay_alu instid0(VALU_DEP_2) | instskip(SKIP_1) | instid1(VALU_DEP_2)
	v_cndmask_b32_e64 v5, v5, v7, s0
	v_subrev_nc_u32_e32 v7, s61, v6
	v_add_nc_u32_e32 v8, 1, v5
	s_delay_alu instid0(VALU_DEP_2) | instskip(SKIP_1) | instid1(VALU_DEP_3)
	v_cndmask_b32_e64 v6, v6, v7, s2
	v_xor_b32_e32 v7, s70, v3
	v_cndmask_b32_e64 v3, v5, v8, s1
	s_delay_alu instid0(VALU_DEP_3) | instskip(NEXT) | instid1(VALU_DEP_2)
	v_xor_b32_e32 v5, v6, v4
	v_xor_b32_e32 v6, v3, v7
	s_delay_alu instid0(VALU_DEP_2) | instskip(SKIP_2) | instid1(VALU_DEP_4)
	v_sub_nc_u32_e32 v5, v5, v4
	v_mov_b32_e32 v3, 0
	v_mov_b32_e32 v4, 0
	v_sub_nc_u32_e32 v18, v6, v7
	s_wait_alu 0xfffe
	s_cbranch_vccnz .LBB98_33
; %bb.6:                                ;   in Loop: Header=BB98_3 Depth=1
	v_ashrrev_i32_e32 v2, 31, v1
	v_dual_mov_b32 v3, 0 :: v_dual_add_nc_u32 v20, s29, v5
	v_dual_mov_b32 v4, 0 :: v_dual_add_nc_u32 v19, s28, v18
	s_delay_alu instid0(VALU_DEP_3) | instskip(SKIP_1) | instid1(VALU_DEP_1)
	v_lshlrev_b64_e32 v[6:7], 1, v[1:2]
	s_mov_b32 s39, 0
	v_add_co_u32 v6, vcc_lo, s22, v6
	s_wait_alu 0xfffd
	s_delay_alu instid0(VALU_DEP_2)
	v_add_co_ci_u32_e64 v7, null, s23, v7, vcc_lo
	s_branch .LBB98_8
.LBB98_7:                               ;   in Loop: Header=BB98_8 Depth=2
	v_add_co_u32 v6, vcc_lo, v6, s30
	s_wait_alu 0xfffd
	v_add_co_ci_u32_e64 v7, null, s31, v7, vcc_lo
	s_add_co_i32 s39, s39, 1
	s_wait_alu 0xfffe
	s_cmp_eq_u32 s39, s38
	s_cbranch_scc1 .LBB98_33
.LBB98_8:                               ;   Parent Loop BB98_3 Depth=1
                                        ; =>  This Loop Header: Depth=2
                                        ;       Child Loop BB98_17 Depth 3
                                        ;         Child Loop BB98_24 Depth 4
                                        ;           Child Loop BB98_31 Depth 5
	s_wait_alu 0xfffe
	s_mul_i32 s0, s16, s39
	s_mov_b32 s76, -1
	s_wait_alu 0xfffe
	s_sub_co_i32 s54, s19, s0
	s_mov_b32 s55, 0
	s_wait_alu 0xfffe
	s_cmp_gt_i32 s54, -1
                                        ; implicit-def: $sgpr2
                                        ; implicit-def: $sgpr1
                                        ; implicit-def: $sgpr0
                                        ; implicit-def: $sgpr43
	s_cbranch_scc1 .LBB98_12
; %bb.9:                                ;   in Loop: Header=BB98_8 Depth=2
	s_and_not1_b32 vcc_lo, exec_lo, s76
	s_wait_alu 0xfffe
	s_cbranch_vccz .LBB98_13
.LBB98_10:                              ;   in Loop: Header=BB98_8 Depth=2
	s_wait_alu 0xfffe
	s_and_not1_b32 vcc_lo, exec_lo, s55
	s_mov_b32 s54, 1
	s_wait_alu 0xfffe
	s_cbranch_vccz .LBB98_14
; %bb.11:                               ;   in Loop: Header=BB98_8 Depth=2
	s_and_not1_b32 vcc_lo, exec_lo, s58
	s_wait_alu 0xfffe
	s_cbranch_vccz .LBB98_15
	s_branch .LBB98_7
.LBB98_12:                              ;   in Loop: Header=BB98_8 Depth=2
	s_abs_i32 s2, s54
	s_wait_alu 0xfffe
	s_mul_u64 s[0:1], s[2:3], s[10:11]
	s_wait_alu 0xfffe
	s_mul_i32 s0, s1, s64
	s_wait_alu 0xfffe
	s_sub_co_i32 s0, s2, s0
	s_ashr_i32 s2, s54, 31
	s_wait_alu 0xfffe
	s_sub_co_i32 s43, s0, s64
	s_cmp_ge_u32 s0, s64
	s_cselect_b32 s55, s43, s0
	s_wait_alu 0xfffe
	s_sub_co_i32 s76, s55, s64
	s_cmp_ge_u32 s55, s64
	s_cselect_b32 s55, s76, s55
	s_wait_alu 0xfffe
	s_xor_b32 s55, s55, s2
	s_wait_alu 0xfffe
	s_sub_co_i32 s55, s55, s2
	s_wait_alu 0xfffe
	s_cmp_lg_u32 s55, 0
	s_cselect_b32 s55, -1, 0
	s_cbranch_execnz .LBB98_10
.LBB98_13:                              ;   in Loop: Header=BB98_8 Depth=2
	s_abs_i32 s2, s54
	s_wait_alu 0xfffe
	s_mul_u64 s[0:1], s[2:3], s[10:11]
	s_wait_alu 0xfffe
	s_mul_i32 s0, s1, s64
	s_wait_alu 0xfffe
	s_sub_co_i32 s0, s2, s0
	s_ashr_i32 s2, s54, 31
	s_wait_alu 0xfffe
	s_sub_co_i32 s43, s0, s64
	s_mov_b32 s54, 1
.LBB98_14:                              ;   in Loop: Header=BB98_8 Depth=2
	s_mov_b32 s54, 0
	s_and_not1_b32 vcc_lo, exec_lo, s58
	s_wait_alu 0xfffe
	s_cbranch_vccnz .LBB98_7
.LBB98_15:                              ;   in Loop: Header=BB98_8 Depth=2
	s_xor_b32 s2, s2, s72
	s_add_co_i32 s55, s1, 1
	s_cmp_ge_u32 s0, s64
	v_dual_mov_b32 v9, v7 :: v_dual_mov_b32 v8, v6
	s_wait_alu 0xfffe
	s_cselect_b32 s1, s55, s1
	s_cselect_b32 s0, s43, s0
	s_wait_alu 0xfffe
	s_add_co_i32 s43, s1, 1
	s_cmp_ge_u32 s0, s64
	s_cselect_b32 s0, s43, s1
	s_wait_alu 0xfffe
	s_xor_b32 s0, s0, s2
	s_wait_alu 0xfffe
	s_sub_co_i32 s76, s0, s2
	s_mov_b32 s2, 0
	s_cmp_lt_i32 s76, s42
	s_cselect_b32 s1, s54, 0
	s_ashr_i32 s77, s76, 31
	s_delay_alu instid0(SALU_CYCLE_1)
	s_mul_u64 s[54:55], s[76:77], s[44:45]
	s_branch .LBB98_17
.LBB98_16:                              ;   in Loop: Header=BB98_17 Depth=3
	v_add_co_u32 v8, vcc_lo, v8, s48
	s_wait_alu 0xfffd
	v_add_co_ci_u32_e64 v9, null, s49, v9, vcc_lo
	s_add_co_i32 s2, s2, 1
	s_wait_alu 0xfffe
	s_cmp_eq_u32 s2, s40
	s_cbranch_scc1 .LBB98_7
.LBB98_17:                              ;   Parent Loop BB98_3 Depth=1
                                        ;     Parent Loop BB98_8 Depth=2
                                        ; =>    This Loop Header: Depth=3
                                        ;         Child Loop BB98_24 Depth 4
                                        ;           Child Loop BB98_31 Depth 5
	s_wait_alu 0xfffe
	s_mul_i32 s0, s17, s2
	s_mov_b32 s43, exec_lo
	s_wait_alu 0xfffe
	v_subrev_nc_u32_e32 v11, s0, v19
	s_delay_alu instid0(VALU_DEP_1)
	v_cmp_gt_i32_e64 s0, 0, v11
	v_ashrrev_i32_e32 v10, 31, v11
	v_sub_nc_u32_e32 v12, 0, v11
	v_cmpx_lt_i32_e32 -1, v11
	s_cbranch_execnz .LBB98_20
; %bb.18:                               ;   in Loop: Header=BB98_17 Depth=3
	s_or_b32 exec_lo, exec_lo, s43
	v_mov_b32_e32 v13, 1
	s_and_saveexec_b32 s43, s0
	s_cbranch_execnz .LBB98_21
.LBB98_19:                              ;   in Loop: Header=BB98_17 Depth=3
	s_or_b32 exec_lo, exec_lo, s43
	s_delay_alu instid0(SALU_CYCLE_1)
	s_and_not1_b32 vcc_lo, exec_lo, s59
	s_wait_alu 0xfffe
	s_cbranch_vccz .LBB98_22
	s_branch .LBB98_16
.LBB98_20:                              ;   in Loop: Header=BB98_17 Depth=3
	s_delay_alu instid0(VALU_DEP_2) | instskip(SKIP_1) | instid1(VALU_DEP_1)
	v_max_i32_e32 v13, v11, v12
	s_and_not1_b32 s0, s0, exec_lo
	v_mul_hi_u32 v14, v13, s74
	s_delay_alu instid0(VALU_DEP_1) | instskip(NEXT) | instid1(VALU_DEP_1)
	v_mul_lo_u32 v14, v14, s67
	v_sub_nc_u32_e32 v13, v13, v14
	s_delay_alu instid0(VALU_DEP_1) | instskip(SKIP_2) | instid1(VALU_DEP_2)
	v_subrev_nc_u32_e32 v14, s67, v13
	v_cmp_le_u32_e32 vcc_lo, s67, v13
	s_wait_alu 0xfffd
	v_cndmask_b32_e32 v13, v13, v14, vcc_lo
	s_delay_alu instid0(VALU_DEP_1) | instskip(SKIP_2) | instid1(VALU_DEP_2)
	v_subrev_nc_u32_e32 v14, s67, v13
	v_cmp_le_u32_e32 vcc_lo, s67, v13
	s_wait_alu 0xfffd
	v_cndmask_b32_e32 v13, v13, v14, vcc_lo
	s_delay_alu instid0(VALU_DEP_1) | instskip(NEXT) | instid1(VALU_DEP_1)
	v_xor_b32_e32 v13, v13, v10
	v_sub_nc_u32_e32 v13, v13, v10
	s_delay_alu instid0(VALU_DEP_1)
	v_cmp_ne_u32_e32 vcc_lo, 0, v13
	s_and_b32 s76, vcc_lo, exec_lo
	s_wait_alu 0xfffe
	s_or_b32 s0, s0, s76
	s_or_b32 exec_lo, exec_lo, s43
	v_mov_b32_e32 v13, 1
	s_wait_alu 0xfffe
	s_and_saveexec_b32 s43, s0
	s_cbranch_execz .LBB98_19
.LBB98_21:                              ;   in Loop: Header=BB98_17 Depth=3
	v_mov_b32_e32 v13, 0
	s_or_b32 exec_lo, exec_lo, s43
	s_delay_alu instid0(SALU_CYCLE_1)
	s_and_not1_b32 vcc_lo, exec_lo, s59
	s_wait_alu 0xfffe
	s_cbranch_vccnz .LBB98_16
.LBB98_22:                              ;   in Loop: Header=BB98_17 Depth=3
	v_max_i32_e32 v11, v11, v12
	v_xor_b32_e32 v10, s73, v10
	s_mov_b32 s43, 0
	s_delay_alu instid0(VALU_DEP_2) | instskip(NEXT) | instid1(VALU_DEP_1)
	v_mul_hi_u32 v12, v11, s74
	v_mul_lo_u32 v14, v12, s67
	s_delay_alu instid0(VALU_DEP_1) | instskip(NEXT) | instid1(VALU_DEP_1)
	v_sub_nc_u32_e32 v11, v11, v14
	v_subrev_nc_u32_e32 v15, s67, v11
	v_cmp_le_u32_e32 vcc_lo, s67, v11
	s_wait_alu 0xfffd
	s_delay_alu instid0(VALU_DEP_2) | instskip(NEXT) | instid1(VALU_DEP_1)
	v_dual_cndmask_b32 v11, v11, v15 :: v_dual_add_nc_u32 v14, 1, v12
	v_cndmask_b32_e32 v12, v12, v14, vcc_lo
	s_delay_alu instid0(VALU_DEP_2) | instskip(NEXT) | instid1(VALU_DEP_2)
	v_cmp_le_u32_e32 vcc_lo, s67, v11
	v_add_nc_u32_e32 v14, 1, v12
	s_wait_alu 0xfffd
	s_delay_alu instid0(VALU_DEP_1) | instskip(NEXT) | instid1(VALU_DEP_1)
	v_cndmask_b32_e32 v11, v12, v14, vcc_lo
	v_xor_b32_e32 v11, v11, v10
	s_delay_alu instid0(VALU_DEP_1) | instskip(NEXT) | instid1(VALU_DEP_1)
	v_sub_nc_u32_e32 v12, v11, v10
	v_ashrrev_i32_e32 v10, 31, v12
	v_add_co_u32 v11, vcc_lo, s54, v12
	s_wait_alu 0xfffd
	s_delay_alu instid0(VALU_DEP_2) | instskip(SKIP_1) | instid1(VALU_DEP_3)
	v_add_co_ci_u32_e64 v14, null, s55, v10, vcc_lo
	v_cmp_gt_i32_e32 vcc_lo, s44, v12
	v_mul_lo_u32 v15, v11, s47
	v_mad_co_u64_u32 v[10:11], null, v11, s46, 0
	s_delay_alu instid0(VALU_DEP_4) | instskip(SKIP_2) | instid1(VALU_DEP_1)
	v_mul_lo_u32 v14, v14, s46
	s_wait_alu 0xfffd
	v_cndmask_b32_e32 v12, 0, v13, vcc_lo
	v_and_b32_e32 v21, s1, v12
	v_mov_b32_e32 v13, v9
	s_delay_alu instid0(VALU_DEP_4)
	v_add3_u32 v11, v11, v15, v14
	v_mov_b32_e32 v12, v8
	s_branch .LBB98_24
.LBB98_23:                              ;   in Loop: Header=BB98_24 Depth=4
	v_add_co_u32 v12, vcc_lo, v12, s50
	s_wait_alu 0xfffd
	v_add_co_ci_u32_e64 v13, null, s51, v13, vcc_lo
	s_add_co_i32 s43, s43, 1
	s_delay_alu instid0(SALU_CYCLE_1)
	s_cmp_eq_u32 s43, s34
	s_cbranch_scc1 .LBB98_16
.LBB98_24:                              ;   Parent Loop BB98_3 Depth=1
                                        ;     Parent Loop BB98_8 Depth=2
                                        ;       Parent Loop BB98_17 Depth=3
                                        ; =>      This Loop Header: Depth=4
                                        ;           Child Loop BB98_31 Depth 5
	s_mul_i32 s0, s18, s43
	s_wait_alu 0xfffe
	v_subrev_nc_u32_e32 v15, s0, v20
	s_delay_alu instid0(VALU_DEP_1) | instskip(SKIP_3) | instid1(VALU_DEP_4)
	v_sub_nc_u32_e32 v16, 0, v15
	v_cmp_gt_i32_e64 s0, 0, v15
	v_cmp_lt_i32_e32 vcc_lo, -1, v15
	v_ashrrev_i32_e32 v14, 31, v15
	v_max_i32_e32 v15, v15, v16
	s_and_saveexec_b32 s76, vcc_lo
	s_cbranch_execnz .LBB98_27
; %bb.25:                               ;   in Loop: Header=BB98_24 Depth=4
	s_or_b32 exec_lo, exec_lo, s76
	v_mov_b32_e32 v16, 1
	s_and_saveexec_b32 s76, s0
	s_cbranch_execnz .LBB98_28
.LBB98_26:                              ;   in Loop: Header=BB98_24 Depth=4
	s_or_b32 exec_lo, exec_lo, s76
	s_delay_alu instid0(SALU_CYCLE_1)
	s_and_not1_b32 vcc_lo, exec_lo, s60
	s_wait_alu 0xfffe
	s_cbranch_vccz .LBB98_29
	s_branch .LBB98_23
.LBB98_27:                              ;   in Loop: Header=BB98_24 Depth=4
	s_delay_alu instid0(VALU_DEP_1) | instskip(SKIP_1) | instid1(VALU_DEP_1)
	v_mul_hi_u32 v16, v15, s41
	s_and_not1_b32 s0, s0, exec_lo
	v_mul_lo_u32 v16, v16, s69
	s_delay_alu instid0(VALU_DEP_1) | instskip(NEXT) | instid1(VALU_DEP_1)
	v_sub_nc_u32_e32 v16, v15, v16
	v_subrev_nc_u32_e32 v17, s69, v16
	v_cmp_le_u32_e32 vcc_lo, s69, v16
	s_wait_alu 0xfffd
	s_delay_alu instid0(VALU_DEP_2) | instskip(NEXT) | instid1(VALU_DEP_1)
	v_cndmask_b32_e32 v16, v16, v17, vcc_lo
	v_subrev_nc_u32_e32 v17, s69, v16
	v_cmp_le_u32_e32 vcc_lo, s69, v16
	s_wait_alu 0xfffd
	s_delay_alu instid0(VALU_DEP_2) | instskip(NEXT) | instid1(VALU_DEP_1)
	v_cndmask_b32_e32 v16, v16, v17, vcc_lo
	v_xor_b32_e32 v16, v16, v14
	s_delay_alu instid0(VALU_DEP_1) | instskip(NEXT) | instid1(VALU_DEP_1)
	v_sub_nc_u32_e32 v16, v16, v14
	v_cmp_ne_u32_e32 vcc_lo, 0, v16
	s_and_b32 s77, vcc_lo, exec_lo
	s_wait_alu 0xfffe
	s_or_b32 s0, s0, s77
	s_or_b32 exec_lo, exec_lo, s76
	v_mov_b32_e32 v16, 1
	s_wait_alu 0xfffe
	s_and_saveexec_b32 s76, s0
	s_cbranch_execz .LBB98_26
.LBB98_28:                              ;   in Loop: Header=BB98_24 Depth=4
	v_mov_b32_e32 v16, 0
	s_or_b32 exec_lo, exec_lo, s76
	s_delay_alu instid0(SALU_CYCLE_1)
	s_and_not1_b32 vcc_lo, exec_lo, s60
	s_wait_alu 0xfffe
	s_cbranch_vccnz .LBB98_23
.LBB98_29:                              ;   in Loop: Header=BB98_24 Depth=4
	v_mul_hi_u32 v17, v15, s41
	v_xor_b32_e32 v14, s75, v14
	s_mov_b32 s76, s8
	s_delay_alu instid0(VALU_DEP_2) | instskip(NEXT) | instid1(VALU_DEP_1)
	v_mul_lo_u32 v22, v17, s69
	v_sub_nc_u32_e32 v15, v15, v22
	s_delay_alu instid0(VALU_DEP_1) | instskip(SKIP_2) | instid1(VALU_DEP_2)
	v_subrev_nc_u32_e32 v23, s69, v15
	v_cmp_le_u32_e32 vcc_lo, s69, v15
	s_wait_alu 0xfffd
	v_dual_cndmask_b32 v15, v15, v23 :: v_dual_add_nc_u32 v22, 1, v17
	s_delay_alu instid0(VALU_DEP_1) | instskip(NEXT) | instid1(VALU_DEP_2)
	v_cndmask_b32_e32 v17, v17, v22, vcc_lo
	v_cmp_le_u32_e32 vcc_lo, s69, v15
	s_delay_alu instid0(VALU_DEP_2) | instskip(SKIP_1) | instid1(VALU_DEP_1)
	v_add_nc_u32_e32 v22, 1, v17
	s_wait_alu 0xfffd
	v_cndmask_b32_e32 v15, v17, v22, vcc_lo
	s_delay_alu instid0(VALU_DEP_1) | instskip(NEXT) | instid1(VALU_DEP_1)
	v_xor_b32_e32 v15, v15, v14
	v_sub_nc_u32_e32 v17, v15, v14
	s_delay_alu instid0(VALU_DEP_1) | instskip(SKIP_2) | instid1(VALU_DEP_2)
	v_ashrrev_i32_e32 v15, 31, v17
	v_add_co_u32 v14, vcc_lo, v10, v17
	s_wait_alu 0xfffd
	v_add_co_ci_u32_e64 v15, null, v11, v15, vcc_lo
	v_cmp_gt_i32_e32 vcc_lo, s46, v17
	s_delay_alu instid0(VALU_DEP_2) | instskip(SKIP_2) | instid1(VALU_DEP_2)
	v_lshlrev_b64_e32 v[14:15], 1, v[14:15]
	s_wait_alu 0xfffd
	v_cndmask_b32_e32 v16, 0, v16, vcc_lo
	v_add_co_u32 v14, vcc_lo, s14, v14
	s_wait_alu 0xfffd
	s_delay_alu instid0(VALU_DEP_3) | instskip(NEXT) | instid1(VALU_DEP_3)
	v_add_co_ci_u32_e64 v15, null, s15, v15, vcc_lo
	v_and_b32_e32 v16, v21, v16
	s_delay_alu instid0(VALU_DEP_3) | instskip(NEXT) | instid1(VALU_DEP_3)
	v_mul_lo_u32 v22, s56, v14
	v_mul_lo_u32 v17, s7, v15
	v_mad_co_u64_u32 v[14:15], null, s7, v14, s[12:13]
	s_delay_alu instid0(VALU_DEP_4) | instskip(NEXT) | instid1(VALU_DEP_1)
	v_and_b32_e32 v16, 1, v16
	v_cmp_eq_u32_e32 vcc_lo, 1, v16
	s_delay_alu instid0(VALU_DEP_3)
	v_add3_u32 v15, v22, v15, v17
	v_dual_mov_b32 v17, v13 :: v_dual_mov_b32 v16, v12
	s_branch .LBB98_31
.LBB98_30:                              ;   in Loop: Header=BB98_31 Depth=5
	s_wait_alu 0xfffe
	s_or_b32 exec_lo, exec_lo, s0
	v_add_co_u32 v14, s0, v14, 2
	s_wait_alu 0xf1ff
	v_add_co_ci_u32_e64 v15, null, 0, v15, s0
	v_add_co_u32 v16, s0, v16, s52
	s_wait_alu 0xf1ff
	v_add_co_ci_u32_e64 v17, null, s53, v17, s0
	s_add_co_i32 s76, s76, -1
	s_delay_alu instid0(SALU_CYCLE_1)
	s_cmp_eq_u32 s76, 0
	s_cbranch_scc1 .LBB98_23
.LBB98_31:                              ;   Parent Loop BB98_3 Depth=1
                                        ;     Parent Loop BB98_8 Depth=2
                                        ;       Parent Loop BB98_17 Depth=3
                                        ;         Parent Loop BB98_24 Depth=4
                                        ; =>        This Inner Loop Header: Depth=5
	s_and_saveexec_b32 s0, vcc_lo
	s_cbranch_execz .LBB98_30
; %bb.32:                               ;   in Loop: Header=BB98_31 Depth=5
	global_load_u16 v22, v[16:17], off
	global_load_u16 v23, v[14:15], off
	s_wait_loadcnt 0x1
	v_lshlrev_b32_e32 v22, 16, v22
	s_wait_loadcnt 0x0
	v_lshlrev_b32_e32 v24, 16, v23
	s_delay_alu instid0(VALU_DEP_2) | instskip(NEXT) | instid1(VALU_DEP_2)
	v_cvt_f64_f32_e32 v[22:23], v22
	v_cvt_f64_f32_e32 v[24:25], v24
	s_delay_alu instid0(VALU_DEP_1)
	v_fma_f64 v[3:4], v[24:25], v[22:23], v[3:4]
	s_branch .LBB98_30
.LBB98_33:                              ;   in Loop: Header=BB98_3 Depth=1
	v_ashrrev_i32_e32 v6, 31, v5
	s_and_b32 vcc_lo, exec_lo, s63
	s_mov_b32 s0, -1
	s_delay_alu instid0(VALU_DEP_1) | instskip(NEXT) | instid1(VALU_DEP_1)
	v_mad_co_i64_i32 v[5:6], null, v18, s6, v[5:6]
	v_mul_lo_u32 v7, v5, s37
	s_delay_alu instid0(VALU_DEP_2) | instskip(SKIP_1) | instid1(VALU_DEP_1)
	v_mul_lo_u32 v6, v6, s36
	v_mad_co_u64_u32 v[1:2], null, v5, s36, v[1:2]
	v_add3_u32 v2, v6, v2, v7
	s_wait_alu 0xfffe
	s_cbranch_vccz .LBB98_35
; %bb.34:                               ;   in Loop: Header=BB98_3 Depth=1
	s_delay_alu instid0(VALU_DEP_1) | instskip(NEXT) | instid1(VALU_DEP_1)
	v_lshlrev_b64_e32 v[5:6], 1, v[1:2]
	v_add_co_u32 v5, vcc_lo, s20, v5
	s_wait_alu 0xfffd
	s_delay_alu instid0(VALU_DEP_2) | instskip(SKIP_3) | instid1(VALU_DEP_1)
	v_add_co_ci_u32_e64 v6, null, s21, v6, vcc_lo
	global_load_u16 v7, v[5:6], off
	s_wait_loadcnt 0x0
	v_lshlrev_b32_e32 v7, 16, v7
	v_cvt_f64_f32_e32 v[7:8], v7
	s_delay_alu instid0(VALU_DEP_1) | instskip(NEXT) | instid1(VALU_DEP_1)
	v_mul_f64_e32 v[7:8], s[26:27], v[7:8]
	v_fma_f64 v[7:8], s[24:25], v[3:4], v[7:8]
	s_delay_alu instid0(VALU_DEP_1) | instskip(NEXT) | instid1(VALU_DEP_1)
	v_cvt_f32_f64_e32 v7, v[7:8]
	v_and_b32_e32 v8, 0x7f800000, v7
	v_and_b32_e32 v9, 0xffff, v7
	v_lshrrev_b32_e32 v7, 16, v7
	s_delay_alu instid0(VALU_DEP_3) | instskip(NEXT) | instid1(VALU_DEP_3)
	v_cmp_eq_u32_e32 vcc_lo, 0x7f800000, v8
	v_cmp_ne_u32_e64 s0, 0, v9
	s_and_b32 s0, vcc_lo, s0
	s_wait_alu 0xfffe
	v_cndmask_b32_e64 v8, 0, 1, s0
	s_mov_b32 s0, 0
	s_delay_alu instid0(VALU_DEP_1)
	v_or_b32_e32 v7, v7, v8
	global_store_b16 v[5:6], v7, off
.LBB98_35:                              ;   in Loop: Header=BB98_3 Depth=1
	s_wait_alu 0xfffe
	s_and_not1_b32 vcc_lo, exec_lo, s0
	s_wait_alu 0xfffe
	s_cbranch_vccnz .LBB98_2
; %bb.36:                               ;   in Loop: Header=BB98_3 Depth=1
	v_cvt_f32_f64_e32 v3, v[3:4]
	v_lshlrev_b64_e32 v[1:2], 1, v[1:2]
	s_delay_alu instid0(VALU_DEP_2) | instskip(SKIP_2) | instid1(VALU_DEP_3)
	v_and_b32_e32 v4, 0x7f800000, v3
	v_and_b32_e32 v5, 0xffff, v3
	v_lshrrev_b32_e32 v3, 16, v3
	v_cmp_eq_u32_e32 vcc_lo, 0x7f800000, v4
	s_delay_alu instid0(VALU_DEP_3)
	v_cmp_ne_u32_e64 s0, 0, v5
	s_and_b32 s0, vcc_lo, s0
	v_add_co_u32 v1, vcc_lo, s20, v1
	s_wait_alu 0xfffe
	v_cndmask_b32_e64 v4, 0, 1, s0
	s_wait_alu 0xfffd
	v_add_co_ci_u32_e64 v2, null, s21, v2, vcc_lo
	s_delay_alu instid0(VALU_DEP_2)
	v_or_b32_e32 v3, v3, v4
	global_store_b16 v[1:2], v3, off
	s_branch .LBB98_2
.LBB98_37:
	s_endpgm
	.section	.rodata,"a",@progbits
	.p2align	6, 0x0
	.amdhsa_kernel naive_conv_ab_packed_bwd_ndhwc_ushort_double_ushort_0
		.amdhsa_group_segment_fixed_size 0
		.amdhsa_private_segment_fixed_size 0
		.amdhsa_kernarg_size 528
		.amdhsa_user_sgpr_count 2
		.amdhsa_user_sgpr_dispatch_ptr 0
		.amdhsa_user_sgpr_queue_ptr 0
		.amdhsa_user_sgpr_kernarg_segment_ptr 1
		.amdhsa_user_sgpr_dispatch_id 0
		.amdhsa_user_sgpr_private_segment_size 0
		.amdhsa_wavefront_size32 1
		.amdhsa_uses_dynamic_stack 0
		.amdhsa_enable_private_segment 0
		.amdhsa_system_sgpr_workgroup_id_x 1
		.amdhsa_system_sgpr_workgroup_id_y 0
		.amdhsa_system_sgpr_workgroup_id_z 0
		.amdhsa_system_sgpr_workgroup_info 0
		.amdhsa_system_vgpr_workitem_id 0
		.amdhsa_next_free_vgpr 26
		.amdhsa_next_free_sgpr 78
		.amdhsa_reserve_vcc 1
		.amdhsa_float_round_mode_32 0
		.amdhsa_float_round_mode_16_64 0
		.amdhsa_float_denorm_mode_32 3
		.amdhsa_float_denorm_mode_16_64 3
		.amdhsa_fp16_overflow 0
		.amdhsa_workgroup_processor_mode 1
		.amdhsa_memory_ordered 1
		.amdhsa_forward_progress 1
		.amdhsa_inst_pref_size 27
		.amdhsa_round_robin_scheduling 0
		.amdhsa_exception_fp_ieee_invalid_op 0
		.amdhsa_exception_fp_denorm_src 0
		.amdhsa_exception_fp_ieee_div_zero 0
		.amdhsa_exception_fp_ieee_overflow 0
		.amdhsa_exception_fp_ieee_underflow 0
		.amdhsa_exception_fp_ieee_inexact 0
		.amdhsa_exception_int_div_zero 0
	.end_amdhsa_kernel
	.text
.Lfunc_end98:
	.size	naive_conv_ab_packed_bwd_ndhwc_ushort_double_ushort_0, .Lfunc_end98-naive_conv_ab_packed_bwd_ndhwc_ushort_double_ushort_0
                                        ; -- End function
	.set naive_conv_ab_packed_bwd_ndhwc_ushort_double_ushort_0.num_vgpr, 26
	.set naive_conv_ab_packed_bwd_ndhwc_ushort_double_ushort_0.num_agpr, 0
	.set naive_conv_ab_packed_bwd_ndhwc_ushort_double_ushort_0.numbered_sgpr, 78
	.set naive_conv_ab_packed_bwd_ndhwc_ushort_double_ushort_0.num_named_barrier, 0
	.set naive_conv_ab_packed_bwd_ndhwc_ushort_double_ushort_0.private_seg_size, 0
	.set naive_conv_ab_packed_bwd_ndhwc_ushort_double_ushort_0.uses_vcc, 1
	.set naive_conv_ab_packed_bwd_ndhwc_ushort_double_ushort_0.uses_flat_scratch, 0
	.set naive_conv_ab_packed_bwd_ndhwc_ushort_double_ushort_0.has_dyn_sized_stack, 0
	.set naive_conv_ab_packed_bwd_ndhwc_ushort_double_ushort_0.has_recursion, 0
	.set naive_conv_ab_packed_bwd_ndhwc_ushort_double_ushort_0.has_indirect_call, 0
	.section	.AMDGPU.csdata,"",@progbits
; Kernel info:
; codeLenInByte = 3432
; TotalNumSgprs: 80
; NumVgprs: 26
; ScratchSize: 0
; MemoryBound: 0
; FloatMode: 240
; IeeeMode: 1
; LDSByteSize: 0 bytes/workgroup (compile time only)
; SGPRBlocks: 0
; VGPRBlocks: 3
; NumSGPRsForWavesPerEU: 80
; NumVGPRsForWavesPerEU: 26
; Occupancy: 16
; WaveLimiterHint : 1
; COMPUTE_PGM_RSRC2:SCRATCH_EN: 0
; COMPUTE_PGM_RSRC2:USER_SGPR: 2
; COMPUTE_PGM_RSRC2:TRAP_HANDLER: 0
; COMPUTE_PGM_RSRC2:TGID_X_EN: 1
; COMPUTE_PGM_RSRC2:TGID_Y_EN: 0
; COMPUTE_PGM_RSRC2:TGID_Z_EN: 0
; COMPUTE_PGM_RSRC2:TIDIG_COMP_CNT: 0
	.text
	.protected	naive_conv_ab_nonpacked_bwd_ndhwc_ushort_double_ushort_0 ; -- Begin function naive_conv_ab_nonpacked_bwd_ndhwc_ushort_double_ushort_0
	.globl	naive_conv_ab_nonpacked_bwd_ndhwc_ushort_double_ushort_0
	.p2align	8
	.type	naive_conv_ab_nonpacked_bwd_ndhwc_ushort_double_ushort_0,@function
naive_conv_ab_nonpacked_bwd_ndhwc_ushort_double_ushort_0: ; @naive_conv_ab_nonpacked_bwd_ndhwc_ushort_double_ushort_0
; %bb.0:
	s_load_b512 s[4:19], s[0:1], 0xb8
	s_mov_b32 s24, exec_lo
	s_wait_kmcnt 0x0
	s_abs_i32 s3, s4
	s_mul_i32 s85, s9, s6
	s_cvt_f32_u32 s2, s3
	s_mul_i32 s33, s85, s5
	s_delay_alu instid0(SALU_CYCLE_2) | instskip(NEXT) | instid1(TRANS32_DEP_1)
	v_rcp_iflag_f32_e32 v1, s2
	v_readfirstlane_b32 s2, v1
	s_mul_f32 s2, s2, 0x4f7ffffe
	s_wait_alu 0xfffe
	s_delay_alu instid0(SALU_CYCLE_2) | instskip(SKIP_2) | instid1(SALU_CYCLE_1)
	s_cvt_u32_f32 s20, s2
	s_sub_co_i32 s2, 0, s3
	s_wait_alu 0xfffe
	s_mul_i32 s2, s2, s20
	s_wait_alu 0xfffe
	s_mul_hi_u32 s21, s20, s2
	s_abs_i32 s2, ttmp9
	s_add_co_i32 s20, s20, s21
	s_wait_alu 0xfffe
	s_mul_hi_u32 s20, s2, s20
	s_delay_alu instid0(SALU_CYCLE_1) | instskip(SKIP_2) | instid1(SALU_CYCLE_1)
	s_mul_i32 s21, s20, s3
	s_add_co_i32 s22, s20, 1
	s_sub_co_i32 s21, s2, s21
	s_sub_co_i32 s23, s21, s3
	s_cmp_ge_u32 s21, s3
	s_cselect_b32 s20, s22, s20
	s_cselect_b32 s21, s23, s21
	s_add_co_i32 s22, s20, 1
	s_cmp_ge_u32 s21, s3
	s_mul_i32 s21, s7, s4
	s_cselect_b32 s22, s22, s20
	s_abs_i32 s20, s7
	s_abs_i32 s7, s21
	s_cvt_f32_u32 s3, s20
	s_cvt_f32_u32 s23, s7
	s_wait_alu 0xfffe
	s_delay_alu instid0(SALU_CYCLE_1) | instskip(NEXT) | instid1(SALU_CYCLE_1)
	v_rcp_iflag_f32_e32 v1, s3
	v_rcp_iflag_f32_e32 v2, s23
	s_mov_b32 s3, 0
	s_delay_alu instid0(TRANS32_DEP_2) | instskip(NEXT) | instid1(TRANS32_DEP_1)
	v_readfirstlane_b32 s23, v1
	v_readfirstlane_b32 s5, v2
	v_cmpx_gt_i32_e64 s33, v0
	s_cbranch_execz .LBB99_37
; %bb.1:
	s_mul_f32 s23, s23, 0x4f7ffffe
	s_ashr_i32 s26, ttmp9, 31
	s_ashr_i32 s24, s4, 31
	s_mul_f32 s5, s5, 0x4f7ffffe
	s_wait_alu 0xfffe
	s_cvt_u32_f32 s23, s23
	s_sub_co_i32 s25, 0, s20
	s_xor_b32 s24, s26, s24
	s_cvt_u32_f32 s5, s5
	s_xor_b32 s22, s22, s24
	s_wait_alu 0xfffe
	s_mul_i32 s25, s25, s23
	s_sub_co_i32 s27, s22, s24
	s_mul_hi_u32 s24, s23, s25
	s_sub_co_i32 s28, 0, s7
	s_abs_i32 s22, s27
	s_add_co_i32 s24, s23, s24
	s_mov_b32 s23, s3
	s_mov_b32 s25, s3
	s_mul_i32 s28, s28, s5
	s_wait_alu 0xfffe
	s_mul_u64 s[24:25], s[22:23], s[24:25]
	s_mul_hi_u32 s24, s5, s28
	s_ashr_i32 s23, s27, 31
	s_add_co_i32 s24, s5, s24
	s_mul_i32 s5, s25, s20
	s_mul_i32 s27, s27, s4
	s_sub_co_i32 s5, s22, s5
	s_ashr_i32 s21, s21, 31
	s_sub_co_i32 s4, ttmp9, s27
	s_sub_co_i32 s22, s5, s20
	s_cmp_ge_u32 s5, s20
	s_mov_b32 s25, s3
	s_wait_alu 0xfffe
	s_cselect_b32 s5, s22, s5
	s_mul_u64 s[34:35], s[2:3], s[24:25]
	s_sub_co_i32 s22, s5, s20
	s_cmp_ge_u32 s5, s20
	s_load_b512 s[36:51], s[0:1], 0x28
	s_cselect_b32 s5, s22, s5
	s_xor_b32 s34, s26, s21
	s_xor_b32 s5, s5, s23
	s_clause 0x1
	s_load_b128 s[28:31], s[0:1], 0xf8
	s_load_b128 s[68:71], s[0:1], 0xa8
	s_sub_co_i32 s72, s5, s23
	s_mul_i32 s5, s35, s7
	s_load_b256 s[20:27], s[0:1], 0x0
	s_sub_co_i32 s2, s2, s5
	s_add_co_i32 s5, s35, 1
	s_wait_alu 0xfffe
	s_sub_co_i32 s52, s2, s7
	s_cmp_ge_u32 s2, s7
	s_clause 0x1
	s_load_b32 s76, s[0:1], 0x108
	s_load_b32 s88, s[0:1], 0x11c
	s_cselect_b32 s5, s5, s35
	s_cselect_b32 s2, s52, s2
	s_add_co_i32 s35, s5, 1
	s_wait_alu 0xfffe
	s_cmp_ge_u32 s2, s7
	s_load_b512 s[52:67], s[0:1], 0x68
	s_cselect_b32 s2, s35, s5
	s_ashr_i32 s73, s72, 31
	s_wait_alu 0xfffe
	s_xor_b32 s2, s2, s34
	s_ashr_i32 s5, s4, 31
	s_wait_alu 0xfffe
	s_sub_co_i32 s74, s2, s34
	s_wait_kmcnt 0x0
	s_mul_u64 s[34:35], s[46:47], s[72:73]
	s_ashr_i32 s75, s74, 31
	s_mul_u64 s[44:45], s[44:45], s[4:5]
	s_mul_u64 s[38:39], s[38:39], s[74:75]
	v_cmp_neq_f64_e64 s2, s[24:25], 1.0
	v_cmp_neq_f64_e64 s7, s[26:27], 0
	s_lshl_b64 s[34:35], s[34:35], 1
	s_lshl_b64 s[44:45], s[44:45], 1
	;; [unrolled: 1-line block ×3, first 2 shown]
	s_cmp_lt_i32 s30, 1
	s_load_b64 s[0:1], s[0:1], 0x20
	s_cselect_b32 s77, -1, 0
	s_add_co_i32 s19, s4, s19
	s_cmp_gt_i32 s31, 0
	s_mul_u64 s[86:87], s[58:59], s[74:75]
	s_cselect_b32 s78, -1, 0
	s_cmp_gt_i32 s76, 0
	s_cselect_b32 s79, -1, 0
	s_cmp_gt_i32 s8, 0
	s_cselect_b32 s80, -1, 0
	s_abs_i32 s81, s9
	s_abs_i32 s82, s6
	s_cvt_f32_u32 s4, s81
	s_cvt_f32_u32 s6, s82
	s_abs_i32 s84, s85
	s_abs_i32 s59, s13
	v_rcp_iflag_f32_e32 v1, s4
	s_add_nc_u64 s[4:5], s[20:21], s[34:35]
	s_sub_co_i32 s89, 0, s81
	s_lshl_b64 s[34:35], s[56:57], 1
	s_wait_alu 0xfffe
	s_add_nc_u64 s[4:5], s[4:5], s[44:45]
	s_lshl_b64 s[44:45], s[64:65], 1
	s_abs_i32 s64, s15
	s_wait_alu 0xfffe
	s_add_nc_u64 s[4:5], s[4:5], s[38:39]
	s_lshl_b64 s[38:39], s[66:67], 1
	s_ashr_i32 s67, s14, 31
	v_readfirstlane_b32 s46, v1
	v_rcp_iflag_f32_e32 v1, s6
	s_ashr_i32 s65, s85, 31
	s_and_b32 s58, s88, 0xffff
	s_ashr_i32 s13, s13, 31
	s_mul_f32 s20, s46, 0x4f7ffffe
	s_or_b32 s83, s2, s7
	s_lshl_b64 s[6:7], s[54:55], 1
	s_mul_u64 s[54:55], s[62:63], s[74:75]
	s_cvt_u32_f32 s2, s20
	s_lshl_b64 s[20:21], s[52:53], 1
	s_cvt_f32_u32 s52, s84
	v_readfirstlane_b32 s53, v1
	s_wait_alu 0xfffe
	s_mul_i32 s89, s89, s2
	s_abs_i32 s62, s14
	v_rcp_iflag_f32_e32 v1, s52
	s_mul_hi_u32 s56, s2, s89
	s_mul_f32 s52, s53, 0x4f7ffffe
	s_cvt_f32_u32 s53, s59
	s_lshl_b64 s[46:47], s[60:61], 1
	s_add_co_i32 s61, s2, s56
	s_wait_alu 0xfffe
	s_cvt_u32_f32 s52, s52
	v_rcp_iflag_f32_e32 v2, s53
	s_sub_co_i32 s53, 0, s82
	s_cvt_f32_u32 s56, s62
	s_wait_alu 0xfffe
	s_mul_i32 s53, s53, s52
	v_readfirstlane_b32 s2, v1
	s_wait_alu 0xfffe
	s_mul_hi_u32 s53, s52, s53
	v_rcp_iflag_f32_e32 v1, s56
	s_wait_alu 0xfffe
	s_add_co_i32 s63, s52, s53
	s_cvt_f32_u32 s53, s64
	s_mul_f32 s2, s2, 0x4f7ffffe
	v_readfirstlane_b32 s52, v2
	s_sub_co_i32 s56, 0, s84
	s_wait_alu 0xfffe
	v_rcp_iflag_f32_e32 v2, s53
	s_cvt_u32_f32 s2, s2
	s_sub_co_i32 s53, 0, s59
	s_mul_f32 s52, s52, 0x4f7ffffe
	v_readfirstlane_b32 s57, v1
	s_wait_alu 0xfffe
	s_mul_i32 s56, s56, s2
	s_ashr_i32 s75, s15, 31
	s_cvt_u32_f32 s52, s52
	s_wait_alu 0xfffe
	s_mul_hi_u32 s56, s2, s56
	s_lshl_b64 s[54:55], s[54:55], 1
	s_wait_alu 0xfffe
	s_add_co_i32 s66, s2, s56
	s_mul_f32 s56, s57, 0x4f7ffffe
	v_readfirstlane_b32 s57, v2
	s_mul_i32 s53, s53, s52
	s_ashr_i32 s60, s9, 31
	s_wait_alu 0xfffe
	s_mul_hi_u32 s2, s52, s53
	s_mov_b32 s53, s3
	s_wait_alu 0xfffe
	s_add_co_i32 s52, s52, s2
	s_cvt_u32_f32 s2, s56
	s_mul_f32 s56, s57, 0x4f7ffffe
	s_sub_co_i32 s57, 0, s62
	s_wait_alu 0xfffe
	s_mul_i32 s57, s57, s2
	s_cvt_u32_f32 s56, s56
	s_wait_alu 0xfffe
	s_mul_hi_u32 s14, s2, s57
	s_sub_co_i32 s57, 0, s64
	s_add_co_i32 s74, s2, s14
	s_wait_alu 0xfffe
	s_mul_i32 s57, s57, s56
	s_lshl_b64 s[14:15], s[86:87], 1
	s_wait_alu 0xfffe
	s_mul_hi_u32 s2, s56, s57
	s_add_nc_u64 s[14:15], s[22:23], s[14:15]
	s_mul_u64 s[22:23], s[70:71], s[72:73]
	s_wait_alu 0xfffe
	s_add_co_i32 s85, s56, s2
	s_lshl_b64 s[56:57], s[22:23], 1
	s_lshl_b64 s[22:23], s[48:49], 1
	s_wait_alu 0xfffe
	s_add_nc_u64 s[54:55], s[54:55], s[56:57]
	s_lshl_b64 s[48:49], s[50:51], 1
	s_wait_kmcnt 0x0
	s_add_nc_u64 s[50:51], s[0:1], s[54:55]
	s_lshl_b64 s[54:55], s[68:69], 1
	s_mov_b32 s68, 0
	s_branch .LBB99_3
.LBB99_2:                               ;   in Loop: Header=BB99_3 Depth=1
	v_add_nc_u32_e32 v0, s58, v0
	s_delay_alu instid0(VALU_DEP_1) | instskip(SKIP_1) | instid1(SALU_CYCLE_1)
	v_cmp_le_i32_e32 vcc_lo, s33, v0
	s_or_b32 s68, vcc_lo, s68
	s_and_not1_b32 exec_lo, exec_lo, s68
	s_cbranch_execz .LBB99_37
.LBB99_3:                               ; =>This Loop Header: Depth=1
                                        ;     Child Loop BB99_8 Depth 2
                                        ;       Child Loop BB99_17 Depth 3
                                        ;         Child Loop BB99_24 Depth 4
                                        ;           Child Loop BB99_31 Depth 5
	v_sub_nc_u32_e32 v1, 0, v0
	s_mov_b32 s56, -1
                                        ; implicit-def: $vgpr16
	s_delay_alu instid0(VALU_DEP_1) | instskip(NEXT) | instid1(VALU_DEP_1)
	v_max_i32_e32 v4, v0, v1
	v_mul_hi_u32 v1, v4, s61
	s_delay_alu instid0(VALU_DEP_1) | instskip(SKIP_1) | instid1(VALU_DEP_2)
	v_mul_lo_u32 v2, v1, s81
	v_add_nc_u32_e32 v3, 1, v1
	v_sub_nc_u32_e32 v2, v4, v2
	s_delay_alu instid0(VALU_DEP_1) | instskip(SKIP_2) | instid1(VALU_DEP_2)
	v_subrev_nc_u32_e32 v5, s81, v2
	v_cmp_le_u32_e32 vcc_lo, s81, v2
	s_wait_alu 0xfffd
	v_dual_cndmask_b32 v3, v1, v3 :: v_dual_cndmask_b32 v2, v2, v5
	v_ashrrev_i32_e32 v1, 31, v0
	s_delay_alu instid0(VALU_DEP_2) | instskip(NEXT) | instid1(VALU_DEP_3)
	v_add_nc_u32_e32 v5, 1, v3
	v_cmp_le_u32_e32 vcc_lo, s81, v2
	s_delay_alu instid0(VALU_DEP_3) | instskip(SKIP_1) | instid1(VALU_DEP_3)
	v_xor_b32_e32 v6, s60, v1
	s_wait_alu 0xfffd
	v_cndmask_b32_e32 v2, v3, v5, vcc_lo
	s_delay_alu instid0(VALU_DEP_1) | instskip(NEXT) | instid1(VALU_DEP_1)
	v_xor_b32_e32 v2, v2, v6
	v_sub_nc_u32_e32 v2, v2, v6
	s_delay_alu instid0(VALU_DEP_1) | instskip(SKIP_1) | instid1(VALU_DEP_2)
	v_sub_nc_u32_e32 v3, 0, v2
	v_mul_lo_u32 v8, v2, s9
	v_max_i32_e32 v5, v2, v3
	v_mul_hi_u32 v3, v4, s66
	s_delay_alu instid0(VALU_DEP_3) | instskip(NEXT) | instid1(VALU_DEP_3)
	v_sub_nc_u32_e32 v15, v0, v8
	v_mul_hi_u32 v6, v5, s63
	s_delay_alu instid0(VALU_DEP_3) | instskip(NEXT) | instid1(VALU_DEP_2)
	v_mul_lo_u32 v7, v3, s84
	v_mul_lo_u32 v6, v6, s82
	s_delay_alu instid0(VALU_DEP_1) | instskip(NEXT) | instid1(VALU_DEP_3)
	v_sub_nc_u32_e32 v5, v5, v6
	v_sub_nc_u32_e32 v6, v4, v7
	s_delay_alu instid0(VALU_DEP_2) | instskip(NEXT) | instid1(VALU_DEP_2)
	v_subrev_nc_u32_e32 v4, s82, v5
	v_subrev_nc_u32_e32 v7, s84, v6
	v_cmp_le_u32_e32 vcc_lo, s82, v5
	v_cmp_le_u32_e64 s0, s84, v6
	s_wait_alu 0xfffd
	v_cndmask_b32_e32 v4, v5, v4, vcc_lo
	s_wait_alu 0xf1ff
	s_delay_alu instid0(VALU_DEP_2) | instskip(SKIP_1) | instid1(VALU_DEP_2)
	v_cndmask_b32_e64 v5, v6, v7, s0
	s_and_not1_b32 vcc_lo, exec_lo, s77
	v_cmp_le_u32_e64 s2, s82, v4
	s_delay_alu instid0(VALU_DEP_2)
	v_cmp_le_u32_e64 s1, s84, v5
	s_wait_alu 0xfffe
	s_cbranch_vccnz .LBB99_5
; %bb.4:                                ;   in Loop: Header=BB99_3 Depth=1
	v_ashrrev_i32_e32 v16, 31, v15
	s_mov_b32 s56, 0
.LBB99_5:                               ;   in Loop: Header=BB99_3 Depth=1
	v_add_nc_u32_e32 v5, 1, v3
	v_ashrrev_i32_e32 v2, 31, v2
	s_wait_alu 0xfffe
	s_and_not1_b32 vcc_lo, exec_lo, s56
	s_delay_alu instid0(VALU_DEP_2) | instskip(SKIP_1) | instid1(VALU_DEP_2)
	v_cndmask_b32_e64 v3, v3, v5, s0
	v_subrev_nc_u32_e32 v5, s82, v4
	v_add_nc_u32_e32 v6, 1, v3
	s_delay_alu instid0(VALU_DEP_2) | instskip(SKIP_1) | instid1(VALU_DEP_3)
	v_cndmask_b32_e64 v4, v4, v5, s2
	v_xor_b32_e32 v5, s65, v1
	v_cndmask_b32_e64 v1, v3, v6, s1
	s_delay_alu instid0(VALU_DEP_3) | instskip(NEXT) | instid1(VALU_DEP_2)
	v_xor_b32_e32 v3, v4, v2
	v_xor_b32_e32 v4, v1, v5
	s_delay_alu instid0(VALU_DEP_2) | instskip(SKIP_2) | instid1(VALU_DEP_4)
	v_sub_nc_u32_e32 v18, v3, v2
	v_mov_b32_e32 v1, 0
	v_mov_b32_e32 v2, 0
	v_sub_nc_u32_e32 v17, v4, v5
	s_wait_alu 0xfffe
	s_cbranch_vccnz .LBB99_33
; %bb.6:                                ;   in Loop: Header=BB99_3 Depth=1
	v_ashrrev_i32_e32 v16, 31, v15
	v_mad_co_u64_u32 v[3:4], null, s22, v15, s[14:15]
	v_mul_lo_u32 v5, s23, v15
	v_dual_mov_b32 v1, 0 :: v_dual_add_nc_u32 v20, s29, v18
	s_delay_alu instid0(VALU_DEP_4) | instskip(SKIP_2) | instid1(VALU_DEP_2)
	v_mul_lo_u32 v6, s22, v16
	v_dual_mov_b32 v2, 0 :: v_dual_add_nc_u32 v19, s28, v17
	s_mov_b32 s69, 0
	v_add3_u32 v4, v5, v4, v6
	s_branch .LBB99_8
.LBB99_7:                               ;   in Loop: Header=BB99_8 Depth=2
	v_add_co_u32 v3, vcc_lo, v3, s6
	s_wait_alu 0xfffd
	v_add_co_ci_u32_e64 v4, null, s7, v4, vcc_lo
	s_add_co_i32 s69, s69, 1
	s_delay_alu instid0(SALU_CYCLE_1)
	s_cmp_eq_u32 s69, s30
	s_cbranch_scc1 .LBB99_33
.LBB99_8:                               ;   Parent Loop BB99_3 Depth=1
                                        ; =>  This Loop Header: Depth=2
                                        ;       Child Loop BB99_17 Depth 3
                                        ;         Child Loop BB99_24 Depth 4
                                        ;           Child Loop BB99_31 Depth 5
	s_mul_i32 s0, s16, s69
	s_mov_b32 s71, -1
	s_wait_alu 0xfffe
	s_sub_co_i32 s57, s19, s0
	s_mov_b32 s70, 0
	s_wait_alu 0xfffe
	s_cmp_gt_i32 s57, -1
                                        ; implicit-def: $sgpr2
                                        ; implicit-def: $sgpr1
                                        ; implicit-def: $sgpr0
                                        ; implicit-def: $sgpr56
	s_cbranch_scc1 .LBB99_12
; %bb.9:                                ;   in Loop: Header=BB99_8 Depth=2
	s_and_not1_b32 vcc_lo, exec_lo, s71
	s_wait_alu 0xfffe
	s_cbranch_vccz .LBB99_13
.LBB99_10:                              ;   in Loop: Header=BB99_8 Depth=2
	s_and_not1_b32 vcc_lo, exec_lo, s70
	s_mov_b32 s57, 1
	s_wait_alu 0xfffe
	s_cbranch_vccz .LBB99_14
; %bb.11:                               ;   in Loop: Header=BB99_8 Depth=2
	s_and_not1_b32 vcc_lo, exec_lo, s78
	s_wait_alu 0xfffe
	s_cbranch_vccz .LBB99_15
	s_branch .LBB99_7
.LBB99_12:                              ;   in Loop: Header=BB99_8 Depth=2
	s_abs_i32 s2, s57
	s_wait_alu 0xfffe
	s_mul_u64 s[0:1], s[2:3], s[52:53]
	s_wait_alu 0xfffe
	s_mul_i32 s0, s1, s59
	s_wait_alu 0xfffe
	s_sub_co_i32 s0, s2, s0
	s_ashr_i32 s2, s57, 31
	s_wait_alu 0xfffe
	s_sub_co_i32 s56, s0, s59
	s_cmp_ge_u32 s0, s59
	s_wait_alu 0xfffe
	s_cselect_b32 s70, s56, s0
	s_delay_alu instid0(SALU_CYCLE_1) | instskip(SKIP_2) | instid1(SALU_CYCLE_1)
	s_sub_co_i32 s71, s70, s59
	s_cmp_ge_u32 s70, s59
	s_cselect_b32 s70, s71, s70
	s_xor_b32 s70, s70, s2
	s_delay_alu instid0(SALU_CYCLE_1) | instskip(NEXT) | instid1(SALU_CYCLE_1)
	s_sub_co_i32 s70, s70, s2
	s_cmp_lg_u32 s70, 0
	s_cselect_b32 s70, -1, 0
	s_cbranch_execnz .LBB99_10
.LBB99_13:                              ;   in Loop: Header=BB99_8 Depth=2
	s_abs_i32 s2, s57
	s_wait_alu 0xfffe
	s_mul_u64 s[0:1], s[2:3], s[52:53]
	s_wait_alu 0xfffe
	s_mul_i32 s0, s1, s59
	s_wait_alu 0xfffe
	s_sub_co_i32 s0, s2, s0
	s_ashr_i32 s2, s57, 31
	s_wait_alu 0xfffe
	s_sub_co_i32 s56, s0, s59
	s_mov_b32 s57, 1
.LBB99_14:                              ;   in Loop: Header=BB99_8 Depth=2
	s_mov_b32 s57, 0
	s_and_not1_b32 vcc_lo, exec_lo, s78
	s_wait_alu 0xfffe
	s_cbranch_vccnz .LBB99_7
.LBB99_15:                              ;   in Loop: Header=BB99_8 Depth=2
	s_xor_b32 s2, s2, s13
	s_add_co_i32 s70, s1, 1
	s_cmp_ge_u32 s0, s59
	v_dual_mov_b32 v6, v4 :: v_dual_mov_b32 v5, v3
	s_cselect_b32 s1, s70, s1
	s_cselect_b32 s0, s56, s0
	s_wait_alu 0xfffe
	s_add_co_i32 s56, s1, 1
	s_cmp_ge_u32 s0, s59
	s_wait_alu 0xfffe
	s_cselect_b32 s0, s56, s1
	s_wait_alu 0xfffe
	s_xor_b32 s0, s0, s2
	s_wait_alu 0xfffe
	s_sub_co_i32 s56, s0, s2
	s_mov_b32 s2, 0
	s_wait_alu 0xfffe
	s_cmp_lt_i32 s56, s10
	s_cselect_b32 s1, s57, 0
	s_ashr_i32 s57, s56, 31
	s_wait_alu 0xfffe
	s_mul_u64 s[56:57], s[54:55], s[56:57]
	s_wait_alu 0xfffe
	s_add_nc_u64 s[56:57], s[50:51], s[56:57]
	s_branch .LBB99_17
.LBB99_16:                              ;   in Loop: Header=BB99_17 Depth=3
	v_add_co_u32 v5, vcc_lo, v5, s20
	s_wait_alu 0xfffd
	v_add_co_ci_u32_e64 v6, null, s21, v6, vcc_lo
	s_add_co_i32 s2, s2, 1
	s_wait_alu 0xfffe
	s_cmp_eq_u32 s2, s31
	s_cbranch_scc1 .LBB99_7
.LBB99_17:                              ;   Parent Loop BB99_3 Depth=1
                                        ;     Parent Loop BB99_8 Depth=2
                                        ; =>    This Loop Header: Depth=3
                                        ;         Child Loop BB99_24 Depth 4
                                        ;           Child Loop BB99_31 Depth 5
	s_mul_i32 s0, s17, s2
	s_mov_b32 s70, exec_lo
	s_wait_alu 0xfffe
	v_subrev_nc_u32_e32 v8, s0, v19
	s_delay_alu instid0(VALU_DEP_1)
	v_cmp_gt_i32_e64 s0, 0, v8
	v_ashrrev_i32_e32 v7, 31, v8
	v_sub_nc_u32_e32 v9, 0, v8
	v_cmpx_lt_i32_e32 -1, v8
	s_cbranch_execnz .LBB99_20
; %bb.18:                               ;   in Loop: Header=BB99_17 Depth=3
	s_or_b32 exec_lo, exec_lo, s70
	v_mov_b32_e32 v10, 1
	s_and_saveexec_b32 s70, s0
	s_cbranch_execnz .LBB99_21
.LBB99_19:                              ;   in Loop: Header=BB99_17 Depth=3
	s_or_b32 exec_lo, exec_lo, s70
	s_delay_alu instid0(SALU_CYCLE_1)
	s_and_not1_b32 vcc_lo, exec_lo, s79
	s_wait_alu 0xfffe
	s_cbranch_vccz .LBB99_22
	s_branch .LBB99_16
.LBB99_20:                              ;   in Loop: Header=BB99_17 Depth=3
	s_delay_alu instid0(VALU_DEP_2) | instskip(SKIP_1) | instid1(VALU_DEP_1)
	v_max_i32_e32 v10, v8, v9
	s_and_not1_b32 s0, s0, exec_lo
	v_mul_hi_u32 v11, v10, s74
	s_delay_alu instid0(VALU_DEP_1) | instskip(NEXT) | instid1(VALU_DEP_1)
	v_mul_lo_u32 v11, v11, s62
	v_sub_nc_u32_e32 v10, v10, v11
	s_delay_alu instid0(VALU_DEP_1) | instskip(SKIP_2) | instid1(VALU_DEP_2)
	v_subrev_nc_u32_e32 v11, s62, v10
	v_cmp_le_u32_e32 vcc_lo, s62, v10
	s_wait_alu 0xfffd
	v_cndmask_b32_e32 v10, v10, v11, vcc_lo
	s_delay_alu instid0(VALU_DEP_1) | instskip(SKIP_2) | instid1(VALU_DEP_2)
	v_subrev_nc_u32_e32 v11, s62, v10
	v_cmp_le_u32_e32 vcc_lo, s62, v10
	s_wait_alu 0xfffd
	v_cndmask_b32_e32 v10, v10, v11, vcc_lo
	s_delay_alu instid0(VALU_DEP_1) | instskip(NEXT) | instid1(VALU_DEP_1)
	v_xor_b32_e32 v10, v10, v7
	v_sub_nc_u32_e32 v10, v10, v7
	s_delay_alu instid0(VALU_DEP_1)
	v_cmp_ne_u32_e32 vcc_lo, 0, v10
	s_and_b32 s71, vcc_lo, exec_lo
	s_wait_alu 0xfffe
	s_or_b32 s0, s0, s71
	s_or_b32 exec_lo, exec_lo, s70
	v_mov_b32_e32 v10, 1
	s_wait_alu 0xfffe
	s_and_saveexec_b32 s70, s0
	s_cbranch_execz .LBB99_19
.LBB99_21:                              ;   in Loop: Header=BB99_17 Depth=3
	v_mov_b32_e32 v10, 0
	s_or_b32 exec_lo, exec_lo, s70
	s_delay_alu instid0(SALU_CYCLE_1)
	s_and_not1_b32 vcc_lo, exec_lo, s79
	s_wait_alu 0xfffe
	s_cbranch_vccnz .LBB99_16
.LBB99_22:                              ;   in Loop: Header=BB99_17 Depth=3
	v_max_i32_e32 v8, v8, v9
	v_xor_b32_e32 v7, s67, v7
	s_mov_b32 s70, 0
	s_delay_alu instid0(VALU_DEP_2) | instskip(NEXT) | instid1(VALU_DEP_1)
	v_mul_hi_u32 v9, v8, s74
	v_mul_lo_u32 v11, v9, s62
	s_delay_alu instid0(VALU_DEP_1) | instskip(NEXT) | instid1(VALU_DEP_1)
	v_sub_nc_u32_e32 v8, v8, v11
	v_subrev_nc_u32_e32 v12, s62, v8
	v_cmp_le_u32_e32 vcc_lo, s62, v8
	s_wait_alu 0xfffd
	s_delay_alu instid0(VALU_DEP_2) | instskip(NEXT) | instid1(VALU_DEP_1)
	v_dual_cndmask_b32 v8, v8, v12 :: v_dual_add_nc_u32 v11, 1, v9
	v_cndmask_b32_e32 v9, v9, v11, vcc_lo
	s_delay_alu instid0(VALU_DEP_2) | instskip(NEXT) | instid1(VALU_DEP_2)
	v_cmp_le_u32_e32 vcc_lo, s62, v8
	v_add_nc_u32_e32 v11, 1, v9
	s_wait_alu 0xfffd
	s_delay_alu instid0(VALU_DEP_1) | instskip(NEXT) | instid1(VALU_DEP_1)
	v_cndmask_b32_e32 v8, v9, v11, vcc_lo
	v_xor_b32_e32 v8, v8, v7
	s_delay_alu instid0(VALU_DEP_1) | instskip(NEXT) | instid1(VALU_DEP_1)
	v_sub_nc_u32_e32 v9, v8, v7
	v_ashrrev_i32_e32 v11, 31, v9
	v_cmp_gt_i32_e32 vcc_lo, s11, v9
	v_mul_lo_u32 v12, s39, v9
	v_mad_co_u64_u32 v[7:8], null, s38, v9, s[56:57]
	s_delay_alu instid0(VALU_DEP_4) | instskip(SKIP_2) | instid1(VALU_DEP_1)
	v_mul_lo_u32 v11, s38, v11
	s_wait_alu 0xfffd
	v_cndmask_b32_e32 v9, 0, v10, vcc_lo
	v_dual_mov_b32 v10, v6 :: v_dual_and_b32 v21, s1, v9
	s_delay_alu instid0(VALU_DEP_3)
	v_add3_u32 v8, v12, v8, v11
	v_mov_b32_e32 v9, v5
	s_branch .LBB99_24
.LBB99_23:                              ;   in Loop: Header=BB99_24 Depth=4
	v_add_co_u32 v9, vcc_lo, v9, s48
	s_wait_alu 0xfffd
	v_add_co_ci_u32_e64 v10, null, s49, v10, vcc_lo
	s_add_co_i32 s70, s70, 1
	s_delay_alu instid0(SALU_CYCLE_1)
	s_cmp_eq_u32 s70, s76
	s_cbranch_scc1 .LBB99_16
.LBB99_24:                              ;   Parent Loop BB99_3 Depth=1
                                        ;     Parent Loop BB99_8 Depth=2
                                        ;       Parent Loop BB99_17 Depth=3
                                        ; =>      This Loop Header: Depth=4
                                        ;           Child Loop BB99_31 Depth 5
	s_mul_i32 s0, s18, s70
	s_wait_alu 0xfffe
	v_subrev_nc_u32_e32 v12, s0, v20
	s_delay_alu instid0(VALU_DEP_1) | instskip(SKIP_3) | instid1(VALU_DEP_4)
	v_sub_nc_u32_e32 v13, 0, v12
	v_cmp_gt_i32_e64 s0, 0, v12
	v_cmp_lt_i32_e32 vcc_lo, -1, v12
	v_ashrrev_i32_e32 v11, 31, v12
	v_max_i32_e32 v12, v12, v13
	s_and_saveexec_b32 s71, vcc_lo
	s_cbranch_execnz .LBB99_27
; %bb.25:                               ;   in Loop: Header=BB99_24 Depth=4
	s_or_b32 exec_lo, exec_lo, s71
	v_mov_b32_e32 v13, 1
	s_and_saveexec_b32 s71, s0
	s_cbranch_execnz .LBB99_28
.LBB99_26:                              ;   in Loop: Header=BB99_24 Depth=4
	s_or_b32 exec_lo, exec_lo, s71
	s_delay_alu instid0(SALU_CYCLE_1)
	s_and_not1_b32 vcc_lo, exec_lo, s80
	s_wait_alu 0xfffe
	s_cbranch_vccz .LBB99_29
	s_branch .LBB99_23
.LBB99_27:                              ;   in Loop: Header=BB99_24 Depth=4
	s_delay_alu instid0(VALU_DEP_1) | instskip(SKIP_1) | instid1(VALU_DEP_1)
	v_mul_hi_u32 v13, v12, s85
	s_and_not1_b32 s0, s0, exec_lo
	v_mul_lo_u32 v13, v13, s64
	s_delay_alu instid0(VALU_DEP_1) | instskip(NEXT) | instid1(VALU_DEP_1)
	v_sub_nc_u32_e32 v13, v12, v13
	v_subrev_nc_u32_e32 v14, s64, v13
	v_cmp_le_u32_e32 vcc_lo, s64, v13
	s_wait_alu 0xfffd
	s_delay_alu instid0(VALU_DEP_2) | instskip(NEXT) | instid1(VALU_DEP_1)
	v_cndmask_b32_e32 v13, v13, v14, vcc_lo
	v_subrev_nc_u32_e32 v14, s64, v13
	v_cmp_le_u32_e32 vcc_lo, s64, v13
	s_wait_alu 0xfffd
	s_delay_alu instid0(VALU_DEP_2) | instskip(NEXT) | instid1(VALU_DEP_1)
	v_cndmask_b32_e32 v13, v13, v14, vcc_lo
	v_xor_b32_e32 v13, v13, v11
	s_delay_alu instid0(VALU_DEP_1) | instskip(NEXT) | instid1(VALU_DEP_1)
	v_sub_nc_u32_e32 v13, v13, v11
	v_cmp_ne_u32_e32 vcc_lo, 0, v13
	s_and_b32 s72, vcc_lo, exec_lo
	s_wait_alu 0xfffe
	s_or_b32 s0, s0, s72
	s_or_b32 exec_lo, exec_lo, s71
	v_mov_b32_e32 v13, 1
	s_wait_alu 0xfffe
	s_and_saveexec_b32 s71, s0
	s_cbranch_execz .LBB99_26
.LBB99_28:                              ;   in Loop: Header=BB99_24 Depth=4
	v_mov_b32_e32 v13, 0
	s_or_b32 exec_lo, exec_lo, s71
	s_delay_alu instid0(SALU_CYCLE_1)
	s_and_not1_b32 vcc_lo, exec_lo, s80
	s_wait_alu 0xfffe
	s_cbranch_vccnz .LBB99_23
.LBB99_29:                              ;   in Loop: Header=BB99_24 Depth=4
	v_mul_hi_u32 v14, v12, s85
	v_xor_b32_e32 v11, s75, v11
	s_mov_b32 s71, s8
	s_delay_alu instid0(VALU_DEP_2) | instskip(NEXT) | instid1(VALU_DEP_1)
	v_mul_lo_u32 v22, v14, s64
	v_sub_nc_u32_e32 v12, v12, v22
	v_add_nc_u32_e32 v22, 1, v14
	s_delay_alu instid0(VALU_DEP_2) | instskip(SKIP_2) | instid1(VALU_DEP_3)
	v_subrev_nc_u32_e32 v23, s64, v12
	v_cmp_le_u32_e32 vcc_lo, s64, v12
	s_wait_alu 0xfffd
	v_cndmask_b32_e32 v14, v14, v22, vcc_lo
	s_delay_alu instid0(VALU_DEP_3) | instskip(NEXT) | instid1(VALU_DEP_2)
	v_cndmask_b32_e32 v12, v12, v23, vcc_lo
	v_add_nc_u32_e32 v22, 1, v14
	s_delay_alu instid0(VALU_DEP_2) | instskip(SKIP_1) | instid1(VALU_DEP_2)
	v_cmp_le_u32_e32 vcc_lo, s64, v12
	s_wait_alu 0xfffd
	v_cndmask_b32_e32 v12, v14, v22, vcc_lo
	s_delay_alu instid0(VALU_DEP_1) | instskip(NEXT) | instid1(VALU_DEP_1)
	v_xor_b32_e32 v12, v12, v11
	v_sub_nc_u32_e32 v11, v12, v11
	s_delay_alu instid0(VALU_DEP_1)
	v_cmp_gt_i32_e32 vcc_lo, s12, v11
	v_ashrrev_i32_e32 v14, 31, v11
	v_mul_lo_u32 v22, s45, v11
	v_mad_co_u64_u32 v[11:12], null, s44, v11, v[7:8]
	s_wait_alu 0xfffd
	v_cndmask_b32_e32 v13, 0, v13, vcc_lo
	v_mul_lo_u32 v14, s44, v14
	s_delay_alu instid0(VALU_DEP_2) | instskip(NEXT) | instid1(VALU_DEP_2)
	v_and_b32_e32 v13, v21, v13
	v_add3_u32 v12, v22, v12, v14
	s_delay_alu instid0(VALU_DEP_2) | instskip(NEXT) | instid1(VALU_DEP_1)
	v_and_b32_e32 v13, 1, v13
	v_cmp_eq_u32_e32 vcc_lo, 1, v13
	v_dual_mov_b32 v14, v10 :: v_dual_mov_b32 v13, v9
	s_branch .LBB99_31
.LBB99_30:                              ;   in Loop: Header=BB99_31 Depth=5
	s_wait_alu 0xfffe
	s_or_b32 exec_lo, exec_lo, s0
	v_add_co_u32 v13, s0, v13, s34
	s_wait_alu 0xf1ff
	v_add_co_ci_u32_e64 v14, null, s35, v14, s0
	v_add_co_u32 v11, s0, v11, s46
	s_wait_alu 0xf1ff
	v_add_co_ci_u32_e64 v12, null, s47, v12, s0
	s_add_co_i32 s71, s71, -1
	s_delay_alu instid0(SALU_CYCLE_1)
	s_cmp_eq_u32 s71, 0
	s_cbranch_scc1 .LBB99_23
.LBB99_31:                              ;   Parent Loop BB99_3 Depth=1
                                        ;     Parent Loop BB99_8 Depth=2
                                        ;       Parent Loop BB99_17 Depth=3
                                        ;         Parent Loop BB99_24 Depth=4
                                        ; =>        This Inner Loop Header: Depth=5
	s_and_saveexec_b32 s0, vcc_lo
	s_cbranch_execz .LBB99_30
; %bb.32:                               ;   in Loop: Header=BB99_31 Depth=5
	global_load_u16 v22, v[13:14], off
	global_load_u16 v23, v[11:12], off
	s_wait_loadcnt 0x1
	v_lshlrev_b32_e32 v22, 16, v22
	s_wait_loadcnt 0x0
	v_lshlrev_b32_e32 v24, 16, v23
	s_delay_alu instid0(VALU_DEP_2) | instskip(NEXT) | instid1(VALU_DEP_2)
	v_cvt_f64_f32_e32 v[22:23], v22
	v_cvt_f64_f32_e32 v[24:25], v24
	s_delay_alu instid0(VALU_DEP_1)
	v_fma_f64 v[1:2], v[24:25], v[22:23], v[1:2]
	s_branch .LBB99_30
.LBB99_33:                              ;   in Loop: Header=BB99_3 Depth=1
	v_ashrrev_i32_e32 v5, 31, v18
	v_mul_lo_u32 v6, s41, v18
	v_mad_co_u64_u32 v[3:4], null, s40, v18, 0
	v_ashrrev_i32_e32 v7, 31, v17
	s_delay_alu instid0(VALU_DEP_4) | instskip(SKIP_2) | instid1(VALU_DEP_1)
	v_mul_lo_u32 v5, s40, v5
	s_and_b32 vcc_lo, exec_lo, s83
	s_mov_b32 s0, -1
	v_add3_u32 v4, v4, v5, v6
	v_mul_lo_u32 v5, s43, v17
	v_mul_lo_u32 v6, s42, v7
	s_delay_alu instid0(VALU_DEP_3) | instskip(NEXT) | instid1(VALU_DEP_1)
	v_mad_co_u64_u32 v[3:4], null, s42, v17, v[3:4]
	v_add3_u32 v4, v5, v4, v6
	v_mul_lo_u32 v5, v15, s37
	v_mul_lo_u32 v6, v16, s36
	s_delay_alu instid0(VALU_DEP_3) | instskip(NEXT) | instid1(VALU_DEP_1)
	v_mad_co_u64_u32 v[3:4], null, v15, s36, v[3:4]
	v_add3_u32 v4, v6, v4, v5
	s_wait_alu 0xfffe
	s_cbranch_vccz .LBB99_35
; %bb.34:                               ;   in Loop: Header=BB99_3 Depth=1
	s_delay_alu instid0(VALU_DEP_1) | instskip(NEXT) | instid1(VALU_DEP_1)
	v_lshlrev_b64_e32 v[5:6], 1, v[3:4]
	v_add_co_u32 v5, vcc_lo, s4, v5
	s_wait_alu 0xfffd
	s_delay_alu instid0(VALU_DEP_2) | instskip(SKIP_3) | instid1(VALU_DEP_1)
	v_add_co_ci_u32_e64 v6, null, s5, v6, vcc_lo
	global_load_u16 v7, v[5:6], off
	s_wait_loadcnt 0x0
	v_lshlrev_b32_e32 v7, 16, v7
	v_cvt_f64_f32_e32 v[7:8], v7
	s_delay_alu instid0(VALU_DEP_1) | instskip(NEXT) | instid1(VALU_DEP_1)
	v_mul_f64_e32 v[7:8], s[26:27], v[7:8]
	v_fma_f64 v[7:8], s[24:25], v[1:2], v[7:8]
	s_delay_alu instid0(VALU_DEP_1) | instskip(NEXT) | instid1(VALU_DEP_1)
	v_cvt_f32_f64_e32 v7, v[7:8]
	v_and_b32_e32 v8, 0x7f800000, v7
	v_and_b32_e32 v9, 0xffff, v7
	v_lshrrev_b32_e32 v7, 16, v7
	s_delay_alu instid0(VALU_DEP_3) | instskip(NEXT) | instid1(VALU_DEP_3)
	v_cmp_eq_u32_e32 vcc_lo, 0x7f800000, v8
	v_cmp_ne_u32_e64 s0, 0, v9
	s_and_b32 s0, vcc_lo, s0
	s_wait_alu 0xfffe
	v_cndmask_b32_e64 v8, 0, 1, s0
	s_mov_b32 s0, 0
	s_delay_alu instid0(VALU_DEP_1)
	v_or_b32_e32 v7, v7, v8
	global_store_b16 v[5:6], v7, off
.LBB99_35:                              ;   in Loop: Header=BB99_3 Depth=1
	s_wait_alu 0xfffe
	s_and_not1_b32 vcc_lo, exec_lo, s0
	s_wait_alu 0xfffe
	s_cbranch_vccnz .LBB99_2
; %bb.36:                               ;   in Loop: Header=BB99_3 Depth=1
	v_cvt_f32_f64_e32 v1, v[1:2]
	s_delay_alu instid0(VALU_DEP_1) | instskip(SKIP_1) | instid1(VALU_DEP_2)
	v_and_b32_e32 v2, 0x7f800000, v1
	v_and_b32_e32 v5, 0xffff, v1
	v_cmp_eq_u32_e32 vcc_lo, 0x7f800000, v2
	s_delay_alu instid0(VALU_DEP_2)
	v_cmp_ne_u32_e64 s0, 0, v5
	v_lshrrev_b32_e32 v5, 16, v1
	v_lshlrev_b64_e32 v[1:2], 1, v[3:4]
	s_and_b32 s0, vcc_lo, s0
	s_wait_alu 0xfffe
	v_cndmask_b32_e64 v6, 0, 1, s0
	s_delay_alu instid0(VALU_DEP_2) | instskip(SKIP_2) | instid1(VALU_DEP_3)
	v_add_co_u32 v1, vcc_lo, s4, v1
	s_wait_alu 0xfffd
	v_add_co_ci_u32_e64 v2, null, s5, v2, vcc_lo
	v_or_b32_e32 v3, v5, v6
	global_store_b16 v[1:2], v3, off
	s_branch .LBB99_2
.LBB99_37:
	s_endpgm
	.section	.rodata,"a",@progbits
	.p2align	6, 0x0
	.amdhsa_kernel naive_conv_ab_nonpacked_bwd_ndhwc_ushort_double_ushort_0
		.amdhsa_group_segment_fixed_size 0
		.amdhsa_private_segment_fixed_size 0
		.amdhsa_kernarg_size 528
		.amdhsa_user_sgpr_count 2
		.amdhsa_user_sgpr_dispatch_ptr 0
		.amdhsa_user_sgpr_queue_ptr 0
		.amdhsa_user_sgpr_kernarg_segment_ptr 1
		.amdhsa_user_sgpr_dispatch_id 0
		.amdhsa_user_sgpr_private_segment_size 0
		.amdhsa_wavefront_size32 1
		.amdhsa_uses_dynamic_stack 0
		.amdhsa_enable_private_segment 0
		.amdhsa_system_sgpr_workgroup_id_x 1
		.amdhsa_system_sgpr_workgroup_id_y 0
		.amdhsa_system_sgpr_workgroup_id_z 0
		.amdhsa_system_sgpr_workgroup_info 0
		.amdhsa_system_vgpr_workitem_id 0
		.amdhsa_next_free_vgpr 26
		.amdhsa_next_free_sgpr 90
		.amdhsa_reserve_vcc 1
		.amdhsa_float_round_mode_32 0
		.amdhsa_float_round_mode_16_64 0
		.amdhsa_float_denorm_mode_32 3
		.amdhsa_float_denorm_mode_16_64 3
		.amdhsa_fp16_overflow 0
		.amdhsa_workgroup_processor_mode 1
		.amdhsa_memory_ordered 1
		.amdhsa_forward_progress 1
		.amdhsa_inst_pref_size 27
		.amdhsa_round_robin_scheduling 0
		.amdhsa_exception_fp_ieee_invalid_op 0
		.amdhsa_exception_fp_denorm_src 0
		.amdhsa_exception_fp_ieee_div_zero 0
		.amdhsa_exception_fp_ieee_overflow 0
		.amdhsa_exception_fp_ieee_underflow 0
		.amdhsa_exception_fp_ieee_inexact 0
		.amdhsa_exception_int_div_zero 0
	.end_amdhsa_kernel
	.text
.Lfunc_end99:
	.size	naive_conv_ab_nonpacked_bwd_ndhwc_ushort_double_ushort_0, .Lfunc_end99-naive_conv_ab_nonpacked_bwd_ndhwc_ushort_double_ushort_0
                                        ; -- End function
	.set naive_conv_ab_nonpacked_bwd_ndhwc_ushort_double_ushort_0.num_vgpr, 26
	.set naive_conv_ab_nonpacked_bwd_ndhwc_ushort_double_ushort_0.num_agpr, 0
	.set naive_conv_ab_nonpacked_bwd_ndhwc_ushort_double_ushort_0.numbered_sgpr, 90
	.set naive_conv_ab_nonpacked_bwd_ndhwc_ushort_double_ushort_0.num_named_barrier, 0
	.set naive_conv_ab_nonpacked_bwd_ndhwc_ushort_double_ushort_0.private_seg_size, 0
	.set naive_conv_ab_nonpacked_bwd_ndhwc_ushort_double_ushort_0.uses_vcc, 1
	.set naive_conv_ab_nonpacked_bwd_ndhwc_ushort_double_ushort_0.uses_flat_scratch, 0
	.set naive_conv_ab_nonpacked_bwd_ndhwc_ushort_double_ushort_0.has_dyn_sized_stack, 0
	.set naive_conv_ab_nonpacked_bwd_ndhwc_ushort_double_ushort_0.has_recursion, 0
	.set naive_conv_ab_nonpacked_bwd_ndhwc_ushort_double_ushort_0.has_indirect_call, 0
	.section	.AMDGPU.csdata,"",@progbits
; Kernel info:
; codeLenInByte = 3376
; TotalNumSgprs: 92
; NumVgprs: 26
; ScratchSize: 0
; MemoryBound: 0
; FloatMode: 240
; IeeeMode: 1
; LDSByteSize: 0 bytes/workgroup (compile time only)
; SGPRBlocks: 0
; VGPRBlocks: 3
; NumSGPRsForWavesPerEU: 92
; NumVGPRsForWavesPerEU: 26
; Occupancy: 16
; WaveLimiterHint : 1
; COMPUTE_PGM_RSRC2:SCRATCH_EN: 0
; COMPUTE_PGM_RSRC2:USER_SGPR: 2
; COMPUTE_PGM_RSRC2:TRAP_HANDLER: 0
; COMPUTE_PGM_RSRC2:TGID_X_EN: 1
; COMPUTE_PGM_RSRC2:TGID_Y_EN: 0
; COMPUTE_PGM_RSRC2:TGID_Z_EN: 0
; COMPUTE_PGM_RSRC2:TIDIG_COMP_CNT: 0
	.text
	.protected	naive_conv_ab_packed_wrw_ncdhw_float_double_float_0 ; -- Begin function naive_conv_ab_packed_wrw_ncdhw_float_double_float_0
	.globl	naive_conv_ab_packed_wrw_ncdhw_float_double_float_0
	.p2align	8
	.type	naive_conv_ab_packed_wrw_ncdhw_float_double_float_0,@function
naive_conv_ab_packed_wrw_ncdhw_float_double_float_0: ; @naive_conv_ab_packed_wrw_ncdhw_float_double_float_0
; %bb.0:
	s_clause 0x2
	s_load_b512 s[4:19], s[0:1], 0xb8
	s_load_b64 s[48:49], s[0:1], 0x108
	s_load_b128 s[28:31], s[0:1], 0xf8
	s_mov_b32 s3, exec_lo
	s_wait_kmcnt 0x0
	s_abs_i32 s35, s8
	s_delay_alu instid0(SALU_CYCLE_1) | instskip(SKIP_1) | instid1(SALU_CYCLE_1)
	s_cvt_f32_u32 s2, s35
	s_mul_i32 s55, s48, s31
	s_mul_i32 s54, s55, s30
	s_delay_alu instid0(SALU_CYCLE_1) | instskip(SKIP_1) | instid1(TRANS32_DEP_1)
	v_rcp_iflag_f32_e32 v1, s2
	s_mul_i32 s33, s54, s9
	v_readfirstlane_b32 s2, v1
	v_cmpx_gt_i32_e64 s33, v0
	s_cbranch_execz .LBB100_21
; %bb.1:
	s_mul_f32 s2, s2, 0x4f7ffffe
	s_sub_co_i32 s3, 0, s35
	s_load_b256 s[20:27], s[0:1], 0x0
	s_ashr_i32 s38, ttmp9, 31
	s_cvt_u32_f32 s34, s2
	s_abs_i32 s2, ttmp9
	s_ashr_i32 s41, s8, 31
	s_mov_b32 s42, s9
	s_mul_i32 s36, s3, s34
	s_mov_b32 s3, 0
	s_mul_hi_u32 s36, s34, s36
	s_wait_alu 0xfffe
	s_mov_b32 s37, s3
	s_add_co_i32 s36, s34, s36
	s_xor_b32 s44, s38, s41
	s_mul_u64 s[36:37], s[2:3], s[36:37]
	s_mov_b32 s34, s4
	s_mul_i32 s39, s37, s35
	s_mov_b32 s36, s5
	s_sub_co_i32 s2, s2, s39
	s_add_co_i32 s39, s37, 1
	s_wait_alu 0xfffe
	s_sub_co_i32 s40, s2, s35
	s_cmp_ge_u32 s2, s35
	s_mov_b32 s38, s6
	s_cselect_b32 s37, s39, s37
	s_cselect_b32 s2, s40, s2
	s_add_co_i32 s39, s37, 1
	s_wait_alu 0xfffe
	s_cmp_ge_u32 s2, s35
	s_mov_b32 s40, s8
	s_cselect_b32 s2, s39, s37
	s_ashr_i32 s35, s4, 31
	s_ashr_i32 s37, s5, 31
	s_wait_alu 0xfffe
	s_xor_b32 s2, s2, s44
	s_mul_u64 s[4:5], s[36:37], s[34:35]
	s_ashr_i32 s39, s6, 31
	s_wait_alu 0xfffe
	s_sub_co_i32 s44, s2, s44
	s_ashr_i32 s43, s9, 31
	s_mul_u64 s[4:5], s[4:5], s[38:39]
	s_mul_i32 s2, s44, s8
	s_ashr_i32 s45, s44, 31
	s_mul_u64 s[52:53], s[4:5], s[42:43]
	s_ashr_i32 s5, s30, 31
	s_mov_b32 s4, s30
	s_wait_alu 0xfffe
	s_sub_co_i32 s46, ttmp9, s2
	s_wait_kmcnt 0x0
	v_cmp_neq_f64_e64 s2, s[24:25], 1.0
	v_cmp_neq_f64_e64 s66, s[26:27], 0
	s_mul_u64 s[50:51], s[44:45], s[40:41]
	s_ashr_i32 s41, s31, 31
	s_mul_u64 s[56:57], s[4:5], s[42:43]
	s_mov_b32 s40, s31
	s_ashr_i32 s43, s48, 31
	s_mov_b32 s42, s48
	s_ashr_i32 s47, s46, 31
	s_mul_u64 s[56:57], s[56:57], s[40:41]
	s_add_nc_u64 s[50:51], s[50:51], s[46:47]
	s_mul_u64 s[46:47], s[56:57], s[42:43]
	s_mul_u64 s[44:45], s[52:53], s[44:45]
	s_mul_u64 s[46:47], s[46:47], s[50:51]
	s_lshl_b64 s[56:57], s[44:45], 2
	s_lshl_b64 s[62:63], s[46:47], 2
	s_ashr_i32 s45, s10, 31
	s_ashr_i32 s47, s11, 31
	;; [unrolled: 1-line block ×3, first 2 shown]
	s_cmp_lt_i32 s7, 1
	s_add_nc_u64 s[22:23], s[22:23], s[62:63]
	s_cselect_b32 s6, -1, 0
	s_cmp_gt_i32 s10, 0
	s_mul_i32 s63, s49, s9
	s_cselect_b32 s58, -1, 0
	s_cmp_gt_i32 s11, 0
	s_mov_b32 s46, s11
	s_cselect_b32 s59, -1, 0
	s_cmp_gt_i32 s12, 0
	s_add_nc_u64 s[20:21], s[20:21], s[56:57]
	s_cselect_b32 s60, -1, 0
	s_abs_i32 s61, s48
	s_abs_i32 s62, s31
	s_cvt_f32_u32 s44, s61
	s_abs_i32 s65, s55
	s_abs_i32 s67, s30
	s_abs_i32 s69, s54
	v_rcp_iflag_f32_e32 v1, s44
	s_mov_b32 s44, s10
	s_cvt_f32_u32 s10, s62
	s_or_b32 s66, s2, s66
	s_cvt_f32_u32 s2, s65
	s_cvt_f32_u32 s11, s69
	v_rcp_iflag_f32_e32 v2, s10
	s_clause 0x1
	s_load_b64 s[56:57], s[0:1], 0x20
	s_load_b32 s31, s[0:1], 0x11c
	s_mul_i32 s0, s49, s8
	s_mov_b32 s52, s12
	v_readfirstlane_b32 s10, v1
	v_rcp_iflag_f32_e32 v1, s2
	s_ashr_i32 s1, s0, 31
	s_ashr_i32 s64, s63, 31
	;; [unrolled: 1-line block ×3, first 2 shown]
	s_mul_f32 s8, s10, 0x4f7ffffe
	v_readfirstlane_b32 s9, v2
	s_sub_co_i32 s10, 0, s61
	s_ashr_i32 s74, s54, 31
	s_cvt_u32_f32 s8, s8
	s_mul_f32 s2, s9, 0x4f7ffffe
	s_cvt_f32_u32 s9, s67
	v_readfirstlane_b32 s30, v1
	v_rcp_iflag_f32_e32 v1, s11
	s_wait_alu 0xfffe
	s_cvt_u32_f32 s2, s2
	v_rcp_iflag_f32_e32 v2, s9
	s_mul_i32 s10, s10, s8
	s_mul_f32 s11, s30, 0x4f7ffffe
	s_sub_co_i32 s9, 0, s62
	s_wait_alu 0xfffe
	s_mul_hi_u32 s10, s8, s10
	s_mul_i32 s9, s9, s2
	s_wait_alu 0xfffe
	s_add_co_i32 s70, s8, s10
	s_mul_hi_u32 s9, s2, s9
	v_readfirstlane_b32 s10, v1
	s_wait_alu 0xfffe
	s_add_co_i32 s71, s2, s9
	v_readfirstlane_b32 s30, v2
	s_cvt_u32_f32 s2, s11
	s_sub_co_i32 s9, 0, s65
	s_sub_co_i32 s11, 0, s67
	s_mul_f32 s10, s10, 0x4f7ffffe
	s_mul_f32 s8, s30, 0x4f7ffffe
	s_wait_alu 0xfffe
	s_mul_i32 s9, s9, s2
	s_wait_kmcnt 0x0
	s_and_b32 s68, s31, 0xffff
	s_wait_alu 0xfffe
	s_mul_hi_u32 s9, s2, s9
	s_cvt_u32_f32 s8, s8
	s_wait_alu 0xfffe
	s_add_co_i32 s73, s2, s9
	s_cvt_u32_f32 s48, s10
	s_mul_u64 s[30:31], s[52:53], s[46:47]
	s_mul_i32 s11, s11, s8
	v_mov_b32_e32 v2, 0
	s_wait_alu 0xfffe
	s_mul_hi_u32 s2, s8, s11
	s_wait_alu 0xfffe
	s_add_co_i32 s47, s8, s2
	s_sub_co_i32 s2, 0, s69
	s_mul_u64 s[8:9], s[30:31], s[44:45]
	s_wait_alu 0xfffe
	s_mul_i32 s2, s2, s48
	s_mul_u64 s[10:11], s[8:9], s[50:51]
	s_wait_alu 0xfffe
	s_mul_hi_u32 s2, s48, s2
	s_lshl_b64 s[10:11], s[10:11], 2
	s_mul_u64 s[0:1], s[8:9], s[0:1]
	s_wait_alu 0xfffe
	s_add_co_i32 s45, s48, s2
	s_add_nc_u64 s[8:9], s[56:57], s[10:11]
	s_lshl_b64 s[10:11], s[0:1], 2
	s_lshl_b64 s[30:31], s[30:31], 2
	;; [unrolled: 1-line block ×3, first 2 shown]
	s_sub_co_i32 s2, 0, s29
	s_branch .LBB100_3
.LBB100_2:                              ;   in Loop: Header=BB100_3 Depth=1
	s_delay_alu instid0(VALU_DEP_1) | instskip(SKIP_1) | instid1(VALU_DEP_1)
	v_cvt_f32_f64_e32 v1, v[3:4]
	v_add_nc_u32_e32 v0, s68, v0
	v_cmp_le_i32_e32 vcc_lo, s33, v0
	s_or_b32 s3, vcc_lo, s3
	global_store_b32 v[5:6], v1, off
	s_wait_alu 0xfffe
	s_and_not1_b32 exec_lo, exec_lo, s3
	s_cbranch_execz .LBB100_21
.LBB100_3:                              ; =>This Loop Header: Depth=1
                                        ;     Child Loop BB100_8 Depth 2
                                        ;       Child Loop BB100_11 Depth 3
                                        ;         Child Loop BB100_14 Depth 4
                                        ;           Child Loop BB100_17 Depth 5
	v_sub_nc_u32_e32 v1, 0, v0
	v_ashrrev_i32_e32 v8, 31, v0
	s_mov_b32 s29, -1
	s_delay_alu instid0(VALU_DEP_2) | instskip(NEXT) | instid1(VALU_DEP_2)
	v_max_i32_e32 v4, v0, v1
	v_xor_b32_e32 v11, s72, v8
	s_delay_alu instid0(VALU_DEP_2) | instskip(SKIP_1) | instid1(VALU_DEP_2)
	v_mul_hi_u32 v1, v4, s70
	v_mul_hi_u32 v3, v4, s73
	v_mul_lo_u32 v5, v1, s61
	v_add_nc_u32_e32 v7, 1, v1
	s_delay_alu instid0(VALU_DEP_3) | instskip(SKIP_1) | instid1(VALU_DEP_4)
	v_mul_lo_u32 v6, v3, s65
	v_add_nc_u32_e32 v9, 1, v3
	v_sub_nc_u32_e32 v5, v4, v5
	s_delay_alu instid0(VALU_DEP_3) | instskip(NEXT) | instid1(VALU_DEP_2)
	v_sub_nc_u32_e32 v6, v4, v6
	v_cmp_le_u32_e32 vcc_lo, s61, v5
	s_delay_alu instid0(VALU_DEP_2)
	v_subrev_nc_u32_e32 v10, s65, v6
	v_cmp_le_u32_e64 s0, s65, v6
	s_wait_alu 0xfffd
	v_cndmask_b32_e32 v1, v1, v7, vcc_lo
	v_subrev_nc_u32_e32 v7, s61, v5
	s_wait_alu 0xf1ff
	v_cndmask_b32_e64 v3, v3, v9, s0
	v_cndmask_b32_e64 v6, v6, v10, s0
	v_xor_b32_e32 v9, s43, v8
	v_cndmask_b32_e32 v5, v5, v7, vcc_lo
	v_xor_b32_e32 v8, s74, v8
	s_delay_alu instid0(VALU_DEP_2) | instskip(SKIP_2) | instid1(VALU_DEP_1)
	v_cmp_le_u32_e32 vcc_lo, s61, v5
	s_wait_alu 0xfffe
	v_mul_hi_u32 v5, v4, s45
	v_add_nc_u32_e32 v12, 1, v5
	v_add_nc_u32_e32 v7, 1, v1
	;; [unrolled: 1-line block ×3, first 2 shown]
	s_wait_alu 0xfffd
	s_delay_alu instid0(VALU_DEP_2) | instskip(SKIP_1) | instid1(VALU_DEP_2)
	v_cndmask_b32_e32 v1, v1, v7, vcc_lo
	v_cmp_le_u32_e32 vcc_lo, s65, v6
	v_xor_b32_e32 v1, v1, v9
	s_wait_alu 0xfffd
	v_cndmask_b32_e32 v3, v3, v10, vcc_lo
	s_delay_alu instid0(VALU_DEP_2) | instskip(NEXT) | instid1(VALU_DEP_2)
	v_sub_nc_u32_e32 v1, v1, v9
	v_xor_b32_e32 v3, v3, v11
	v_mul_lo_u32 v9, v5, s69
	s_delay_alu instid0(VALU_DEP_3) | instskip(NEXT) | instid1(VALU_DEP_3)
	v_sub_nc_u32_e32 v6, 0, v1
	v_sub_nc_u32_e32 v3, v3, v11
	s_delay_alu instid0(VALU_DEP_2) | instskip(NEXT) | instid1(VALU_DEP_2)
	v_max_i32_e32 v6, v1, v6
	v_sub_nc_u32_e32 v7, 0, v3
	v_sub_nc_u32_e32 v4, v4, v9
	s_delay_alu instid0(VALU_DEP_3) | instskip(NEXT) | instid1(VALU_DEP_3)
	v_mul_hi_u32 v10, v6, s71
	v_max_i32_e32 v7, v3, v7
	s_delay_alu instid0(VALU_DEP_3) | instskip(NEXT) | instid1(VALU_DEP_2)
	v_cmp_le_u32_e32 vcc_lo, s69, v4
	v_mul_hi_u32 v11, v7, s47
	s_wait_alu 0xfffd
	v_cndmask_b32_e32 v5, v5, v12, vcc_lo
	v_mul_lo_u32 v9, v10, s62
	s_delay_alu instid0(VALU_DEP_3) | instskip(SKIP_1) | instid1(VALU_DEP_3)
	v_mul_lo_u32 v10, v11, s67
	v_subrev_nc_u32_e32 v11, s69, v4
	v_sub_nc_u32_e32 v6, v6, v9
	s_delay_alu instid0(VALU_DEP_2) | instskip(NEXT) | instid1(VALU_DEP_4)
	v_dual_cndmask_b32 v4, v4, v11 :: v_dual_add_nc_u32 v9, 1, v5
	v_sub_nc_u32_e32 v7, v7, v10
	s_delay_alu instid0(VALU_DEP_3) | instskip(NEXT) | instid1(VALU_DEP_3)
	v_subrev_nc_u32_e32 v10, s62, v6
	v_cmp_le_u32_e32 vcc_lo, s69, v4
	s_delay_alu instid0(VALU_DEP_3) | instskip(SKIP_3) | instid1(VALU_DEP_2)
	v_subrev_nc_u32_e32 v11, s67, v7
	s_wait_alu 0xfffd
	v_cndmask_b32_e32 v5, v5, v9, vcc_lo
	v_cmp_le_u32_e32 vcc_lo, s62, v6
	v_xor_b32_e32 v5, v5, v8
	s_wait_alu 0xfffd
	v_cndmask_b32_e32 v4, v6, v10, vcc_lo
	v_cmp_le_u32_e32 vcc_lo, s67, v7
	s_delay_alu instid0(VALU_DEP_3) | instskip(NEXT) | instid1(VALU_DEP_3)
	v_sub_nc_u32_e32 v5, v5, v8
	v_cmp_le_u32_e64 s0, s62, v4
	s_wait_alu 0xfffd
	v_cndmask_b32_e32 v7, v7, v11, vcc_lo
	s_and_not1_b32 vcc_lo, exec_lo, s6
	s_delay_alu instid0(VALU_DEP_1)
	v_cmp_le_u32_e64 s1, s67, v7
	s_wait_alu 0xfffe
	s_cbranch_vccnz .LBB100_5
; %bb.4:                                ;   in Loop: Header=BB100_3 Depth=1
	v_ashrrev_i32_e32 v6, 31, v5
	s_mov_b32 s29, 0
.LBB100_5:                              ;   in Loop: Header=BB100_3 Depth=1
	v_subrev_nc_u32_e32 v8, s62, v4
	v_subrev_nc_u32_e32 v9, s67, v7
	v_ashrrev_i32_e32 v10, 31, v1
	v_ashrrev_i32_e32 v11, 31, v3
	v_mul_lo_u32 v1, v1, s42
	s_wait_alu 0xf1ff
	v_cndmask_b32_e64 v3, v4, v8, s0
	v_cndmask_b32_e64 v4, v7, v9, s1
	s_and_not1_b32 vcc_lo, exec_lo, s29
	s_delay_alu instid0(VALU_DEP_2) | instskip(NEXT) | instid1(VALU_DEP_2)
	v_xor_b32_e32 v8, v3, v10
	v_xor_b32_e32 v9, v4, v11
	v_mov_b32_e32 v3, 0
	v_mov_b32_e32 v4, 0
	v_sub_nc_u32_e32 v7, v0, v1
	v_sub_nc_u32_e32 v8, v8, v10
	;; [unrolled: 1-line block ×3, first 2 shown]
	s_wait_alu 0xfffe
	s_cbranch_vccnz .LBB100_19
; %bb.6:                                ;   in Loop: Header=BB100_3 Depth=1
	s_delay_alu instid0(VALU_DEP_1)
	v_mul_lo_u32 v15, v9, s16
	v_mul_lo_u32 v16, v8, s17
	v_mad_co_u64_u32 v[10:11], null, v7, s18, s[2:3]
	v_mov_b32_e32 v3, 0
	v_mov_b32_e32 v4, 0
	v_ashrrev_i32_e32 v6, 31, v5
	s_mov_b32 s1, 0
	s_mov_b64 s[50:51], s[8:9]
	s_branch .LBB100_8
.LBB100_7:                              ;   in Loop: Header=BB100_8 Depth=2
	s_add_co_i32 s1, s1, 1
	s_add_nc_u64 s[50:51], s[50:51], s[10:11]
	s_wait_alu 0xfffe
	s_cmp_eq_u32 s1, s7
	s_cbranch_scc1 .LBB100_19
.LBB100_8:                              ;   Parent Loop BB100_3 Depth=1
                                        ; =>  This Loop Header: Depth=2
                                        ;       Child Loop BB100_11 Depth 3
                                        ;         Child Loop BB100_14 Depth 4
                                        ;           Child Loop BB100_17 Depth 5
	s_and_not1_b32 vcc_lo, exec_lo, s58
	s_wait_alu 0xfffe
	s_cbranch_vccnz .LBB100_7
; %bb.9:                                ;   in Loop: Header=BB100_8 Depth=2
	v_mad_co_u64_u32 v[11:12], null, s1, s63, v[5:6]
	s_mov_b32 s29, 0
	s_mov_b64 s[52:53], s[50:51]
	v_mov_b32_e32 v1, v12
	s_delay_alu instid0(VALU_DEP_1) | instskip(SKIP_1) | instid1(VALU_DEP_2)
	v_mad_co_u64_u32 v[12:13], null, s1, s64, v[1:2]
	v_mul_lo_u32 v1, v11, s35
	v_mul_lo_u32 v13, v12, s34
	v_mad_co_u64_u32 v[11:12], null, v11, s34, 0
	s_delay_alu instid0(VALU_DEP_1)
	v_add3_u32 v12, v12, v1, v13
	s_branch .LBB100_11
.LBB100_10:                             ;   in Loop: Header=BB100_11 Depth=3
	s_add_co_i32 s29, s29, 1
	s_add_nc_u64 s[52:53], s[52:53], s[30:31]
	s_cmp_eq_u32 s29, s44
	s_cbranch_scc1 .LBB100_7
.LBB100_11:                             ;   Parent Loop BB100_3 Depth=1
                                        ;     Parent Loop BB100_8 Depth=2
                                        ; =>    This Loop Header: Depth=3
                                        ;         Child Loop BB100_14 Depth 4
                                        ;           Child Loop BB100_17 Depth 5
	s_and_not1_b32 vcc_lo, exec_lo, s59
	s_wait_alu 0xfffe
	s_cbranch_vccnz .LBB100_10
; %bb.12:                               ;   in Loop: Header=BB100_11 Depth=3
	s_mul_i32 s0, s29, s13
	s_mov_b32 s75, 0
	s_wait_alu 0xfffe
	s_sub_co_i32 s0, s0, s19
	s_mov_b64 s[54:55], s[52:53]
	s_wait_alu 0xfffe
	v_add_nc_u32_e32 v1, s0, v15
	s_delay_alu instid0(VALU_DEP_1) | instskip(SKIP_3) | instid1(VALU_DEP_3)
	v_add_co_u32 v13, vcc_lo, v11, v1
	s_wait_alu 0xfffd
	v_add_co_ci_u32_e64 v14, null, 0, v12, vcc_lo
	v_cmp_gt_i32_e32 vcc_lo, 0, v1
	v_mul_lo_u32 v18, v13, s37
	v_cmp_le_i32_e64 s0, s34, v1
	s_delay_alu instid0(VALU_DEP_4)
	v_mul_lo_u32 v17, v14, s36
	v_mad_co_u64_u32 v[13:14], null, v13, s36, 0
	s_or_b32 s76, vcc_lo, s0
	v_add3_u32 v14, v14, v18, v17
	s_branch .LBB100_14
.LBB100_13:                             ;   in Loop: Header=BB100_14 Depth=4
	s_add_co_i32 s75, s75, 1
	s_add_nc_u64 s[54:55], s[54:55], s[48:49]
	s_wait_alu 0xfffe
	s_cmp_eq_u32 s75, s46
	s_cbranch_scc1 .LBB100_10
.LBB100_14:                             ;   Parent Loop BB100_3 Depth=1
                                        ;     Parent Loop BB100_8 Depth=2
                                        ;       Parent Loop BB100_11 Depth=3
                                        ; =>      This Loop Header: Depth=4
                                        ;           Child Loop BB100_17 Depth 5
	s_and_not1_b32 vcc_lo, exec_lo, s60
	s_wait_alu 0xfffe
	s_cbranch_vccnz .LBB100_13
; %bb.15:                               ;   in Loop: Header=BB100_14 Depth=4
	s_mul_i32 s0, s75, s14
	s_mov_b64 s[56:57], s[54:55]
	s_wait_alu 0xfffe
	s_sub_co_i32 s0, s0, s28
	s_mov_b32 s78, s12
	s_wait_alu 0xfffe
	v_add_nc_u32_e32 v1, s0, v16
	s_delay_alu instid0(VALU_DEP_1) | instskip(SKIP_3) | instid1(VALU_DEP_3)
	v_add_co_u32 v17, vcc_lo, v13, v1
	s_wait_alu 0xfffd
	v_add_co_ci_u32_e64 v18, null, 0, v14, vcc_lo
	v_cmp_gt_i32_e32 vcc_lo, 0, v1
	v_mul_lo_u32 v20, v17, s39
	v_cmp_le_i32_e64 s0, s36, v1
	s_delay_alu instid0(VALU_DEP_4) | instskip(SKIP_2) | instid1(VALU_DEP_4)
	v_mul_lo_u32 v19, v18, s38
	v_mad_co_u64_u32 v[17:18], null, v17, s38, 0
	v_mov_b32_e32 v1, v10
	s_or_b32 s0, vcc_lo, s0
	s_wait_alu 0xfffe
	s_or_b32 s77, s76, s0
	s_delay_alu instid0(VALU_DEP_2) | instskip(NEXT) | instid1(VALU_DEP_1)
	v_add3_u32 v18, v18, v20, v19
	v_lshlrev_b64_e32 v[17:18], 2, v[17:18]
	s_delay_alu instid0(VALU_DEP_1) | instskip(SKIP_1) | instid1(VALU_DEP_2)
	v_add_co_u32 v17, vcc_lo, s20, v17
	s_wait_alu 0xfffd
	v_add_co_ci_u32_e64 v18, null, s21, v18, vcc_lo
	s_branch .LBB100_17
.LBB100_16:                             ;   in Loop: Header=BB100_17 Depth=5
	s_wait_alu 0xfffe
	s_or_b32 exec_lo, exec_lo, s0
	v_add_nc_u32_e32 v1, s15, v1
	s_add_co_i32 s78, s78, -1
	s_add_nc_u64 s[56:57], s[56:57], 4
	s_wait_alu 0xfffe
	s_cmp_eq_u32 s78, 0
	s_cbranch_scc1 .LBB100_13
.LBB100_17:                             ;   Parent Loop BB100_3 Depth=1
                                        ;     Parent Loop BB100_8 Depth=2
                                        ;       Parent Loop BB100_11 Depth=3
                                        ;         Parent Loop BB100_14 Depth=4
                                        ; =>        This Inner Loop Header: Depth=5
	v_cmp_gt_i32_e32 vcc_lo, 0, v1
	v_cmp_le_i32_e64 s0, s38, v1
	s_or_b32 s0, vcc_lo, s0
	s_wait_alu 0xfffe
	s_nor_b32 s79, s77, s0
	s_wait_alu 0xfffe
	s_and_saveexec_b32 s0, s79
	s_cbranch_execz .LBB100_16
; %bb.18:                               ;   in Loop: Header=BB100_17 Depth=5
	v_lshlrev_b64_e32 v[19:20], 2, v[1:2]
	s_load_b32 s79, s[56:57], 0x0
	s_delay_alu instid0(VALU_DEP_1) | instskip(SKIP_1) | instid1(VALU_DEP_2)
	v_add_co_u32 v19, vcc_lo, v17, v19
	s_wait_alu 0xfffd
	v_add_co_ci_u32_e64 v20, null, v18, v20, vcc_lo
	global_load_b32 v19, v[19:20], off
	s_wait_kmcnt 0x0
	v_cvt_f64_f32_e32 v[21:22], s79
	s_wait_loadcnt 0x0
	v_cvt_f64_f32_e32 v[19:20], v19
	s_delay_alu instid0(VALU_DEP_1)
	v_fma_f64 v[3:4], v[19:20], v[21:22], v[3:4]
	s_branch .LBB100_16
.LBB100_19:                             ;   in Loop: Header=BB100_3 Depth=1
	s_delay_alu instid0(VALU_DEP_1) | instskip(SKIP_2) | instid1(VALU_DEP_3)
	v_ashrrev_i32_e32 v10, 31, v9
	v_mul_lo_u32 v1, v5, s5
	v_mul_lo_u32 v11, v6, s4
	v_mad_co_u64_u32 v[5:6], null, v5, s4, v[9:10]
	v_ashrrev_i32_e32 v9, 31, v8
	s_delay_alu instid0(VALU_DEP_2) | instskip(NEXT) | instid1(VALU_DEP_2)
	v_add3_u32 v1, v11, v6, v1
	v_mad_co_u64_u32 v[8:9], null, v5, s40, v[8:9]
	v_mul_lo_u32 v5, v5, s41
	s_delay_alu instid0(VALU_DEP_3) | instskip(NEXT) | instid1(VALU_DEP_1)
	v_mul_lo_u32 v1, v1, s40
	v_add3_u32 v1, v1, v9, v5
	s_delay_alu instid0(VALU_DEP_4) | instskip(SKIP_2) | instid1(VALU_DEP_4)
	v_mul_lo_u32 v9, v8, s43
	v_mad_co_u64_u32 v[5:6], null, v8, s42, 0
	v_ashrrev_i32_e32 v8, 31, v7
	v_mul_lo_u32 v1, v1, s42
	s_delay_alu instid0(VALU_DEP_2) | instskip(NEXT) | instid1(VALU_DEP_2)
	v_lshlrev_b64_e32 v[7:8], 2, v[7:8]
	v_add3_u32 v6, v6, v9, v1
	s_delay_alu instid0(VALU_DEP_1) | instskip(NEXT) | instid1(VALU_DEP_1)
	v_lshlrev_b64_e32 v[5:6], 2, v[5:6]
	v_add_co_u32 v1, vcc_lo, s22, v5
	s_wait_alu 0xfffd
	s_delay_alu instid0(VALU_DEP_2) | instskip(NEXT) | instid1(VALU_DEP_2)
	v_add_co_ci_u32_e64 v6, null, s23, v6, vcc_lo
	v_add_co_u32 v5, vcc_lo, v1, v7
	s_wait_alu 0xfffd
	s_delay_alu instid0(VALU_DEP_2)
	v_add_co_ci_u32_e64 v6, null, v6, v8, vcc_lo
	s_and_not1_b32 vcc_lo, exec_lo, s66
	s_wait_alu 0xfffe
	s_cbranch_vccnz .LBB100_2
; %bb.20:                               ;   in Loop: Header=BB100_3 Depth=1
	global_load_b32 v1, v[5:6], off
	s_wait_loadcnt 0x0
	v_cvt_f64_f32_e32 v[7:8], v1
	s_delay_alu instid0(VALU_DEP_1) | instskip(NEXT) | instid1(VALU_DEP_1)
	v_mul_f64_e32 v[7:8], s[26:27], v[7:8]
	v_fma_f64 v[3:4], s[24:25], v[3:4], v[7:8]
	s_branch .LBB100_2
.LBB100_21:
	s_endpgm
	.section	.rodata,"a",@progbits
	.p2align	6, 0x0
	.amdhsa_kernel naive_conv_ab_packed_wrw_ncdhw_float_double_float_0
		.amdhsa_group_segment_fixed_size 0
		.amdhsa_private_segment_fixed_size 0
		.amdhsa_kernarg_size 528
		.amdhsa_user_sgpr_count 2
		.amdhsa_user_sgpr_dispatch_ptr 0
		.amdhsa_user_sgpr_queue_ptr 0
		.amdhsa_user_sgpr_kernarg_segment_ptr 1
		.amdhsa_user_sgpr_dispatch_id 0
		.amdhsa_user_sgpr_private_segment_size 0
		.amdhsa_wavefront_size32 1
		.amdhsa_uses_dynamic_stack 0
		.amdhsa_enable_private_segment 0
		.amdhsa_system_sgpr_workgroup_id_x 1
		.amdhsa_system_sgpr_workgroup_id_y 0
		.amdhsa_system_sgpr_workgroup_id_z 0
		.amdhsa_system_sgpr_workgroup_info 0
		.amdhsa_system_vgpr_workitem_id 0
		.amdhsa_next_free_vgpr 23
		.amdhsa_next_free_sgpr 80
		.amdhsa_reserve_vcc 1
		.amdhsa_float_round_mode_32 0
		.amdhsa_float_round_mode_16_64 0
		.amdhsa_float_denorm_mode_32 3
		.amdhsa_float_denorm_mode_16_64 3
		.amdhsa_fp16_overflow 0
		.amdhsa_workgroup_processor_mode 1
		.amdhsa_memory_ordered 1
		.amdhsa_forward_progress 1
		.amdhsa_inst_pref_size 18
		.amdhsa_round_robin_scheduling 0
		.amdhsa_exception_fp_ieee_invalid_op 0
		.amdhsa_exception_fp_denorm_src 0
		.amdhsa_exception_fp_ieee_div_zero 0
		.amdhsa_exception_fp_ieee_overflow 0
		.amdhsa_exception_fp_ieee_underflow 0
		.amdhsa_exception_fp_ieee_inexact 0
		.amdhsa_exception_int_div_zero 0
	.end_amdhsa_kernel
	.text
.Lfunc_end100:
	.size	naive_conv_ab_packed_wrw_ncdhw_float_double_float_0, .Lfunc_end100-naive_conv_ab_packed_wrw_ncdhw_float_double_float_0
                                        ; -- End function
	.set naive_conv_ab_packed_wrw_ncdhw_float_double_float_0.num_vgpr, 23
	.set naive_conv_ab_packed_wrw_ncdhw_float_double_float_0.num_agpr, 0
	.set naive_conv_ab_packed_wrw_ncdhw_float_double_float_0.numbered_sgpr, 80
	.set naive_conv_ab_packed_wrw_ncdhw_float_double_float_0.num_named_barrier, 0
	.set naive_conv_ab_packed_wrw_ncdhw_float_double_float_0.private_seg_size, 0
	.set naive_conv_ab_packed_wrw_ncdhw_float_double_float_0.uses_vcc, 1
	.set naive_conv_ab_packed_wrw_ncdhw_float_double_float_0.uses_flat_scratch, 0
	.set naive_conv_ab_packed_wrw_ncdhw_float_double_float_0.has_dyn_sized_stack, 0
	.set naive_conv_ab_packed_wrw_ncdhw_float_double_float_0.has_recursion, 0
	.set naive_conv_ab_packed_wrw_ncdhw_float_double_float_0.has_indirect_call, 0
	.section	.AMDGPU.csdata,"",@progbits
; Kernel info:
; codeLenInByte = 2248
; TotalNumSgprs: 82
; NumVgprs: 23
; ScratchSize: 0
; MemoryBound: 0
; FloatMode: 240
; IeeeMode: 1
; LDSByteSize: 0 bytes/workgroup (compile time only)
; SGPRBlocks: 0
; VGPRBlocks: 2
; NumSGPRsForWavesPerEU: 82
; NumVGPRsForWavesPerEU: 23
; Occupancy: 16
; WaveLimiterHint : 0
; COMPUTE_PGM_RSRC2:SCRATCH_EN: 0
; COMPUTE_PGM_RSRC2:USER_SGPR: 2
; COMPUTE_PGM_RSRC2:TRAP_HANDLER: 0
; COMPUTE_PGM_RSRC2:TGID_X_EN: 1
; COMPUTE_PGM_RSRC2:TGID_Y_EN: 0
; COMPUTE_PGM_RSRC2:TGID_Z_EN: 0
; COMPUTE_PGM_RSRC2:TIDIG_COMP_CNT: 0
	.text
	.protected	naive_conv_ab_nonpacked_wrw_ncdhw_float_double_float_0 ; -- Begin function naive_conv_ab_nonpacked_wrw_ncdhw_float_double_float_0
	.globl	naive_conv_ab_nonpacked_wrw_ncdhw_float_double_float_0
	.p2align	8
	.type	naive_conv_ab_nonpacked_wrw_ncdhw_float_double_float_0,@function
naive_conv_ab_nonpacked_wrw_ncdhw_float_double_float_0: ; @naive_conv_ab_nonpacked_wrw_ncdhw_float_double_float_0
; %bb.0:
	s_clause 0x2
	s_load_b512 s[4:19], s[0:1], 0xb8
	s_load_b32 s33, s[0:1], 0x108
	s_load_b128 s[28:31], s[0:1], 0xf8
	s_mov_b32 s3, exec_lo
	s_wait_kmcnt 0x0
	s_abs_i32 s73, s8
	s_delay_alu instid0(SALU_CYCLE_1) | instskip(SKIP_1) | instid1(SALU_CYCLE_1)
	s_cvt_f32_u32 s2, s73
	s_mul_i32 s35, s33, s31
	s_mul_i32 s34, s35, s30
	s_delay_alu instid0(SALU_CYCLE_1) | instskip(SKIP_1) | instid1(TRANS32_DEP_1)
	v_rcp_iflag_f32_e32 v1, s2
	s_mul_i32 s72, s34, s9
	v_readfirstlane_b32 s2, v1
	v_cmpx_gt_i32_e64 s72, v0
	s_cbranch_execz .LBB101_21
; %bb.1:
	s_mul_f32 s2, s2, 0x4f7ffffe
	s_sub_co_i32 s3, 0, s73
	s_load_b256 s[20:27], s[0:1], 0x0
	s_delay_alu instid0(SALU_CYCLE_1) | instskip(SKIP_1) | instid1(SALU_CYCLE_2)
	s_cvt_u32_f32 s9, s2
	s_abs_i32 s2, ttmp9
	s_mul_i32 s36, s3, s9
	s_mov_b32 s3, 0
	s_mul_hi_u32 s36, s9, s36
	s_wait_alu 0xfffe
	s_mov_b32 s37, s3
	s_add_co_i32 s36, s9, s36
	s_ashr_i32 s9, ttmp9, 31
	s_mul_u64 s[74:75], s[2:3], s[36:37]
	s_ashr_i32 s74, s8, 31
	s_mul_i32 s76, s75, s73
	s_clause 0x2
	s_load_b512 s[36:51], s[0:1], 0x28
	s_load_b512 s[52:67], s[0:1], 0x68
	s_load_b128 s[68:71], s[0:1], 0xa8
	s_sub_co_i32 s2, s2, s76
	s_xor_b32 s9, s9, s74
	s_add_co_i32 s74, s75, 1
	s_wait_alu 0xfffe
	s_sub_co_i32 s76, s2, s73
	s_cmp_ge_u32 s2, s73
	s_load_b32 s80, s[0:1], 0x11c
	s_cselect_b32 s74, s74, s75
	s_cselect_b32 s2, s76, s2
	s_add_co_i32 s75, s74, 1
	s_wait_alu 0xfffe
	s_cmp_ge_u32 s2, s73
	s_load_b64 s[76:77], s[0:1], 0x20
	s_cselect_b32 s2, s75, s74
	s_wait_alu 0xfffe
	s_xor_b32 s2, s2, s9
	s_wait_alu 0xfffe
	s_sub_co_i32 s0, s2, s9
	s_wait_kmcnt 0x0
	v_cmp_neq_f64_e64 s2, s[24:25], 1.0
	s_mul_i32 s8, s0, s8
	s_ashr_i32 s1, s0, 31
	s_sub_co_i32 s8, ttmp9, s8
	s_mul_u64 s[44:45], s[44:45], s[0:1]
	s_ashr_i32 s9, s8, 31
	s_mul_u64 s[58:59], s[58:59], s[0:1]
	s_mul_u64 s[0:1], s[68:69], s[0:1]
	;; [unrolled: 1-line block ×4, first 2 shown]
	s_lshl_b64 s[44:45], s[44:45], 2
	s_lshl_b64 s[78:79], s[58:59], 2
	;; [unrolled: 1-line block ×5, first 2 shown]
	v_cmp_neq_f64_e64 s58, s[26:27], 0
	s_cmp_lt_i32 s7, 1
	s_add_nc_u64 s[0:1], s[76:77], s[0:1]
	s_cselect_b32 s59, -1, 0
	s_cmp_gt_i32 s10, 0
	s_add_nc_u64 s[8:9], s[20:21], s[44:45]
	s_cselect_b32 s68, -1, 0
	s_cmp_gt_i32 s11, 0
	;; [unrolled: 3-line block ×3, first 2 shown]
	s_add_nc_u64 s[22:23], s[0:1], s[66:67]
	s_cselect_b32 s73, -1, 0
	s_abs_i32 s74, s33
	s_abs_i32 s77, s35
	s_cvt_f32_u32 s75, s74
	s_cvt_f32_u32 s0, s77
	s_abs_i32 s79, s30
	s_and_b32 s76, s80, 0xffff
	v_rcp_iflag_f32_e32 v1, s75
	s_abs_i32 s75, s31
	s_abs_i32 s80, s34
	s_wait_alu 0xfffe
	s_cvt_f32_u32 s31, s75
	s_cvt_f32_u32 s44, s80
	s_sub_co_i32 s30, 0, s74
	s_add_nc_u64 s[20:21], s[20:21], s[56:57]
	v_rcp_iflag_f32_e32 v2, s31
	s_ashr_i32 s78, s33, 31
	s_ashr_i32 s84, s35, 31
	v_readfirstlane_b32 s1, v1
	v_rcp_iflag_f32_e32 v1, s0
	s_ashr_i32 s87, s34, 31
	s_lshl_b64 s[34:35], s[64:65], 2
	s_lshl_b64 s[56:57], s[60:61], 2
	s_mul_f32 s0, s1, 0x4f7ffffe
	s_cvt_f32_u32 s1, s79
	v_readfirstlane_b32 s31, v2
	s_wait_alu 0xfffe
	s_cvt_u32_f32 s0, s0
	v_rcp_iflag_f32_e32 v2, s1
	s_or_b32 s81, s2, s58
	s_mul_f32 s1, s31, 0x4f7ffffe
	v_readfirstlane_b32 s2, v1
	v_rcp_iflag_f32_e32 v1, s44
	s_wait_alu 0xfffe
	s_mul_i32 s30, s30, s0
	s_cvt_u32_f32 s1, s1
	s_sub_co_i32 s31, 0, s75
	s_wait_alu 0xfffe
	s_mul_hi_u32 s30, s0, s30
	s_mul_f32 s2, s2, 0x4f7ffffe
	s_mul_i32 s31, s31, s1
	s_wait_alu 0xfffe
	s_add_co_i32 s82, s0, s30
	s_mul_hi_u32 s0, s1, s31
	v_readfirstlane_b32 s30, v2
	s_wait_alu 0xfffe
	s_add_co_i32 s83, s1, s0
	v_readfirstlane_b32 s1, v1
	s_cvt_u32_f32 s2, s2
	s_sub_co_i32 s0, 0, s77
	s_mul_f32 s30, s30, 0x4f7ffffe
	s_lshl_b64 s[44:45], s[62:63], 2
	s_wait_alu 0xfffe
	s_mul_i32 s0, s0, s2
	s_mul_f32 s1, s1, 0x4f7ffffe
	s_wait_alu 0xfffe
	s_mul_hi_u32 s0, s2, s0
	s_cvt_u32_f32 s30, s30
	s_wait_alu 0xfffe
	s_add_co_i32 s85, s2, s0
	s_sub_co_i32 s0, 0, s79
	s_cvt_u32_f32 s1, s1
	s_wait_alu 0xfffe
	s_mul_i32 s0, s0, s30
	s_sub_co_i32 s2, 0, s80
	s_wait_alu 0xfffe
	s_mul_hi_u32 s0, s30, s0
	s_mul_i32 s2, s2, s1
	s_wait_alu 0xfffe
	s_add_co_i32 s86, s30, s0
	s_mul_hi_u32 s0, s1, s2
	s_lshl_b64 s[30:31], s[70:71], 2
	s_wait_alu 0xfffe
	s_add_co_i32 s88, s1, s0
	s_sub_co_i32 s58, 0, s29
	s_mov_b32 s29, 0
	s_branch .LBB101_3
.LBB101_2:                              ;   in Loop: Header=BB101_3 Depth=1
	s_delay_alu instid0(VALU_DEP_1) | instskip(SKIP_1) | instid1(VALU_DEP_1)
	v_cvt_f32_f64_e32 v1, v[1:2]
	v_add_nc_u32_e32 v0, s76, v0
	v_cmp_le_i32_e32 vcc_lo, s72, v0
	s_or_b32 s29, vcc_lo, s29
	global_store_b32 v[3:4], v1, off
	s_and_not1_b32 exec_lo, exec_lo, s29
	s_cbranch_execz .LBB101_21
.LBB101_3:                              ; =>This Loop Header: Depth=1
                                        ;     Child Loop BB101_8 Depth 2
                                        ;       Child Loop BB101_11 Depth 3
                                        ;         Child Loop BB101_14 Depth 4
                                        ;           Child Loop BB101_17 Depth 5
	v_sub_nc_u32_e32 v1, 0, v0
	v_ashrrev_i32_e32 v7, 31, v0
	s_mov_b32 s2, -1
	s_delay_alu instid0(VALU_DEP_2) | instskip(NEXT) | instid1(VALU_DEP_2)
	v_max_i32_e32 v3, v0, v1
	v_xor_b32_e32 v10, s84, v7
	s_delay_alu instid0(VALU_DEP_2) | instskip(SKIP_1) | instid1(VALU_DEP_2)
	v_mul_hi_u32 v2, v3, s85
	v_mul_hi_u32 v1, v3, s82
	v_mul_lo_u32 v5, v2, s77
	s_delay_alu instid0(VALU_DEP_2) | instskip(SKIP_2) | instid1(VALU_DEP_4)
	v_mul_lo_u32 v4, v1, s74
	v_add_nc_u32_e32 v8, 1, v2
	v_add_nc_u32_e32 v6, 1, v1
	v_sub_nc_u32_e32 v5, v3, v5
	s_delay_alu instid0(VALU_DEP_4) | instskip(NEXT) | instid1(VALU_DEP_2)
	v_sub_nc_u32_e32 v4, v3, v4
	v_cmp_le_u32_e64 s0, s77, v5
	s_delay_alu instid0(VALU_DEP_2) | instskip(SKIP_2) | instid1(VALU_DEP_3)
	v_cmp_le_u32_e32 vcc_lo, s74, v4
	v_subrev_nc_u32_e32 v9, s77, v5
	s_wait_alu 0xf1ff
	v_cndmask_b32_e64 v2, v2, v8, s0
	v_xor_b32_e32 v8, s78, v7
	s_delay_alu instid0(VALU_DEP_3) | instskip(SKIP_1) | instid1(VALU_DEP_4)
	v_cndmask_b32_e64 v5, v5, v9, s0
	v_xor_b32_e32 v7, s87, v7
	v_add_nc_u32_e32 v9, 1, v2
	s_wait_alu 0xfffd
	v_cndmask_b32_e32 v1, v1, v6, vcc_lo
	v_subrev_nc_u32_e32 v6, s74, v4
	s_delay_alu instid0(VALU_DEP_1) | instskip(NEXT) | instid1(VALU_DEP_3)
	v_cndmask_b32_e32 v4, v4, v6, vcc_lo
	v_add_nc_u32_e32 v6, 1, v1
	s_delay_alu instid0(VALU_DEP_2) | instskip(SKIP_2) | instid1(VALU_DEP_3)
	v_cmp_le_u32_e32 vcc_lo, s74, v4
	v_mul_hi_u32 v4, v3, s88
	s_wait_alu 0xfffd
	v_cndmask_b32_e32 v1, v1, v6, vcc_lo
	v_cmp_le_u32_e32 vcc_lo, s77, v5
	s_delay_alu instid0(VALU_DEP_2) | instskip(SKIP_2) | instid1(VALU_DEP_2)
	v_xor_b32_e32 v1, v1, v8
	s_wait_alu 0xfffd
	v_cndmask_b32_e32 v2, v2, v9, vcc_lo
	v_sub_nc_u32_e32 v1, v1, v8
	s_delay_alu instid0(VALU_DEP_2) | instskip(SKIP_1) | instid1(VALU_DEP_3)
	v_xor_b32_e32 v2, v2, v10
	v_mul_lo_u32 v8, v4, s80
	v_sub_nc_u32_e32 v5, 0, v1
	s_delay_alu instid0(VALU_DEP_3) | instskip(NEXT) | instid1(VALU_DEP_3)
	v_sub_nc_u32_e32 v2, v2, v10
	v_sub_nc_u32_e32 v3, v3, v8
	s_delay_alu instid0(VALU_DEP_2) | instskip(NEXT) | instid1(VALU_DEP_4)
	v_sub_nc_u32_e32 v6, 0, v2
	v_max_i32_e32 v5, v1, v5
	s_delay_alu instid0(VALU_DEP_3) | instskip(NEXT) | instid1(VALU_DEP_3)
	v_cmp_le_u32_e32 vcc_lo, s80, v3
	v_max_i32_e32 v6, v2, v6
	s_delay_alu instid0(VALU_DEP_3) | instskip(NEXT) | instid1(VALU_DEP_2)
	v_mul_hi_u32 v9, v5, s83
	v_mul_hi_u32 v10, v6, s86
	s_delay_alu instid0(VALU_DEP_2) | instskip(NEXT) | instid1(VALU_DEP_2)
	v_mul_lo_u32 v8, v9, s75
	v_mul_lo_u32 v9, v10, s79
	v_subrev_nc_u32_e32 v10, s80, v3
	s_delay_alu instid0(VALU_DEP_3) | instskip(SKIP_1) | instid1(VALU_DEP_2)
	v_sub_nc_u32_e32 v5, v5, v8
	s_wait_alu 0xfffd
	v_cndmask_b32_e32 v3, v3, v10, vcc_lo
	s_delay_alu instid0(VALU_DEP_4) | instskip(NEXT) | instid1(VALU_DEP_3)
	v_sub_nc_u32_e32 v6, v6, v9
	v_subrev_nc_u32_e32 v9, s75, v5
	s_delay_alu instid0(VALU_DEP_2) | instskip(SKIP_1) | instid1(VALU_DEP_1)
	v_subrev_nc_u32_e32 v10, s79, v6
	v_add_nc_u32_e32 v11, 1, v4
	v_cndmask_b32_e32 v4, v4, v11, vcc_lo
	v_cmp_le_u32_e32 vcc_lo, s80, v3
	s_delay_alu instid0(VALU_DEP_2) | instskip(SKIP_1) | instid1(VALU_DEP_1)
	v_add_nc_u32_e32 v8, 1, v4
	s_wait_alu 0xfffd
	v_cndmask_b32_e32 v8, v4, v8, vcc_lo
	v_cmp_le_u32_e32 vcc_lo, s75, v5
	s_wait_alu 0xfffd
	v_cndmask_b32_e32 v3, v5, v9, vcc_lo
	v_cmp_le_u32_e32 vcc_lo, s79, v6
	v_xor_b32_e32 v5, v8, v7
	s_delay_alu instid0(VALU_DEP_3) | instskip(SKIP_2) | instid1(VALU_DEP_3)
	v_cmp_le_u32_e64 s0, s75, v3
	s_wait_alu 0xfffd
	v_cndmask_b32_e32 v4, v6, v10, vcc_lo
	v_sub_nc_u32_e32 v5, v5, v7
	s_and_not1_b32 vcc_lo, exec_lo, s59
                                        ; implicit-def: $vgpr6
	s_delay_alu instid0(VALU_DEP_2)
	v_cmp_le_u32_e64 s1, s79, v4
	s_wait_alu 0xfffe
	s_cbranch_vccnz .LBB101_5
; %bb.4:                                ;   in Loop: Header=BB101_3 Depth=1
	v_ashrrev_i32_e32 v6, 31, v5
	s_mov_b32 s2, 0
.LBB101_5:                              ;   in Loop: Header=BB101_3 Depth=1
	v_subrev_nc_u32_e32 v7, s75, v3
	v_subrev_nc_u32_e32 v8, s79, v4
	v_ashrrev_i32_e32 v9, 31, v1
	v_ashrrev_i32_e32 v10, 31, v2
	s_wait_alu 0xfffe
	s_and_not1_b32 vcc_lo, exec_lo, s2
	v_cndmask_b32_e64 v2, v3, v7, s0
	v_cndmask_b32_e64 v3, v4, v8, s1
	v_mul_lo_u32 v4, v1, s33
	s_delay_alu instid0(VALU_DEP_3) | instskip(NEXT) | instid1(VALU_DEP_3)
	v_xor_b32_e32 v8, v2, v9
	v_xor_b32_e32 v3, v3, v10
	v_mov_b32_e32 v1, 0
	v_mov_b32_e32 v2, 0
	v_sub_nc_u32_e32 v7, v0, v4
	v_sub_nc_u32_e32 v8, v8, v9
	;; [unrolled: 1-line block ×3, first 2 shown]
	s_wait_alu 0xfffe
	s_cbranch_vccnz .LBB101_19
; %bb.6:                                ;   in Loop: Header=BB101_3 Depth=1
	v_ashrrev_i32_e32 v6, 31, v5
	v_mul_lo_u32 v3, s43, v5
	v_mad_co_u64_u32 v[1:2], null, s42, v5, 0
	v_mul_lo_u32 v10, v9, s16
	s_delay_alu instid0(VALU_DEP_4) | instskip(SKIP_3) | instid1(VALU_DEP_2)
	v_mul_lo_u32 v4, s42, v6
	v_mul_lo_u32 v11, v8, s17
	s_mov_b32 s2, 0
	s_mov_b64 s[60:61], s[22:23]
	v_add3_u32 v2, v2, v4, v3
	v_mad_co_u64_u32 v[3:4], null, v7, s18, s[58:59]
	s_delay_alu instid0(VALU_DEP_2) | instskip(SKIP_2) | instid1(VALU_DEP_3)
	v_lshlrev_b64_e32 v[12:13], 2, v[1:2]
	v_mov_b32_e32 v1, 0
	v_mov_b32_e32 v2, 0
	v_add_co_u32 v4, vcc_lo, s8, v12
	s_wait_alu 0xfffd
	s_delay_alu instid0(VALU_DEP_4)
	v_add_co_ci_u32_e64 v12, null, s9, v13, vcc_lo
	s_branch .LBB101_8
.LBB101_7:                              ;   in Loop: Header=BB101_8 Depth=2
	s_add_co_i32 s2, s2, 1
	s_add_nc_u64 s[60:61], s[60:61], s[30:31]
	s_wait_alu 0xfffe
	s_cmp_eq_u32 s2, s7
	s_cbranch_scc1 .LBB101_19
.LBB101_8:                              ;   Parent Loop BB101_3 Depth=1
                                        ; =>  This Loop Header: Depth=2
                                        ;       Child Loop BB101_11 Depth 3
                                        ;         Child Loop BB101_14 Depth 4
                                        ;           Child Loop BB101_17 Depth 5
	s_and_not1_b32 vcc_lo, exec_lo, s68
	s_wait_alu 0xfffe
	s_cbranch_vccnz .LBB101_7
; %bb.9:                                ;   in Loop: Header=BB101_8 Depth=2
	s_mul_u64 s[0:1], s[46:47], s[2:3]
	s_mov_b32 s70, 0
	s_wait_alu 0xfffe
	s_lshl_b64 s[0:1], s[0:1], 2
	s_mov_b64 s[62:63], s[60:61]
	s_wait_alu 0xfffe
	v_add_co_u32 v13, vcc_lo, v4, s0
	s_wait_alu 0xfffd
	v_add_co_ci_u32_e64 v14, null, s1, v12, vcc_lo
	s_branch .LBB101_11
.LBB101_10:                             ;   in Loop: Header=BB101_11 Depth=3
	s_add_co_i32 s70, s70, 1
	s_add_nc_u64 s[62:63], s[62:63], s[34:35]
	s_cmp_eq_u32 s70, s10
	s_cbranch_scc1 .LBB101_7
.LBB101_11:                             ;   Parent Loop BB101_3 Depth=1
                                        ;     Parent Loop BB101_8 Depth=2
                                        ; =>    This Loop Header: Depth=3
                                        ;         Child Loop BB101_14 Depth 4
                                        ;           Child Loop BB101_17 Depth 5
	s_and_not1_b32 vcc_lo, exec_lo, s69
	s_wait_alu 0xfffe
	s_cbranch_vccnz .LBB101_10
; %bb.12:                               ;   in Loop: Header=BB101_11 Depth=3
	s_mul_i32 s0, s70, s13
	s_mov_b64 s[64:65], s[62:63]
	s_wait_alu 0xfffe
	s_sub_co_i32 s0, s0, s19
	s_wait_alu 0xfffe
	v_add_nc_u32_e32 v18, s0, v10
	s_delay_alu instid0(VALU_DEP_1) | instskip(SKIP_4) | instid1(VALU_DEP_1)
	v_mad_co_u64_u32 v[15:16], null, s40, v18, 0
	v_cmp_gt_i32_e32 vcc_lo, 0, v18
	v_cmp_le_i32_e64 s0, s4, v18
	s_or_b32 s71, vcc_lo, s0
	v_mad_co_u64_u32 v[16:17], null, s41, v18, v[16:17]
	v_lshlrev_b64_e32 v[15:16], 2, v[15:16]
	s_delay_alu instid0(VALU_DEP_1) | instskip(SKIP_1) | instid1(VALU_DEP_2)
	v_add_co_u32 v15, s1, v13, v15
	s_wait_alu 0xf1ff
	v_add_co_ci_u32_e64 v16, null, v14, v16, s1
	s_mov_b32 s1, 0
	s_branch .LBB101_14
.LBB101_13:                             ;   in Loop: Header=BB101_14 Depth=4
	s_add_co_i32 s1, s1, 1
	s_add_nc_u64 s[64:65], s[64:65], s[44:45]
	s_wait_alu 0xfffe
	s_cmp_eq_u32 s1, s11
	s_cbranch_scc1 .LBB101_10
.LBB101_14:                             ;   Parent Loop BB101_3 Depth=1
                                        ;     Parent Loop BB101_8 Depth=2
                                        ;       Parent Loop BB101_11 Depth=3
                                        ; =>      This Loop Header: Depth=4
                                        ;           Child Loop BB101_17 Depth 5
	s_and_not1_b32 vcc_lo, exec_lo, s73
	s_wait_alu 0xfffe
	s_cbranch_vccnz .LBB101_13
; %bb.15:                               ;   in Loop: Header=BB101_14 Depth=4
	s_mul_i32 s0, s1, s14
	s_mov_b64 s[66:67], s[64:65]
	s_wait_alu 0xfffe
	s_sub_co_i32 s0, s0, s28
	s_mov_b32 s90, s12
	s_wait_alu 0xfffe
	v_add_nc_u32_e32 v20, s0, v11
	s_delay_alu instid0(VALU_DEP_1) | instskip(NEXT) | instid1(VALU_DEP_1)
	v_mad_co_u64_u32 v[17:18], null, s38, v20, 0
	v_mad_co_u64_u32 v[18:19], null, s39, v20, v[18:19]
	v_mov_b32_e32 v19, v3
	v_cmp_gt_i32_e32 vcc_lo, 0, v20
	v_cmp_le_i32_e64 s0, s5, v20
	s_delay_alu instid0(VALU_DEP_4) | instskip(SKIP_3) | instid1(VALU_DEP_1)
	v_lshlrev_b64_e32 v[17:18], 2, v[17:18]
	s_or_b32 s0, vcc_lo, s0
	s_wait_alu 0xfffe
	s_or_b32 s89, s71, s0
	v_add_co_u32 v17, vcc_lo, v15, v17
	s_wait_alu 0xfffd
	v_add_co_ci_u32_e64 v18, null, v16, v18, vcc_lo
	s_branch .LBB101_17
.LBB101_16:                             ;   in Loop: Header=BB101_17 Depth=5
	s_wait_alu 0xfffe
	s_or_b32 exec_lo, exec_lo, s0
	v_add_nc_u32_e32 v19, s15, v19
	s_add_co_i32 s90, s90, -1
	s_add_nc_u64 s[66:67], s[66:67], s[56:57]
	s_wait_alu 0xfffe
	s_cmp_eq_u32 s90, 0
	s_cbranch_scc1 .LBB101_13
.LBB101_17:                             ;   Parent Loop BB101_3 Depth=1
                                        ;     Parent Loop BB101_8 Depth=2
                                        ;       Parent Loop BB101_11 Depth=3
                                        ;         Parent Loop BB101_14 Depth=4
                                        ; =>        This Inner Loop Header: Depth=5
	v_cmp_gt_i32_e32 vcc_lo, 0, v19
	v_cmp_le_i32_e64 s0, s6, v19
	s_or_b32 s0, vcc_lo, s0
	s_wait_alu 0xfffe
	s_nor_b32 s91, s89, s0
	s_wait_alu 0xfffe
	s_and_saveexec_b32 s0, s91
	s_cbranch_execz .LBB101_16
; %bb.18:                               ;   in Loop: Header=BB101_17 Depth=5
	v_mad_co_u64_u32 v[20:21], null, s36, v19, 0
	s_load_b32 s91, s[66:67], 0x0
	v_mad_co_u64_u32 v[21:22], null, s37, v19, v[21:22]
	s_delay_alu instid0(VALU_DEP_1) | instskip(SKIP_2) | instid1(VALU_DEP_2)
	v_lshlrev_b64_e32 v[20:21], 2, v[20:21]
	s_wait_kmcnt 0x0
	v_cvt_f64_f32_e32 v[22:23], s91
	v_add_co_u32 v20, vcc_lo, v17, v20
	s_wait_alu 0xfffd
	s_delay_alu instid0(VALU_DEP_3) | instskip(SKIP_3) | instid1(VALU_DEP_1)
	v_add_co_ci_u32_e64 v21, null, v18, v21, vcc_lo
	global_load_b32 v20, v[20:21], off
	s_wait_loadcnt 0x0
	v_cvt_f64_f32_e32 v[20:21], v20
	v_fma_f64 v[1:2], v[20:21], v[22:23], v[1:2]
	s_branch .LBB101_16
.LBB101_19:                             ;   in Loop: Header=BB101_3 Depth=1
	v_mul_lo_u32 v6, v6, s54
	v_mul_lo_u32 v10, v5, s55
	v_mad_co_u64_u32 v[3:4], null, v5, s54, 0
	v_ashrrev_i32_e32 v5, 31, v9
	v_mul_lo_u32 v12, s53, v9
	v_ashrrev_i32_e32 v11, 31, v8
	v_mul_lo_u32 v14, s51, v8
	v_mul_lo_u32 v16, s49, v7
	;; [unrolled: 1-line block ×3, first 2 shown]
	v_add3_u32 v4, v4, v10, v6
	v_mad_co_u64_u32 v[5:6], null, s52, v9, 0
	v_ashrrev_i32_e32 v10, 31, v7
	v_mul_lo_u32 v15, s50, v11
	v_mad_co_u64_u32 v[8:9], null, s50, v8, 0
	v_lshlrev_b64_e32 v[3:4], 2, v[3:4]
	s_delay_alu instid0(VALU_DEP_4) | instskip(SKIP_3) | instid1(VALU_DEP_3)
	v_mul_lo_u32 v17, s48, v10
	v_add3_u32 v6, v6, v13, v12
	v_mad_co_u64_u32 v[10:11], null, s48, v7, 0
	v_add3_u32 v9, v9, v15, v14
	v_lshlrev_b64_e32 v[5:6], 2, v[5:6]
	v_add_co_u32 v7, vcc_lo, s20, v3
	s_wait_alu 0xfffd
	v_add_co_ci_u32_e64 v12, null, s21, v4, vcc_lo
	v_add3_u32 v11, v11, v17, v16
	v_lshlrev_b64_e32 v[3:4], 2, v[8:9]
	v_add_co_u32 v7, vcc_lo, v7, v5
	s_wait_alu 0xfffd
	v_add_co_ci_u32_e64 v8, null, v12, v6, vcc_lo
	v_lshlrev_b64_e32 v[5:6], 2, v[10:11]
	s_delay_alu instid0(VALU_DEP_3) | instskip(SKIP_1) | instid1(VALU_DEP_3)
	v_add_co_u32 v3, vcc_lo, v7, v3
	s_wait_alu 0xfffd
	v_add_co_ci_u32_e64 v4, null, v8, v4, vcc_lo
	s_delay_alu instid0(VALU_DEP_2) | instskip(SKIP_1) | instid1(VALU_DEP_2)
	v_add_co_u32 v3, vcc_lo, v3, v5
	s_wait_alu 0xfffd
	v_add_co_ci_u32_e64 v4, null, v4, v6, vcc_lo
	s_and_not1_b32 vcc_lo, exec_lo, s81
	s_wait_alu 0xfffe
	s_cbranch_vccnz .LBB101_2
; %bb.20:                               ;   in Loop: Header=BB101_3 Depth=1
	global_load_b32 v5, v[3:4], off
	s_wait_loadcnt 0x0
	v_cvt_f64_f32_e32 v[5:6], v5
	s_delay_alu instid0(VALU_DEP_1) | instskip(NEXT) | instid1(VALU_DEP_1)
	v_mul_f64_e32 v[5:6], s[26:27], v[5:6]
	v_fma_f64 v[1:2], s[24:25], v[1:2], v[5:6]
	s_branch .LBB101_2
.LBB101_21:
	s_endpgm
	.section	.rodata,"a",@progbits
	.p2align	6, 0x0
	.amdhsa_kernel naive_conv_ab_nonpacked_wrw_ncdhw_float_double_float_0
		.amdhsa_group_segment_fixed_size 0
		.amdhsa_private_segment_fixed_size 0
		.amdhsa_kernarg_size 528
		.amdhsa_user_sgpr_count 2
		.amdhsa_user_sgpr_dispatch_ptr 0
		.amdhsa_user_sgpr_queue_ptr 0
		.amdhsa_user_sgpr_kernarg_segment_ptr 1
		.amdhsa_user_sgpr_dispatch_id 0
		.amdhsa_user_sgpr_private_segment_size 0
		.amdhsa_wavefront_size32 1
		.amdhsa_uses_dynamic_stack 0
		.amdhsa_enable_private_segment 0
		.amdhsa_system_sgpr_workgroup_id_x 1
		.amdhsa_system_sgpr_workgroup_id_y 0
		.amdhsa_system_sgpr_workgroup_id_z 0
		.amdhsa_system_sgpr_workgroup_info 0
		.amdhsa_system_vgpr_workitem_id 0
		.amdhsa_next_free_vgpr 24
		.amdhsa_next_free_sgpr 92
		.amdhsa_reserve_vcc 1
		.amdhsa_float_round_mode_32 0
		.amdhsa_float_round_mode_16_64 0
		.amdhsa_float_denorm_mode_32 3
		.amdhsa_float_denorm_mode_16_64 3
		.amdhsa_fp16_overflow 0
		.amdhsa_workgroup_processor_mode 1
		.amdhsa_memory_ordered 1
		.amdhsa_forward_progress 1
		.amdhsa_inst_pref_size 18
		.amdhsa_round_robin_scheduling 0
		.amdhsa_exception_fp_ieee_invalid_op 0
		.amdhsa_exception_fp_denorm_src 0
		.amdhsa_exception_fp_ieee_div_zero 0
		.amdhsa_exception_fp_ieee_overflow 0
		.amdhsa_exception_fp_ieee_underflow 0
		.amdhsa_exception_fp_ieee_inexact 0
		.amdhsa_exception_int_div_zero 0
	.end_amdhsa_kernel
	.text
.Lfunc_end101:
	.size	naive_conv_ab_nonpacked_wrw_ncdhw_float_double_float_0, .Lfunc_end101-naive_conv_ab_nonpacked_wrw_ncdhw_float_double_float_0
                                        ; -- End function
	.set naive_conv_ab_nonpacked_wrw_ncdhw_float_double_float_0.num_vgpr, 24
	.set naive_conv_ab_nonpacked_wrw_ncdhw_float_double_float_0.num_agpr, 0
	.set naive_conv_ab_nonpacked_wrw_ncdhw_float_double_float_0.numbered_sgpr, 92
	.set naive_conv_ab_nonpacked_wrw_ncdhw_float_double_float_0.num_named_barrier, 0
	.set naive_conv_ab_nonpacked_wrw_ncdhw_float_double_float_0.private_seg_size, 0
	.set naive_conv_ab_nonpacked_wrw_ncdhw_float_double_float_0.uses_vcc, 1
	.set naive_conv_ab_nonpacked_wrw_ncdhw_float_double_float_0.uses_flat_scratch, 0
	.set naive_conv_ab_nonpacked_wrw_ncdhw_float_double_float_0.has_dyn_sized_stack, 0
	.set naive_conv_ab_nonpacked_wrw_ncdhw_float_double_float_0.has_recursion, 0
	.set naive_conv_ab_nonpacked_wrw_ncdhw_float_double_float_0.has_indirect_call, 0
	.section	.AMDGPU.csdata,"",@progbits
; Kernel info:
; codeLenInByte = 2224
; TotalNumSgprs: 94
; NumVgprs: 24
; ScratchSize: 0
; MemoryBound: 0
; FloatMode: 240
; IeeeMode: 1
; LDSByteSize: 0 bytes/workgroup (compile time only)
; SGPRBlocks: 0
; VGPRBlocks: 2
; NumSGPRsForWavesPerEU: 94
; NumVGPRsForWavesPerEU: 24
; Occupancy: 16
; WaveLimiterHint : 0
; COMPUTE_PGM_RSRC2:SCRATCH_EN: 0
; COMPUTE_PGM_RSRC2:USER_SGPR: 2
; COMPUTE_PGM_RSRC2:TRAP_HANDLER: 0
; COMPUTE_PGM_RSRC2:TGID_X_EN: 1
; COMPUTE_PGM_RSRC2:TGID_Y_EN: 0
; COMPUTE_PGM_RSRC2:TGID_Z_EN: 0
; COMPUTE_PGM_RSRC2:TIDIG_COMP_CNT: 0
	.text
	.protected	naive_conv_ab_packed_wrw_ncdhw_float_double_float_1 ; -- Begin function naive_conv_ab_packed_wrw_ncdhw_float_double_float_1
	.globl	naive_conv_ab_packed_wrw_ncdhw_float_double_float_1
	.p2align	8
	.type	naive_conv_ab_packed_wrw_ncdhw_float_double_float_1,@function
naive_conv_ab_packed_wrw_ncdhw_float_double_float_1: ; @naive_conv_ab_packed_wrw_ncdhw_float_double_float_1
; %bb.0:
	s_clause 0x2
	s_load_b512 s[4:19], s[0:1], 0xb8
	s_load_b64 s[48:49], s[0:1], 0x108
	s_load_b128 s[28:31], s[0:1], 0xf8
	s_mov_b32 s3, exec_lo
	s_wait_kmcnt 0x0
	s_abs_i32 s35, s8
	s_delay_alu instid0(SALU_CYCLE_1) | instskip(SKIP_1) | instid1(SALU_CYCLE_1)
	s_cvt_f32_u32 s2, s35
	s_mul_i32 s55, s48, s31
	s_mul_i32 s54, s55, s30
	s_delay_alu instid0(SALU_CYCLE_1) | instskip(SKIP_1) | instid1(TRANS32_DEP_1)
	v_rcp_iflag_f32_e32 v1, s2
	s_mul_i32 s33, s54, s9
	v_readfirstlane_b32 s2, v1
	v_cmpx_gt_i32_e64 s33, v0
	s_cbranch_execz .LBB102_21
; %bb.1:
	s_mul_f32 s2, s2, 0x4f7ffffe
	s_sub_co_i32 s3, 0, s35
	s_load_b256 s[20:27], s[0:1], 0x0
	s_ashr_i32 s38, ttmp9, 31
	s_cvt_u32_f32 s34, s2
	s_abs_i32 s2, ttmp9
	s_ashr_i32 s41, s8, 31
	s_mov_b32 s42, s9
	s_mul_i32 s36, s3, s34
	s_mov_b32 s3, 0
	s_mul_hi_u32 s36, s34, s36
	s_wait_alu 0xfffe
	s_mov_b32 s37, s3
	s_add_co_i32 s36, s34, s36
	s_xor_b32 s44, s38, s41
	s_mul_u64 s[36:37], s[2:3], s[36:37]
	s_mov_b32 s34, s4
	s_mul_i32 s39, s37, s35
	s_mov_b32 s36, s5
	s_sub_co_i32 s2, s2, s39
	s_add_co_i32 s39, s37, 1
	s_wait_alu 0xfffe
	s_sub_co_i32 s40, s2, s35
	s_cmp_ge_u32 s2, s35
	s_mov_b32 s38, s6
	s_cselect_b32 s37, s39, s37
	s_cselect_b32 s2, s40, s2
	s_add_co_i32 s39, s37, 1
	s_wait_alu 0xfffe
	s_cmp_ge_u32 s2, s35
	s_mov_b32 s40, s8
	s_cselect_b32 s2, s39, s37
	s_ashr_i32 s35, s4, 31
	s_ashr_i32 s37, s5, 31
	s_wait_alu 0xfffe
	s_xor_b32 s2, s2, s44
	s_mul_u64 s[4:5], s[36:37], s[34:35]
	s_ashr_i32 s39, s6, 31
	s_wait_alu 0xfffe
	s_sub_co_i32 s44, s2, s44
	s_ashr_i32 s43, s9, 31
	s_mul_u64 s[4:5], s[4:5], s[38:39]
	s_mul_i32 s2, s44, s8
	s_ashr_i32 s45, s44, 31
	s_mul_u64 s[52:53], s[4:5], s[42:43]
	s_ashr_i32 s5, s30, 31
	s_mov_b32 s4, s30
	s_wait_alu 0xfffe
	s_sub_co_i32 s46, ttmp9, s2
	s_wait_kmcnt 0x0
	v_cmp_neq_f64_e64 s2, s[24:25], 1.0
	v_cmp_neq_f64_e64 s66, s[26:27], 0
	s_mul_u64 s[50:51], s[44:45], s[40:41]
	s_ashr_i32 s41, s31, 31
	s_mul_u64 s[56:57], s[4:5], s[42:43]
	s_mov_b32 s40, s31
	s_ashr_i32 s43, s48, 31
	s_mov_b32 s42, s48
	s_ashr_i32 s47, s46, 31
	s_mul_u64 s[56:57], s[56:57], s[40:41]
	s_add_nc_u64 s[50:51], s[50:51], s[46:47]
	s_mul_u64 s[46:47], s[56:57], s[42:43]
	s_mul_u64 s[44:45], s[52:53], s[44:45]
	;; [unrolled: 1-line block ×3, first 2 shown]
	s_lshl_b64 s[56:57], s[44:45], 2
	s_lshl_b64 s[62:63], s[46:47], 2
	s_ashr_i32 s45, s10, 31
	s_ashr_i32 s47, s11, 31
	;; [unrolled: 1-line block ×3, first 2 shown]
	s_cmp_lt_i32 s7, 1
	s_add_nc_u64 s[22:23], s[22:23], s[62:63]
	s_cselect_b32 s6, -1, 0
	s_cmp_gt_i32 s10, 0
	s_mul_i32 s63, s49, s9
	s_cselect_b32 s58, -1, 0
	s_cmp_gt_i32 s11, 0
	s_mov_b32 s46, s11
	s_cselect_b32 s59, -1, 0
	s_cmp_gt_i32 s12, 0
	s_add_nc_u64 s[20:21], s[20:21], s[56:57]
	s_cselect_b32 s60, -1, 0
	s_abs_i32 s61, s48
	s_abs_i32 s62, s31
	s_cvt_f32_u32 s44, s61
	s_abs_i32 s65, s55
	s_abs_i32 s67, s30
	;; [unrolled: 1-line block ×3, first 2 shown]
	v_rcp_iflag_f32_e32 v1, s44
	s_mov_b32 s44, s10
	s_cvt_f32_u32 s10, s62
	s_or_b32 s66, s2, s66
	s_cvt_f32_u32 s2, s65
	s_cvt_f32_u32 s11, s69
	v_rcp_iflag_f32_e32 v2, s10
	s_clause 0x1
	s_load_b64 s[56:57], s[0:1], 0x20
	s_load_b32 s31, s[0:1], 0x11c
	s_mul_i32 s0, s49, s8
	s_mov_b32 s52, s12
	v_readfirstlane_b32 s10, v1
	v_rcp_iflag_f32_e32 v1, s2
	s_ashr_i32 s1, s0, 31
	s_ashr_i32 s64, s63, 31
	;; [unrolled: 1-line block ×3, first 2 shown]
	s_mul_f32 s8, s10, 0x4f7ffffe
	v_readfirstlane_b32 s9, v2
	s_sub_co_i32 s10, 0, s61
	s_ashr_i32 s74, s54, 31
	s_cvt_u32_f32 s8, s8
	s_mul_f32 s2, s9, 0x4f7ffffe
	s_cvt_f32_u32 s9, s67
	v_readfirstlane_b32 s30, v1
	v_rcp_iflag_f32_e32 v1, s11
	s_wait_alu 0xfffe
	s_cvt_u32_f32 s2, s2
	v_rcp_iflag_f32_e32 v2, s9
	s_mul_i32 s10, s10, s8
	s_mul_f32 s11, s30, 0x4f7ffffe
	s_sub_co_i32 s9, 0, s62
	s_wait_alu 0xfffe
	s_mul_hi_u32 s10, s8, s10
	s_mul_i32 s9, s9, s2
	s_wait_alu 0xfffe
	s_add_co_i32 s70, s8, s10
	s_mul_hi_u32 s9, s2, s9
	v_readfirstlane_b32 s10, v1
	s_wait_alu 0xfffe
	s_add_co_i32 s71, s2, s9
	v_readfirstlane_b32 s30, v2
	s_cvt_u32_f32 s2, s11
	s_sub_co_i32 s9, 0, s65
	s_sub_co_i32 s11, 0, s67
	s_mul_f32 s10, s10, 0x4f7ffffe
	s_mul_f32 s8, s30, 0x4f7ffffe
	s_wait_alu 0xfffe
	s_mul_i32 s9, s9, s2
	s_wait_kmcnt 0x0
	s_and_b32 s68, s31, 0xffff
	s_wait_alu 0xfffe
	s_mul_hi_u32 s9, s2, s9
	s_cvt_u32_f32 s8, s8
	s_wait_alu 0xfffe
	s_add_co_i32 s73, s2, s9
	s_cvt_u32_f32 s48, s10
	s_mul_u64 s[30:31], s[52:53], s[46:47]
	s_mul_i32 s11, s11, s8
	v_mov_b32_e32 v2, 0
	s_wait_alu 0xfffe
	s_mul_hi_u32 s2, s8, s11
	s_wait_alu 0xfffe
	s_add_co_i32 s47, s8, s2
	s_sub_co_i32 s2, 0, s69
	s_mul_u64 s[8:9], s[30:31], s[44:45]
	s_wait_alu 0xfffe
	s_mul_i32 s2, s2, s48
	s_mul_u64 s[10:11], s[8:9], s[50:51]
	s_wait_alu 0xfffe
	s_mul_hi_u32 s2, s48, s2
	s_lshl_b64 s[10:11], s[10:11], 2
	s_mul_u64 s[0:1], s[8:9], s[0:1]
	s_wait_alu 0xfffe
	s_add_co_i32 s45, s48, s2
	s_add_nc_u64 s[8:9], s[56:57], s[10:11]
	s_lshl_b64 s[10:11], s[0:1], 2
	s_lshl_b64 s[30:31], s[30:31], 2
	;; [unrolled: 1-line block ×3, first 2 shown]
	s_sub_co_i32 s2, 0, s29
	s_branch .LBB102_3
.LBB102_2:                              ;   in Loop: Header=BB102_3 Depth=1
	s_delay_alu instid0(VALU_DEP_1) | instskip(SKIP_1) | instid1(VALU_DEP_1)
	v_cvt_f32_f64_e32 v1, v[3:4]
	v_add_nc_u32_e32 v0, s68, v0
	v_cmp_le_i32_e32 vcc_lo, s33, v0
	s_or_b32 s3, vcc_lo, s3
	global_store_b32 v[5:6], v1, off
	s_wait_alu 0xfffe
	s_and_not1_b32 exec_lo, exec_lo, s3
	s_cbranch_execz .LBB102_21
.LBB102_3:                              ; =>This Loop Header: Depth=1
                                        ;     Child Loop BB102_8 Depth 2
                                        ;       Child Loop BB102_11 Depth 3
                                        ;         Child Loop BB102_14 Depth 4
                                        ;           Child Loop BB102_17 Depth 5
	v_sub_nc_u32_e32 v1, 0, v0
	v_ashrrev_i32_e32 v8, 31, v0
	s_mov_b32 s29, -1
	s_delay_alu instid0(VALU_DEP_2) | instskip(NEXT) | instid1(VALU_DEP_2)
	v_max_i32_e32 v4, v0, v1
	v_xor_b32_e32 v11, s72, v8
	s_delay_alu instid0(VALU_DEP_2) | instskip(SKIP_1) | instid1(VALU_DEP_2)
	v_mul_hi_u32 v1, v4, s70
	v_mul_hi_u32 v3, v4, s73
	v_mul_lo_u32 v5, v1, s61
	v_add_nc_u32_e32 v7, 1, v1
	s_delay_alu instid0(VALU_DEP_3) | instskip(SKIP_1) | instid1(VALU_DEP_4)
	v_mul_lo_u32 v6, v3, s65
	v_add_nc_u32_e32 v9, 1, v3
	v_sub_nc_u32_e32 v5, v4, v5
	s_delay_alu instid0(VALU_DEP_3) | instskip(NEXT) | instid1(VALU_DEP_2)
	v_sub_nc_u32_e32 v6, v4, v6
	v_cmp_le_u32_e32 vcc_lo, s61, v5
	s_delay_alu instid0(VALU_DEP_2)
	v_subrev_nc_u32_e32 v10, s65, v6
	v_cmp_le_u32_e64 s0, s65, v6
	s_wait_alu 0xfffd
	v_cndmask_b32_e32 v1, v1, v7, vcc_lo
	v_subrev_nc_u32_e32 v7, s61, v5
	s_wait_alu 0xf1ff
	v_cndmask_b32_e64 v3, v3, v9, s0
	v_cndmask_b32_e64 v6, v6, v10, s0
	v_xor_b32_e32 v9, s43, v8
	v_cndmask_b32_e32 v5, v5, v7, vcc_lo
	v_xor_b32_e32 v8, s74, v8
	s_delay_alu instid0(VALU_DEP_2) | instskip(SKIP_2) | instid1(VALU_DEP_1)
	v_cmp_le_u32_e32 vcc_lo, s61, v5
	s_wait_alu 0xfffe
	v_mul_hi_u32 v5, v4, s45
	v_add_nc_u32_e32 v12, 1, v5
	v_add_nc_u32_e32 v7, 1, v1
	;; [unrolled: 1-line block ×3, first 2 shown]
	s_wait_alu 0xfffd
	s_delay_alu instid0(VALU_DEP_2) | instskip(SKIP_1) | instid1(VALU_DEP_2)
	v_cndmask_b32_e32 v1, v1, v7, vcc_lo
	v_cmp_le_u32_e32 vcc_lo, s65, v6
	v_xor_b32_e32 v1, v1, v9
	s_wait_alu 0xfffd
	v_cndmask_b32_e32 v3, v3, v10, vcc_lo
	s_delay_alu instid0(VALU_DEP_2) | instskip(NEXT) | instid1(VALU_DEP_2)
	v_sub_nc_u32_e32 v1, v1, v9
	v_xor_b32_e32 v3, v3, v11
	v_mul_lo_u32 v9, v5, s69
	s_delay_alu instid0(VALU_DEP_3) | instskip(NEXT) | instid1(VALU_DEP_3)
	v_sub_nc_u32_e32 v6, 0, v1
	v_sub_nc_u32_e32 v3, v3, v11
	s_delay_alu instid0(VALU_DEP_2) | instskip(NEXT) | instid1(VALU_DEP_2)
	v_max_i32_e32 v6, v1, v6
	v_sub_nc_u32_e32 v7, 0, v3
	v_sub_nc_u32_e32 v4, v4, v9
	s_delay_alu instid0(VALU_DEP_3) | instskip(NEXT) | instid1(VALU_DEP_3)
	v_mul_hi_u32 v10, v6, s71
	v_max_i32_e32 v7, v3, v7
	s_delay_alu instid0(VALU_DEP_3) | instskip(NEXT) | instid1(VALU_DEP_2)
	v_cmp_le_u32_e32 vcc_lo, s69, v4
	v_mul_hi_u32 v11, v7, s47
	s_wait_alu 0xfffd
	v_cndmask_b32_e32 v5, v5, v12, vcc_lo
	v_mul_lo_u32 v9, v10, s62
	s_delay_alu instid0(VALU_DEP_3) | instskip(SKIP_1) | instid1(VALU_DEP_3)
	v_mul_lo_u32 v10, v11, s67
	v_subrev_nc_u32_e32 v11, s69, v4
	v_sub_nc_u32_e32 v6, v6, v9
	s_delay_alu instid0(VALU_DEP_2) | instskip(NEXT) | instid1(VALU_DEP_4)
	v_dual_cndmask_b32 v4, v4, v11 :: v_dual_add_nc_u32 v9, 1, v5
	v_sub_nc_u32_e32 v7, v7, v10
	s_delay_alu instid0(VALU_DEP_3) | instskip(NEXT) | instid1(VALU_DEP_3)
	v_subrev_nc_u32_e32 v10, s62, v6
	v_cmp_le_u32_e32 vcc_lo, s69, v4
	s_delay_alu instid0(VALU_DEP_3) | instskip(SKIP_3) | instid1(VALU_DEP_2)
	v_subrev_nc_u32_e32 v11, s67, v7
	s_wait_alu 0xfffd
	v_cndmask_b32_e32 v5, v5, v9, vcc_lo
	v_cmp_le_u32_e32 vcc_lo, s62, v6
	v_xor_b32_e32 v5, v5, v8
	s_wait_alu 0xfffd
	v_cndmask_b32_e32 v4, v6, v10, vcc_lo
	v_cmp_le_u32_e32 vcc_lo, s67, v7
	s_delay_alu instid0(VALU_DEP_3) | instskip(NEXT) | instid1(VALU_DEP_3)
	v_sub_nc_u32_e32 v5, v5, v8
	v_cmp_le_u32_e64 s0, s62, v4
	s_wait_alu 0xfffd
	v_cndmask_b32_e32 v7, v7, v11, vcc_lo
	s_and_not1_b32 vcc_lo, exec_lo, s6
	s_delay_alu instid0(VALU_DEP_1)
	v_cmp_le_u32_e64 s1, s67, v7
	s_wait_alu 0xfffe
	s_cbranch_vccnz .LBB102_5
; %bb.4:                                ;   in Loop: Header=BB102_3 Depth=1
	v_ashrrev_i32_e32 v6, 31, v5
	s_mov_b32 s29, 0
.LBB102_5:                              ;   in Loop: Header=BB102_3 Depth=1
	v_subrev_nc_u32_e32 v8, s62, v4
	v_subrev_nc_u32_e32 v9, s67, v7
	v_ashrrev_i32_e32 v10, 31, v1
	v_ashrrev_i32_e32 v11, 31, v3
	v_mul_lo_u32 v1, v1, s42
	s_wait_alu 0xf1ff
	v_cndmask_b32_e64 v3, v4, v8, s0
	v_cndmask_b32_e64 v4, v7, v9, s1
	s_and_not1_b32 vcc_lo, exec_lo, s29
	s_delay_alu instid0(VALU_DEP_2) | instskip(NEXT) | instid1(VALU_DEP_2)
	v_xor_b32_e32 v8, v3, v10
	v_xor_b32_e32 v9, v4, v11
	v_mov_b32_e32 v3, 0
	v_mov_b32_e32 v4, 0
	v_sub_nc_u32_e32 v7, v0, v1
	v_sub_nc_u32_e32 v8, v8, v10
	v_sub_nc_u32_e32 v9, v9, v11
	s_wait_alu 0xfffe
	s_cbranch_vccnz .LBB102_19
; %bb.6:                                ;   in Loop: Header=BB102_3 Depth=1
	s_delay_alu instid0(VALU_DEP_1)
	v_mul_lo_u32 v15, v9, s16
	v_mul_lo_u32 v16, v8, s17
	v_mad_co_u64_u32 v[10:11], null, v7, s18, s[2:3]
	v_mov_b32_e32 v3, 0
	v_mov_b32_e32 v4, 0
	v_ashrrev_i32_e32 v6, 31, v5
	s_mov_b32 s1, 0
	s_mov_b64 s[50:51], s[8:9]
	s_branch .LBB102_8
.LBB102_7:                              ;   in Loop: Header=BB102_8 Depth=2
	s_add_co_i32 s1, s1, 1
	s_add_nc_u64 s[50:51], s[50:51], s[10:11]
	s_wait_alu 0xfffe
	s_cmp_eq_u32 s1, s7
	s_cbranch_scc1 .LBB102_19
.LBB102_8:                              ;   Parent Loop BB102_3 Depth=1
                                        ; =>  This Loop Header: Depth=2
                                        ;       Child Loop BB102_11 Depth 3
                                        ;         Child Loop BB102_14 Depth 4
                                        ;           Child Loop BB102_17 Depth 5
	s_and_not1_b32 vcc_lo, exec_lo, s58
	s_wait_alu 0xfffe
	s_cbranch_vccnz .LBB102_7
; %bb.9:                                ;   in Loop: Header=BB102_8 Depth=2
	v_mad_co_u64_u32 v[11:12], null, s1, s63, v[5:6]
	s_mov_b32 s29, 0
	s_mov_b64 s[52:53], s[50:51]
	v_mov_b32_e32 v1, v12
	s_delay_alu instid0(VALU_DEP_1) | instskip(SKIP_1) | instid1(VALU_DEP_2)
	v_mad_co_u64_u32 v[12:13], null, s1, s64, v[1:2]
	v_mul_lo_u32 v1, v11, s35
	v_mul_lo_u32 v13, v12, s34
	v_mad_co_u64_u32 v[11:12], null, v11, s34, 0
	s_delay_alu instid0(VALU_DEP_1)
	v_add3_u32 v12, v12, v1, v13
	s_branch .LBB102_11
.LBB102_10:                             ;   in Loop: Header=BB102_11 Depth=3
	s_add_co_i32 s29, s29, 1
	s_add_nc_u64 s[52:53], s[52:53], s[30:31]
	s_cmp_eq_u32 s29, s44
	s_cbranch_scc1 .LBB102_7
.LBB102_11:                             ;   Parent Loop BB102_3 Depth=1
                                        ;     Parent Loop BB102_8 Depth=2
                                        ; =>    This Loop Header: Depth=3
                                        ;         Child Loop BB102_14 Depth 4
                                        ;           Child Loop BB102_17 Depth 5
	s_and_not1_b32 vcc_lo, exec_lo, s59
	s_wait_alu 0xfffe
	s_cbranch_vccnz .LBB102_10
; %bb.12:                               ;   in Loop: Header=BB102_11 Depth=3
	s_mul_i32 s0, s29, s13
	s_mov_b32 s75, 0
	s_wait_alu 0xfffe
	s_sub_co_i32 s0, s0, s19
	s_mov_b64 s[54:55], s[52:53]
	s_wait_alu 0xfffe
	v_add_nc_u32_e32 v1, s0, v15
	s_delay_alu instid0(VALU_DEP_1) | instskip(SKIP_3) | instid1(VALU_DEP_3)
	v_add_co_u32 v13, vcc_lo, v11, v1
	s_wait_alu 0xfffd
	v_add_co_ci_u32_e64 v14, null, 0, v12, vcc_lo
	v_cmp_gt_i32_e32 vcc_lo, 0, v1
	v_mul_lo_u32 v18, v13, s37
	v_cmp_le_i32_e64 s0, s34, v1
	s_delay_alu instid0(VALU_DEP_4)
	v_mul_lo_u32 v17, v14, s36
	v_mad_co_u64_u32 v[13:14], null, v13, s36, 0
	s_or_b32 s76, vcc_lo, s0
	v_add3_u32 v14, v14, v18, v17
	s_branch .LBB102_14
.LBB102_13:                             ;   in Loop: Header=BB102_14 Depth=4
	s_add_co_i32 s75, s75, 1
	s_add_nc_u64 s[54:55], s[54:55], s[48:49]
	s_wait_alu 0xfffe
	s_cmp_eq_u32 s75, s46
	s_cbranch_scc1 .LBB102_10
.LBB102_14:                             ;   Parent Loop BB102_3 Depth=1
                                        ;     Parent Loop BB102_8 Depth=2
                                        ;       Parent Loop BB102_11 Depth=3
                                        ; =>      This Loop Header: Depth=4
                                        ;           Child Loop BB102_17 Depth 5
	s_and_not1_b32 vcc_lo, exec_lo, s60
	s_wait_alu 0xfffe
	s_cbranch_vccnz .LBB102_13
; %bb.15:                               ;   in Loop: Header=BB102_14 Depth=4
	s_mul_i32 s0, s75, s14
	s_mov_b64 s[56:57], s[54:55]
	s_wait_alu 0xfffe
	s_sub_co_i32 s0, s0, s28
	s_mov_b32 s78, s12
	s_wait_alu 0xfffe
	v_add_nc_u32_e32 v1, s0, v16
	s_delay_alu instid0(VALU_DEP_1) | instskip(SKIP_3) | instid1(VALU_DEP_3)
	v_add_co_u32 v17, vcc_lo, v13, v1
	s_wait_alu 0xfffd
	v_add_co_ci_u32_e64 v18, null, 0, v14, vcc_lo
	v_cmp_gt_i32_e32 vcc_lo, 0, v1
	v_mul_lo_u32 v20, v17, s39
	v_cmp_le_i32_e64 s0, s36, v1
	s_delay_alu instid0(VALU_DEP_4) | instskip(SKIP_2) | instid1(VALU_DEP_4)
	v_mul_lo_u32 v19, v18, s38
	v_mad_co_u64_u32 v[17:18], null, v17, s38, 0
	v_mov_b32_e32 v1, v10
	s_or_b32 s0, vcc_lo, s0
	s_wait_alu 0xfffe
	s_or_b32 s77, s76, s0
	s_delay_alu instid0(VALU_DEP_2) | instskip(NEXT) | instid1(VALU_DEP_1)
	v_add3_u32 v18, v18, v20, v19
	v_lshlrev_b64_e32 v[17:18], 2, v[17:18]
	s_delay_alu instid0(VALU_DEP_1) | instskip(SKIP_1) | instid1(VALU_DEP_2)
	v_add_co_u32 v17, vcc_lo, s20, v17
	s_wait_alu 0xfffd
	v_add_co_ci_u32_e64 v18, null, s21, v18, vcc_lo
	s_branch .LBB102_17
.LBB102_16:                             ;   in Loop: Header=BB102_17 Depth=5
	s_wait_alu 0xfffe
	s_or_b32 exec_lo, exec_lo, s0
	v_add_nc_u32_e32 v1, s15, v1
	s_add_co_i32 s78, s78, -1
	s_add_nc_u64 s[56:57], s[56:57], 4
	s_wait_alu 0xfffe
	s_cmp_eq_u32 s78, 0
	s_cbranch_scc1 .LBB102_13
.LBB102_17:                             ;   Parent Loop BB102_3 Depth=1
                                        ;     Parent Loop BB102_8 Depth=2
                                        ;       Parent Loop BB102_11 Depth=3
                                        ;         Parent Loop BB102_14 Depth=4
                                        ; =>        This Inner Loop Header: Depth=5
	v_cmp_gt_i32_e32 vcc_lo, 0, v1
	v_cmp_le_i32_e64 s0, s38, v1
	s_or_b32 s0, vcc_lo, s0
	s_wait_alu 0xfffe
	s_nor_b32 s79, s77, s0
	s_wait_alu 0xfffe
	s_and_saveexec_b32 s0, s79
	s_cbranch_execz .LBB102_16
; %bb.18:                               ;   in Loop: Header=BB102_17 Depth=5
	v_lshlrev_b64_e32 v[19:20], 2, v[1:2]
	s_load_b32 s79, s[56:57], 0x0
	s_delay_alu instid0(VALU_DEP_1) | instskip(SKIP_1) | instid1(VALU_DEP_2)
	v_add_co_u32 v19, vcc_lo, v17, v19
	s_wait_alu 0xfffd
	v_add_co_ci_u32_e64 v20, null, v18, v20, vcc_lo
	global_load_b32 v19, v[19:20], off
	s_wait_kmcnt 0x0
	s_and_b32 s79, s79, 0xffffe000
	s_wait_alu 0xfffe
	v_cvt_f64_f32_e32 v[21:22], s79
	s_wait_loadcnt 0x0
	v_and_b32_e32 v19, 0xffffe000, v19
	s_delay_alu instid0(VALU_DEP_1) | instskip(NEXT) | instid1(VALU_DEP_1)
	v_cvt_f64_f32_e32 v[19:20], v19
	v_fma_f64 v[3:4], v[19:20], v[21:22], v[3:4]
	s_branch .LBB102_16
.LBB102_19:                             ;   in Loop: Header=BB102_3 Depth=1
	s_delay_alu instid0(VALU_DEP_1) | instskip(SKIP_2) | instid1(VALU_DEP_3)
	v_ashrrev_i32_e32 v10, 31, v9
	v_mul_lo_u32 v1, v5, s5
	v_mul_lo_u32 v11, v6, s4
	v_mad_co_u64_u32 v[5:6], null, v5, s4, v[9:10]
	v_ashrrev_i32_e32 v9, 31, v8
	s_delay_alu instid0(VALU_DEP_2) | instskip(NEXT) | instid1(VALU_DEP_2)
	v_add3_u32 v1, v11, v6, v1
	v_mad_co_u64_u32 v[8:9], null, v5, s40, v[8:9]
	v_mul_lo_u32 v5, v5, s41
	s_delay_alu instid0(VALU_DEP_3) | instskip(NEXT) | instid1(VALU_DEP_1)
	v_mul_lo_u32 v1, v1, s40
	v_add3_u32 v1, v1, v9, v5
	s_delay_alu instid0(VALU_DEP_4) | instskip(SKIP_2) | instid1(VALU_DEP_4)
	v_mul_lo_u32 v9, v8, s43
	v_mad_co_u64_u32 v[5:6], null, v8, s42, 0
	v_ashrrev_i32_e32 v8, 31, v7
	v_mul_lo_u32 v1, v1, s42
	s_delay_alu instid0(VALU_DEP_2) | instskip(NEXT) | instid1(VALU_DEP_2)
	v_lshlrev_b64_e32 v[7:8], 2, v[7:8]
	v_add3_u32 v6, v6, v9, v1
	s_delay_alu instid0(VALU_DEP_1) | instskip(NEXT) | instid1(VALU_DEP_1)
	v_lshlrev_b64_e32 v[5:6], 2, v[5:6]
	v_add_co_u32 v1, vcc_lo, s22, v5
	s_wait_alu 0xfffd
	s_delay_alu instid0(VALU_DEP_2) | instskip(NEXT) | instid1(VALU_DEP_2)
	v_add_co_ci_u32_e64 v6, null, s23, v6, vcc_lo
	v_add_co_u32 v5, vcc_lo, v1, v7
	s_wait_alu 0xfffd
	s_delay_alu instid0(VALU_DEP_2)
	v_add_co_ci_u32_e64 v6, null, v6, v8, vcc_lo
	s_and_not1_b32 vcc_lo, exec_lo, s66
	s_wait_alu 0xfffe
	s_cbranch_vccnz .LBB102_2
; %bb.20:                               ;   in Loop: Header=BB102_3 Depth=1
	global_load_b32 v1, v[5:6], off
	s_wait_loadcnt 0x0
	v_cvt_f64_f32_e32 v[7:8], v1
	s_delay_alu instid0(VALU_DEP_1) | instskip(NEXT) | instid1(VALU_DEP_1)
	v_mul_f64_e32 v[7:8], s[26:27], v[7:8]
	v_fma_f64 v[3:4], s[24:25], v[3:4], v[7:8]
	s_branch .LBB102_2
.LBB102_21:
	s_endpgm
	.section	.rodata,"a",@progbits
	.p2align	6, 0x0
	.amdhsa_kernel naive_conv_ab_packed_wrw_ncdhw_float_double_float_1
		.amdhsa_group_segment_fixed_size 0
		.amdhsa_private_segment_fixed_size 0
		.amdhsa_kernarg_size 528
		.amdhsa_user_sgpr_count 2
		.amdhsa_user_sgpr_dispatch_ptr 0
		.amdhsa_user_sgpr_queue_ptr 0
		.amdhsa_user_sgpr_kernarg_segment_ptr 1
		.amdhsa_user_sgpr_dispatch_id 0
		.amdhsa_user_sgpr_private_segment_size 0
		.amdhsa_wavefront_size32 1
		.amdhsa_uses_dynamic_stack 0
		.amdhsa_enable_private_segment 0
		.amdhsa_system_sgpr_workgroup_id_x 1
		.amdhsa_system_sgpr_workgroup_id_y 0
		.amdhsa_system_sgpr_workgroup_id_z 0
		.amdhsa_system_sgpr_workgroup_info 0
		.amdhsa_system_vgpr_workitem_id 0
		.amdhsa_next_free_vgpr 23
		.amdhsa_next_free_sgpr 80
		.amdhsa_reserve_vcc 1
		.amdhsa_float_round_mode_32 0
		.amdhsa_float_round_mode_16_64 0
		.amdhsa_float_denorm_mode_32 3
		.amdhsa_float_denorm_mode_16_64 3
		.amdhsa_fp16_overflow 0
		.amdhsa_workgroup_processor_mode 1
		.amdhsa_memory_ordered 1
		.amdhsa_forward_progress 1
		.amdhsa_inst_pref_size 18
		.amdhsa_round_robin_scheduling 0
		.amdhsa_exception_fp_ieee_invalid_op 0
		.amdhsa_exception_fp_denorm_src 0
		.amdhsa_exception_fp_ieee_div_zero 0
		.amdhsa_exception_fp_ieee_overflow 0
		.amdhsa_exception_fp_ieee_underflow 0
		.amdhsa_exception_fp_ieee_inexact 0
		.amdhsa_exception_int_div_zero 0
	.end_amdhsa_kernel
	.text
.Lfunc_end102:
	.size	naive_conv_ab_packed_wrw_ncdhw_float_double_float_1, .Lfunc_end102-naive_conv_ab_packed_wrw_ncdhw_float_double_float_1
                                        ; -- End function
	.set naive_conv_ab_packed_wrw_ncdhw_float_double_float_1.num_vgpr, 23
	.set naive_conv_ab_packed_wrw_ncdhw_float_double_float_1.num_agpr, 0
	.set naive_conv_ab_packed_wrw_ncdhw_float_double_float_1.numbered_sgpr, 80
	.set naive_conv_ab_packed_wrw_ncdhw_float_double_float_1.num_named_barrier, 0
	.set naive_conv_ab_packed_wrw_ncdhw_float_double_float_1.private_seg_size, 0
	.set naive_conv_ab_packed_wrw_ncdhw_float_double_float_1.uses_vcc, 1
	.set naive_conv_ab_packed_wrw_ncdhw_float_double_float_1.uses_flat_scratch, 0
	.set naive_conv_ab_packed_wrw_ncdhw_float_double_float_1.has_dyn_sized_stack, 0
	.set naive_conv_ab_packed_wrw_ncdhw_float_double_float_1.has_recursion, 0
	.set naive_conv_ab_packed_wrw_ncdhw_float_double_float_1.has_indirect_call, 0
	.section	.AMDGPU.csdata,"",@progbits
; Kernel info:
; codeLenInByte = 2268
; TotalNumSgprs: 82
; NumVgprs: 23
; ScratchSize: 0
; MemoryBound: 0
; FloatMode: 240
; IeeeMode: 1
; LDSByteSize: 0 bytes/workgroup (compile time only)
; SGPRBlocks: 0
; VGPRBlocks: 2
; NumSGPRsForWavesPerEU: 82
; NumVGPRsForWavesPerEU: 23
; Occupancy: 16
; WaveLimiterHint : 0
; COMPUTE_PGM_RSRC2:SCRATCH_EN: 0
; COMPUTE_PGM_RSRC2:USER_SGPR: 2
; COMPUTE_PGM_RSRC2:TRAP_HANDLER: 0
; COMPUTE_PGM_RSRC2:TGID_X_EN: 1
; COMPUTE_PGM_RSRC2:TGID_Y_EN: 0
; COMPUTE_PGM_RSRC2:TGID_Z_EN: 0
; COMPUTE_PGM_RSRC2:TIDIG_COMP_CNT: 0
	.text
	.protected	naive_conv_ab_nonpacked_wrw_ncdhw_float_double_float_1 ; -- Begin function naive_conv_ab_nonpacked_wrw_ncdhw_float_double_float_1
	.globl	naive_conv_ab_nonpacked_wrw_ncdhw_float_double_float_1
	.p2align	8
	.type	naive_conv_ab_nonpacked_wrw_ncdhw_float_double_float_1,@function
naive_conv_ab_nonpacked_wrw_ncdhw_float_double_float_1: ; @naive_conv_ab_nonpacked_wrw_ncdhw_float_double_float_1
; %bb.0:
	s_clause 0x2
	s_load_b512 s[4:19], s[0:1], 0xb8
	s_load_b32 s33, s[0:1], 0x108
	s_load_b128 s[28:31], s[0:1], 0xf8
	s_mov_b32 s3, exec_lo
	s_wait_kmcnt 0x0
	s_abs_i32 s73, s8
	s_delay_alu instid0(SALU_CYCLE_1) | instskip(SKIP_1) | instid1(SALU_CYCLE_1)
	s_cvt_f32_u32 s2, s73
	s_mul_i32 s35, s33, s31
	s_mul_i32 s34, s35, s30
	s_delay_alu instid0(SALU_CYCLE_1) | instskip(SKIP_1) | instid1(TRANS32_DEP_1)
	v_rcp_iflag_f32_e32 v1, s2
	s_mul_i32 s72, s34, s9
	v_readfirstlane_b32 s2, v1
	v_cmpx_gt_i32_e64 s72, v0
	s_cbranch_execz .LBB103_21
; %bb.1:
	s_mul_f32 s2, s2, 0x4f7ffffe
	s_sub_co_i32 s3, 0, s73
	s_load_b256 s[20:27], s[0:1], 0x0
	s_delay_alu instid0(SALU_CYCLE_1) | instskip(SKIP_1) | instid1(SALU_CYCLE_2)
	s_cvt_u32_f32 s9, s2
	s_abs_i32 s2, ttmp9
	s_mul_i32 s36, s3, s9
	s_mov_b32 s3, 0
	s_mul_hi_u32 s36, s9, s36
	s_wait_alu 0xfffe
	s_mov_b32 s37, s3
	s_add_co_i32 s36, s9, s36
	s_ashr_i32 s9, ttmp9, 31
	s_mul_u64 s[74:75], s[2:3], s[36:37]
	s_ashr_i32 s74, s8, 31
	s_mul_i32 s76, s75, s73
	s_clause 0x2
	s_load_b512 s[36:51], s[0:1], 0x28
	s_load_b512 s[52:67], s[0:1], 0x68
	s_load_b128 s[68:71], s[0:1], 0xa8
	s_sub_co_i32 s2, s2, s76
	s_xor_b32 s9, s9, s74
	s_add_co_i32 s74, s75, 1
	s_wait_alu 0xfffe
	s_sub_co_i32 s76, s2, s73
	s_cmp_ge_u32 s2, s73
	s_load_b32 s80, s[0:1], 0x11c
	s_cselect_b32 s74, s74, s75
	s_cselect_b32 s2, s76, s2
	s_add_co_i32 s75, s74, 1
	s_wait_alu 0xfffe
	s_cmp_ge_u32 s2, s73
	s_load_b64 s[76:77], s[0:1], 0x20
	s_cselect_b32 s2, s75, s74
	s_wait_alu 0xfffe
	s_xor_b32 s2, s2, s9
	s_wait_alu 0xfffe
	s_sub_co_i32 s0, s2, s9
	s_wait_kmcnt 0x0
	v_cmp_neq_f64_e64 s2, s[24:25], 1.0
	s_mul_i32 s8, s0, s8
	s_ashr_i32 s1, s0, 31
	s_sub_co_i32 s8, ttmp9, s8
	s_mul_u64 s[44:45], s[44:45], s[0:1]
	s_ashr_i32 s9, s8, 31
	s_mul_u64 s[58:59], s[58:59], s[0:1]
	s_mul_u64 s[0:1], s[68:69], s[0:1]
	;; [unrolled: 1-line block ×4, first 2 shown]
	s_lshl_b64 s[44:45], s[44:45], 2
	s_lshl_b64 s[78:79], s[58:59], 2
	;; [unrolled: 1-line block ×5, first 2 shown]
	v_cmp_neq_f64_e64 s58, s[26:27], 0
	s_cmp_lt_i32 s7, 1
	s_add_nc_u64 s[0:1], s[76:77], s[0:1]
	s_cselect_b32 s59, -1, 0
	s_cmp_gt_i32 s10, 0
	s_add_nc_u64 s[8:9], s[20:21], s[44:45]
	s_cselect_b32 s68, -1, 0
	s_cmp_gt_i32 s11, 0
	;; [unrolled: 3-line block ×3, first 2 shown]
	s_add_nc_u64 s[22:23], s[0:1], s[66:67]
	s_cselect_b32 s73, -1, 0
	s_abs_i32 s74, s33
	s_abs_i32 s77, s35
	s_cvt_f32_u32 s75, s74
	s_cvt_f32_u32 s0, s77
	s_abs_i32 s79, s30
	s_and_b32 s76, s80, 0xffff
	v_rcp_iflag_f32_e32 v1, s75
	s_abs_i32 s75, s31
	s_abs_i32 s80, s34
	s_wait_alu 0xfffe
	s_cvt_f32_u32 s31, s75
	s_cvt_f32_u32 s44, s80
	s_sub_co_i32 s30, 0, s74
	s_add_nc_u64 s[20:21], s[20:21], s[56:57]
	v_rcp_iflag_f32_e32 v2, s31
	s_ashr_i32 s78, s33, 31
	s_ashr_i32 s84, s35, 31
	v_readfirstlane_b32 s1, v1
	v_rcp_iflag_f32_e32 v1, s0
	s_ashr_i32 s87, s34, 31
	s_lshl_b64 s[34:35], s[64:65], 2
	s_lshl_b64 s[56:57], s[60:61], 2
	s_mul_f32 s0, s1, 0x4f7ffffe
	s_cvt_f32_u32 s1, s79
	v_readfirstlane_b32 s31, v2
	s_wait_alu 0xfffe
	s_cvt_u32_f32 s0, s0
	v_rcp_iflag_f32_e32 v2, s1
	s_or_b32 s81, s2, s58
	s_mul_f32 s1, s31, 0x4f7ffffe
	v_readfirstlane_b32 s2, v1
	v_rcp_iflag_f32_e32 v1, s44
	s_wait_alu 0xfffe
	s_mul_i32 s30, s30, s0
	s_cvt_u32_f32 s1, s1
	s_sub_co_i32 s31, 0, s75
	s_wait_alu 0xfffe
	s_mul_hi_u32 s30, s0, s30
	s_mul_f32 s2, s2, 0x4f7ffffe
	s_mul_i32 s31, s31, s1
	s_wait_alu 0xfffe
	s_add_co_i32 s82, s0, s30
	s_mul_hi_u32 s0, s1, s31
	v_readfirstlane_b32 s30, v2
	s_wait_alu 0xfffe
	s_add_co_i32 s83, s1, s0
	v_readfirstlane_b32 s1, v1
	s_cvt_u32_f32 s2, s2
	s_sub_co_i32 s0, 0, s77
	s_mul_f32 s30, s30, 0x4f7ffffe
	s_lshl_b64 s[44:45], s[62:63], 2
	s_wait_alu 0xfffe
	s_mul_i32 s0, s0, s2
	s_mul_f32 s1, s1, 0x4f7ffffe
	s_wait_alu 0xfffe
	s_mul_hi_u32 s0, s2, s0
	s_cvt_u32_f32 s30, s30
	s_wait_alu 0xfffe
	s_add_co_i32 s85, s2, s0
	s_sub_co_i32 s0, 0, s79
	s_cvt_u32_f32 s1, s1
	s_wait_alu 0xfffe
	s_mul_i32 s0, s0, s30
	s_sub_co_i32 s2, 0, s80
	s_wait_alu 0xfffe
	s_mul_hi_u32 s0, s30, s0
	s_mul_i32 s2, s2, s1
	s_wait_alu 0xfffe
	s_add_co_i32 s86, s30, s0
	s_mul_hi_u32 s0, s1, s2
	s_lshl_b64 s[30:31], s[70:71], 2
	s_wait_alu 0xfffe
	s_add_co_i32 s88, s1, s0
	s_sub_co_i32 s58, 0, s29
	s_mov_b32 s29, 0
	s_branch .LBB103_3
.LBB103_2:                              ;   in Loop: Header=BB103_3 Depth=1
	s_delay_alu instid0(VALU_DEP_1) | instskip(SKIP_1) | instid1(VALU_DEP_1)
	v_cvt_f32_f64_e32 v1, v[1:2]
	v_add_nc_u32_e32 v0, s76, v0
	v_cmp_le_i32_e32 vcc_lo, s72, v0
	s_or_b32 s29, vcc_lo, s29
	global_store_b32 v[3:4], v1, off
	s_and_not1_b32 exec_lo, exec_lo, s29
	s_cbranch_execz .LBB103_21
.LBB103_3:                              ; =>This Loop Header: Depth=1
                                        ;     Child Loop BB103_8 Depth 2
                                        ;       Child Loop BB103_11 Depth 3
                                        ;         Child Loop BB103_14 Depth 4
                                        ;           Child Loop BB103_17 Depth 5
	v_sub_nc_u32_e32 v1, 0, v0
	v_ashrrev_i32_e32 v7, 31, v0
	s_mov_b32 s2, -1
	s_delay_alu instid0(VALU_DEP_2) | instskip(NEXT) | instid1(VALU_DEP_2)
	v_max_i32_e32 v3, v0, v1
	v_xor_b32_e32 v10, s84, v7
	s_delay_alu instid0(VALU_DEP_2) | instskip(SKIP_1) | instid1(VALU_DEP_2)
	v_mul_hi_u32 v2, v3, s85
	v_mul_hi_u32 v1, v3, s82
	v_mul_lo_u32 v5, v2, s77
	s_delay_alu instid0(VALU_DEP_2) | instskip(SKIP_2) | instid1(VALU_DEP_4)
	v_mul_lo_u32 v4, v1, s74
	v_add_nc_u32_e32 v8, 1, v2
	v_add_nc_u32_e32 v6, 1, v1
	v_sub_nc_u32_e32 v5, v3, v5
	s_delay_alu instid0(VALU_DEP_4) | instskip(NEXT) | instid1(VALU_DEP_2)
	v_sub_nc_u32_e32 v4, v3, v4
	v_cmp_le_u32_e64 s0, s77, v5
	s_delay_alu instid0(VALU_DEP_2) | instskip(SKIP_2) | instid1(VALU_DEP_3)
	v_cmp_le_u32_e32 vcc_lo, s74, v4
	v_subrev_nc_u32_e32 v9, s77, v5
	s_wait_alu 0xf1ff
	v_cndmask_b32_e64 v2, v2, v8, s0
	v_xor_b32_e32 v8, s78, v7
	s_delay_alu instid0(VALU_DEP_3) | instskip(SKIP_1) | instid1(VALU_DEP_4)
	v_cndmask_b32_e64 v5, v5, v9, s0
	v_xor_b32_e32 v7, s87, v7
	v_add_nc_u32_e32 v9, 1, v2
	s_wait_alu 0xfffd
	v_cndmask_b32_e32 v1, v1, v6, vcc_lo
	v_subrev_nc_u32_e32 v6, s74, v4
	s_delay_alu instid0(VALU_DEP_1) | instskip(NEXT) | instid1(VALU_DEP_3)
	v_cndmask_b32_e32 v4, v4, v6, vcc_lo
	v_add_nc_u32_e32 v6, 1, v1
	s_delay_alu instid0(VALU_DEP_2) | instskip(SKIP_2) | instid1(VALU_DEP_3)
	v_cmp_le_u32_e32 vcc_lo, s74, v4
	v_mul_hi_u32 v4, v3, s88
	s_wait_alu 0xfffd
	v_cndmask_b32_e32 v1, v1, v6, vcc_lo
	v_cmp_le_u32_e32 vcc_lo, s77, v5
	s_delay_alu instid0(VALU_DEP_2) | instskip(SKIP_2) | instid1(VALU_DEP_2)
	v_xor_b32_e32 v1, v1, v8
	s_wait_alu 0xfffd
	v_cndmask_b32_e32 v2, v2, v9, vcc_lo
	v_sub_nc_u32_e32 v1, v1, v8
	s_delay_alu instid0(VALU_DEP_2) | instskip(SKIP_1) | instid1(VALU_DEP_3)
	v_xor_b32_e32 v2, v2, v10
	v_mul_lo_u32 v8, v4, s80
	v_sub_nc_u32_e32 v5, 0, v1
	s_delay_alu instid0(VALU_DEP_3) | instskip(NEXT) | instid1(VALU_DEP_3)
	v_sub_nc_u32_e32 v2, v2, v10
	v_sub_nc_u32_e32 v3, v3, v8
	s_delay_alu instid0(VALU_DEP_2) | instskip(NEXT) | instid1(VALU_DEP_4)
	v_sub_nc_u32_e32 v6, 0, v2
	v_max_i32_e32 v5, v1, v5
	s_delay_alu instid0(VALU_DEP_3) | instskip(NEXT) | instid1(VALU_DEP_3)
	v_cmp_le_u32_e32 vcc_lo, s80, v3
	v_max_i32_e32 v6, v2, v6
	s_delay_alu instid0(VALU_DEP_3) | instskip(NEXT) | instid1(VALU_DEP_2)
	v_mul_hi_u32 v9, v5, s83
	v_mul_hi_u32 v10, v6, s86
	s_delay_alu instid0(VALU_DEP_2) | instskip(NEXT) | instid1(VALU_DEP_2)
	v_mul_lo_u32 v8, v9, s75
	v_mul_lo_u32 v9, v10, s79
	v_subrev_nc_u32_e32 v10, s80, v3
	s_delay_alu instid0(VALU_DEP_3) | instskip(SKIP_1) | instid1(VALU_DEP_2)
	v_sub_nc_u32_e32 v5, v5, v8
	s_wait_alu 0xfffd
	v_cndmask_b32_e32 v3, v3, v10, vcc_lo
	s_delay_alu instid0(VALU_DEP_4) | instskip(NEXT) | instid1(VALU_DEP_3)
	v_sub_nc_u32_e32 v6, v6, v9
	v_subrev_nc_u32_e32 v9, s75, v5
	s_delay_alu instid0(VALU_DEP_2) | instskip(SKIP_1) | instid1(VALU_DEP_1)
	v_subrev_nc_u32_e32 v10, s79, v6
	v_add_nc_u32_e32 v11, 1, v4
	v_cndmask_b32_e32 v4, v4, v11, vcc_lo
	v_cmp_le_u32_e32 vcc_lo, s80, v3
	s_delay_alu instid0(VALU_DEP_2) | instskip(SKIP_1) | instid1(VALU_DEP_1)
	v_add_nc_u32_e32 v8, 1, v4
	s_wait_alu 0xfffd
	v_cndmask_b32_e32 v8, v4, v8, vcc_lo
	v_cmp_le_u32_e32 vcc_lo, s75, v5
	s_wait_alu 0xfffd
	v_cndmask_b32_e32 v3, v5, v9, vcc_lo
	v_cmp_le_u32_e32 vcc_lo, s79, v6
	v_xor_b32_e32 v5, v8, v7
	s_delay_alu instid0(VALU_DEP_3) | instskip(SKIP_2) | instid1(VALU_DEP_3)
	v_cmp_le_u32_e64 s0, s75, v3
	s_wait_alu 0xfffd
	v_cndmask_b32_e32 v4, v6, v10, vcc_lo
	v_sub_nc_u32_e32 v5, v5, v7
	s_and_not1_b32 vcc_lo, exec_lo, s59
                                        ; implicit-def: $vgpr6
	s_delay_alu instid0(VALU_DEP_2)
	v_cmp_le_u32_e64 s1, s79, v4
	s_wait_alu 0xfffe
	s_cbranch_vccnz .LBB103_5
; %bb.4:                                ;   in Loop: Header=BB103_3 Depth=1
	v_ashrrev_i32_e32 v6, 31, v5
	s_mov_b32 s2, 0
.LBB103_5:                              ;   in Loop: Header=BB103_3 Depth=1
	v_subrev_nc_u32_e32 v7, s75, v3
	v_subrev_nc_u32_e32 v8, s79, v4
	v_ashrrev_i32_e32 v9, 31, v1
	v_ashrrev_i32_e32 v10, 31, v2
	s_wait_alu 0xfffe
	s_and_not1_b32 vcc_lo, exec_lo, s2
	v_cndmask_b32_e64 v2, v3, v7, s0
	v_cndmask_b32_e64 v3, v4, v8, s1
	v_mul_lo_u32 v4, v1, s33
	s_delay_alu instid0(VALU_DEP_3) | instskip(NEXT) | instid1(VALU_DEP_3)
	v_xor_b32_e32 v8, v2, v9
	v_xor_b32_e32 v3, v3, v10
	v_mov_b32_e32 v1, 0
	v_mov_b32_e32 v2, 0
	v_sub_nc_u32_e32 v7, v0, v4
	v_sub_nc_u32_e32 v8, v8, v9
	;; [unrolled: 1-line block ×3, first 2 shown]
	s_wait_alu 0xfffe
	s_cbranch_vccnz .LBB103_19
; %bb.6:                                ;   in Loop: Header=BB103_3 Depth=1
	v_ashrrev_i32_e32 v6, 31, v5
	v_mul_lo_u32 v3, s43, v5
	v_mad_co_u64_u32 v[1:2], null, s42, v5, 0
	v_mul_lo_u32 v10, v9, s16
	s_delay_alu instid0(VALU_DEP_4) | instskip(SKIP_3) | instid1(VALU_DEP_2)
	v_mul_lo_u32 v4, s42, v6
	v_mul_lo_u32 v11, v8, s17
	s_mov_b32 s2, 0
	s_mov_b64 s[60:61], s[22:23]
	v_add3_u32 v2, v2, v4, v3
	v_mad_co_u64_u32 v[3:4], null, v7, s18, s[58:59]
	s_delay_alu instid0(VALU_DEP_2) | instskip(SKIP_2) | instid1(VALU_DEP_3)
	v_lshlrev_b64_e32 v[12:13], 2, v[1:2]
	v_mov_b32_e32 v1, 0
	v_mov_b32_e32 v2, 0
	v_add_co_u32 v4, vcc_lo, s8, v12
	s_wait_alu 0xfffd
	s_delay_alu instid0(VALU_DEP_4)
	v_add_co_ci_u32_e64 v12, null, s9, v13, vcc_lo
	s_branch .LBB103_8
.LBB103_7:                              ;   in Loop: Header=BB103_8 Depth=2
	s_add_co_i32 s2, s2, 1
	s_add_nc_u64 s[60:61], s[60:61], s[30:31]
	s_wait_alu 0xfffe
	s_cmp_eq_u32 s2, s7
	s_cbranch_scc1 .LBB103_19
.LBB103_8:                              ;   Parent Loop BB103_3 Depth=1
                                        ; =>  This Loop Header: Depth=2
                                        ;       Child Loop BB103_11 Depth 3
                                        ;         Child Loop BB103_14 Depth 4
                                        ;           Child Loop BB103_17 Depth 5
	s_and_not1_b32 vcc_lo, exec_lo, s68
	s_wait_alu 0xfffe
	s_cbranch_vccnz .LBB103_7
; %bb.9:                                ;   in Loop: Header=BB103_8 Depth=2
	s_mul_u64 s[0:1], s[46:47], s[2:3]
	s_mov_b32 s70, 0
	s_wait_alu 0xfffe
	s_lshl_b64 s[0:1], s[0:1], 2
	s_mov_b64 s[62:63], s[60:61]
	s_wait_alu 0xfffe
	v_add_co_u32 v13, vcc_lo, v4, s0
	s_wait_alu 0xfffd
	v_add_co_ci_u32_e64 v14, null, s1, v12, vcc_lo
	s_branch .LBB103_11
.LBB103_10:                             ;   in Loop: Header=BB103_11 Depth=3
	s_add_co_i32 s70, s70, 1
	s_add_nc_u64 s[62:63], s[62:63], s[34:35]
	s_cmp_eq_u32 s70, s10
	s_cbranch_scc1 .LBB103_7
.LBB103_11:                             ;   Parent Loop BB103_3 Depth=1
                                        ;     Parent Loop BB103_8 Depth=2
                                        ; =>    This Loop Header: Depth=3
                                        ;         Child Loop BB103_14 Depth 4
                                        ;           Child Loop BB103_17 Depth 5
	s_and_not1_b32 vcc_lo, exec_lo, s69
	s_wait_alu 0xfffe
	s_cbranch_vccnz .LBB103_10
; %bb.12:                               ;   in Loop: Header=BB103_11 Depth=3
	s_mul_i32 s0, s70, s13
	s_mov_b64 s[64:65], s[62:63]
	s_wait_alu 0xfffe
	s_sub_co_i32 s0, s0, s19
	s_wait_alu 0xfffe
	v_add_nc_u32_e32 v18, s0, v10
	s_delay_alu instid0(VALU_DEP_1) | instskip(SKIP_4) | instid1(VALU_DEP_1)
	v_mad_co_u64_u32 v[15:16], null, s40, v18, 0
	v_cmp_gt_i32_e32 vcc_lo, 0, v18
	v_cmp_le_i32_e64 s0, s4, v18
	s_or_b32 s71, vcc_lo, s0
	v_mad_co_u64_u32 v[16:17], null, s41, v18, v[16:17]
	v_lshlrev_b64_e32 v[15:16], 2, v[15:16]
	s_delay_alu instid0(VALU_DEP_1) | instskip(SKIP_1) | instid1(VALU_DEP_2)
	v_add_co_u32 v15, s1, v13, v15
	s_wait_alu 0xf1ff
	v_add_co_ci_u32_e64 v16, null, v14, v16, s1
	s_mov_b32 s1, 0
	s_branch .LBB103_14
.LBB103_13:                             ;   in Loop: Header=BB103_14 Depth=4
	s_add_co_i32 s1, s1, 1
	s_add_nc_u64 s[64:65], s[64:65], s[44:45]
	s_wait_alu 0xfffe
	s_cmp_eq_u32 s1, s11
	s_cbranch_scc1 .LBB103_10
.LBB103_14:                             ;   Parent Loop BB103_3 Depth=1
                                        ;     Parent Loop BB103_8 Depth=2
                                        ;       Parent Loop BB103_11 Depth=3
                                        ; =>      This Loop Header: Depth=4
                                        ;           Child Loop BB103_17 Depth 5
	s_and_not1_b32 vcc_lo, exec_lo, s73
	s_wait_alu 0xfffe
	s_cbranch_vccnz .LBB103_13
; %bb.15:                               ;   in Loop: Header=BB103_14 Depth=4
	s_mul_i32 s0, s1, s14
	s_mov_b64 s[66:67], s[64:65]
	s_wait_alu 0xfffe
	s_sub_co_i32 s0, s0, s28
	s_mov_b32 s90, s12
	s_wait_alu 0xfffe
	v_add_nc_u32_e32 v20, s0, v11
	s_delay_alu instid0(VALU_DEP_1) | instskip(NEXT) | instid1(VALU_DEP_1)
	v_mad_co_u64_u32 v[17:18], null, s38, v20, 0
	v_mad_co_u64_u32 v[18:19], null, s39, v20, v[18:19]
	v_mov_b32_e32 v19, v3
	v_cmp_gt_i32_e32 vcc_lo, 0, v20
	v_cmp_le_i32_e64 s0, s5, v20
	s_delay_alu instid0(VALU_DEP_4) | instskip(SKIP_3) | instid1(VALU_DEP_1)
	v_lshlrev_b64_e32 v[17:18], 2, v[17:18]
	s_or_b32 s0, vcc_lo, s0
	s_wait_alu 0xfffe
	s_or_b32 s89, s71, s0
	v_add_co_u32 v17, vcc_lo, v15, v17
	s_wait_alu 0xfffd
	v_add_co_ci_u32_e64 v18, null, v16, v18, vcc_lo
	s_branch .LBB103_17
.LBB103_16:                             ;   in Loop: Header=BB103_17 Depth=5
	s_wait_alu 0xfffe
	s_or_b32 exec_lo, exec_lo, s0
	v_add_nc_u32_e32 v19, s15, v19
	s_add_co_i32 s90, s90, -1
	s_add_nc_u64 s[66:67], s[66:67], s[56:57]
	s_wait_alu 0xfffe
	s_cmp_eq_u32 s90, 0
	s_cbranch_scc1 .LBB103_13
.LBB103_17:                             ;   Parent Loop BB103_3 Depth=1
                                        ;     Parent Loop BB103_8 Depth=2
                                        ;       Parent Loop BB103_11 Depth=3
                                        ;         Parent Loop BB103_14 Depth=4
                                        ; =>        This Inner Loop Header: Depth=5
	v_cmp_gt_i32_e32 vcc_lo, 0, v19
	v_cmp_le_i32_e64 s0, s6, v19
	s_or_b32 s0, vcc_lo, s0
	s_wait_alu 0xfffe
	s_nor_b32 s91, s89, s0
	s_wait_alu 0xfffe
	s_and_saveexec_b32 s0, s91
	s_cbranch_execz .LBB103_16
; %bb.18:                               ;   in Loop: Header=BB103_17 Depth=5
	v_mad_co_u64_u32 v[20:21], null, s36, v19, 0
	s_load_b32 s91, s[66:67], 0x0
	v_mad_co_u64_u32 v[21:22], null, s37, v19, v[21:22]
	s_delay_alu instid0(VALU_DEP_1) | instskip(SKIP_2) | instid1(VALU_DEP_1)
	v_lshlrev_b64_e32 v[20:21], 2, v[20:21]
	s_wait_kmcnt 0x0
	s_and_b32 s91, s91, 0xffffe000
	v_add_co_u32 v20, vcc_lo, v17, v20
	s_wait_alu 0xfffd
	s_delay_alu instid0(VALU_DEP_2)
	v_add_co_ci_u32_e64 v21, null, v18, v21, vcc_lo
	s_wait_alu 0xfffe
	v_cvt_f64_f32_e32 v[22:23], s91
	global_load_b32 v20, v[20:21], off
	s_wait_loadcnt 0x0
	v_and_b32_e32 v20, 0xffffe000, v20
	s_delay_alu instid0(VALU_DEP_1) | instskip(NEXT) | instid1(VALU_DEP_1)
	v_cvt_f64_f32_e32 v[20:21], v20
	v_fma_f64 v[1:2], v[20:21], v[22:23], v[1:2]
	s_branch .LBB103_16
.LBB103_19:                             ;   in Loop: Header=BB103_3 Depth=1
	v_mul_lo_u32 v6, v6, s54
	v_mul_lo_u32 v10, v5, s55
	v_mad_co_u64_u32 v[3:4], null, v5, s54, 0
	v_ashrrev_i32_e32 v5, 31, v9
	v_mul_lo_u32 v12, s53, v9
	v_ashrrev_i32_e32 v11, 31, v8
	v_mul_lo_u32 v14, s51, v8
	v_mul_lo_u32 v16, s49, v7
	;; [unrolled: 1-line block ×3, first 2 shown]
	v_add3_u32 v4, v4, v10, v6
	v_mad_co_u64_u32 v[5:6], null, s52, v9, 0
	v_ashrrev_i32_e32 v10, 31, v7
	v_mul_lo_u32 v15, s50, v11
	v_mad_co_u64_u32 v[8:9], null, s50, v8, 0
	v_lshlrev_b64_e32 v[3:4], 2, v[3:4]
	s_delay_alu instid0(VALU_DEP_4) | instskip(SKIP_3) | instid1(VALU_DEP_3)
	v_mul_lo_u32 v17, s48, v10
	v_add3_u32 v6, v6, v13, v12
	v_mad_co_u64_u32 v[10:11], null, s48, v7, 0
	v_add3_u32 v9, v9, v15, v14
	v_lshlrev_b64_e32 v[5:6], 2, v[5:6]
	v_add_co_u32 v7, vcc_lo, s20, v3
	s_wait_alu 0xfffd
	v_add_co_ci_u32_e64 v12, null, s21, v4, vcc_lo
	v_add3_u32 v11, v11, v17, v16
	v_lshlrev_b64_e32 v[3:4], 2, v[8:9]
	v_add_co_u32 v7, vcc_lo, v7, v5
	s_wait_alu 0xfffd
	v_add_co_ci_u32_e64 v8, null, v12, v6, vcc_lo
	v_lshlrev_b64_e32 v[5:6], 2, v[10:11]
	s_delay_alu instid0(VALU_DEP_3) | instskip(SKIP_1) | instid1(VALU_DEP_3)
	v_add_co_u32 v3, vcc_lo, v7, v3
	s_wait_alu 0xfffd
	v_add_co_ci_u32_e64 v4, null, v8, v4, vcc_lo
	s_delay_alu instid0(VALU_DEP_2) | instskip(SKIP_1) | instid1(VALU_DEP_2)
	v_add_co_u32 v3, vcc_lo, v3, v5
	s_wait_alu 0xfffd
	v_add_co_ci_u32_e64 v4, null, v4, v6, vcc_lo
	s_and_not1_b32 vcc_lo, exec_lo, s81
	s_wait_alu 0xfffe
	s_cbranch_vccnz .LBB103_2
; %bb.20:                               ;   in Loop: Header=BB103_3 Depth=1
	global_load_b32 v5, v[3:4], off
	s_wait_loadcnt 0x0
	v_cvt_f64_f32_e32 v[5:6], v5
	s_delay_alu instid0(VALU_DEP_1) | instskip(NEXT) | instid1(VALU_DEP_1)
	v_mul_f64_e32 v[5:6], s[26:27], v[5:6]
	v_fma_f64 v[1:2], s[24:25], v[1:2], v[5:6]
	s_branch .LBB103_2
.LBB103_21:
	s_endpgm
	.section	.rodata,"a",@progbits
	.p2align	6, 0x0
	.amdhsa_kernel naive_conv_ab_nonpacked_wrw_ncdhw_float_double_float_1
		.amdhsa_group_segment_fixed_size 0
		.amdhsa_private_segment_fixed_size 0
		.amdhsa_kernarg_size 528
		.amdhsa_user_sgpr_count 2
		.amdhsa_user_sgpr_dispatch_ptr 0
		.amdhsa_user_sgpr_queue_ptr 0
		.amdhsa_user_sgpr_kernarg_segment_ptr 1
		.amdhsa_user_sgpr_dispatch_id 0
		.amdhsa_user_sgpr_private_segment_size 0
		.amdhsa_wavefront_size32 1
		.amdhsa_uses_dynamic_stack 0
		.amdhsa_enable_private_segment 0
		.amdhsa_system_sgpr_workgroup_id_x 1
		.amdhsa_system_sgpr_workgroup_id_y 0
		.amdhsa_system_sgpr_workgroup_id_z 0
		.amdhsa_system_sgpr_workgroup_info 0
		.amdhsa_system_vgpr_workitem_id 0
		.amdhsa_next_free_vgpr 24
		.amdhsa_next_free_sgpr 92
		.amdhsa_reserve_vcc 1
		.amdhsa_float_round_mode_32 0
		.amdhsa_float_round_mode_16_64 0
		.amdhsa_float_denorm_mode_32 3
		.amdhsa_float_denorm_mode_16_64 3
		.amdhsa_fp16_overflow 0
		.amdhsa_workgroup_processor_mode 1
		.amdhsa_memory_ordered 1
		.amdhsa_forward_progress 1
		.amdhsa_inst_pref_size 18
		.amdhsa_round_robin_scheduling 0
		.amdhsa_exception_fp_ieee_invalid_op 0
		.amdhsa_exception_fp_denorm_src 0
		.amdhsa_exception_fp_ieee_div_zero 0
		.amdhsa_exception_fp_ieee_overflow 0
		.amdhsa_exception_fp_ieee_underflow 0
		.amdhsa_exception_fp_ieee_inexact 0
		.amdhsa_exception_int_div_zero 0
	.end_amdhsa_kernel
	.text
.Lfunc_end103:
	.size	naive_conv_ab_nonpacked_wrw_ncdhw_float_double_float_1, .Lfunc_end103-naive_conv_ab_nonpacked_wrw_ncdhw_float_double_float_1
                                        ; -- End function
	.set naive_conv_ab_nonpacked_wrw_ncdhw_float_double_float_1.num_vgpr, 24
	.set naive_conv_ab_nonpacked_wrw_ncdhw_float_double_float_1.num_agpr, 0
	.set naive_conv_ab_nonpacked_wrw_ncdhw_float_double_float_1.numbered_sgpr, 92
	.set naive_conv_ab_nonpacked_wrw_ncdhw_float_double_float_1.num_named_barrier, 0
	.set naive_conv_ab_nonpacked_wrw_ncdhw_float_double_float_1.private_seg_size, 0
	.set naive_conv_ab_nonpacked_wrw_ncdhw_float_double_float_1.uses_vcc, 1
	.set naive_conv_ab_nonpacked_wrw_ncdhw_float_double_float_1.uses_flat_scratch, 0
	.set naive_conv_ab_nonpacked_wrw_ncdhw_float_double_float_1.has_dyn_sized_stack, 0
	.set naive_conv_ab_nonpacked_wrw_ncdhw_float_double_float_1.has_recursion, 0
	.set naive_conv_ab_nonpacked_wrw_ncdhw_float_double_float_1.has_indirect_call, 0
	.section	.AMDGPU.csdata,"",@progbits
; Kernel info:
; codeLenInByte = 2248
; TotalNumSgprs: 94
; NumVgprs: 24
; ScratchSize: 0
; MemoryBound: 0
; FloatMode: 240
; IeeeMode: 1
; LDSByteSize: 0 bytes/workgroup (compile time only)
; SGPRBlocks: 0
; VGPRBlocks: 2
; NumSGPRsForWavesPerEU: 94
; NumVGPRsForWavesPerEU: 24
; Occupancy: 16
; WaveLimiterHint : 0
; COMPUTE_PGM_RSRC2:SCRATCH_EN: 0
; COMPUTE_PGM_RSRC2:USER_SGPR: 2
; COMPUTE_PGM_RSRC2:TRAP_HANDLER: 0
; COMPUTE_PGM_RSRC2:TGID_X_EN: 1
; COMPUTE_PGM_RSRC2:TGID_Y_EN: 0
; COMPUTE_PGM_RSRC2:TGID_Z_EN: 0
; COMPUTE_PGM_RSRC2:TIDIG_COMP_CNT: 0
	.text
	.protected	naive_conv_ab_packed_wrw_ncdhw_half_double_half_0 ; -- Begin function naive_conv_ab_packed_wrw_ncdhw_half_double_half_0
	.globl	naive_conv_ab_packed_wrw_ncdhw_half_double_half_0
	.p2align	8
	.type	naive_conv_ab_packed_wrw_ncdhw_half_double_half_0,@function
naive_conv_ab_packed_wrw_ncdhw_half_double_half_0: ; @naive_conv_ab_packed_wrw_ncdhw_half_double_half_0
; %bb.0:
	s_clause 0x2
	s_load_b512 s[4:19], s[0:1], 0xb8
	s_load_b64 s[48:49], s[0:1], 0x108
	s_load_b128 s[28:31], s[0:1], 0xf8
	s_mov_b32 s3, exec_lo
	s_wait_kmcnt 0x0
	s_abs_i32 s35, s8
	s_delay_alu instid0(SALU_CYCLE_1) | instskip(SKIP_1) | instid1(SALU_CYCLE_1)
	s_cvt_f32_u32 s2, s35
	s_mul_i32 s55, s48, s31
	s_mul_i32 s54, s55, s30
	s_delay_alu instid0(SALU_CYCLE_1) | instskip(SKIP_1) | instid1(TRANS32_DEP_1)
	v_rcp_iflag_f32_e32 v1, s2
	s_mul_i32 s33, s54, s9
	v_readfirstlane_b32 s2, v1
	v_cmpx_gt_i32_e64 s33, v0
	s_cbranch_execz .LBB104_23
; %bb.1:
	s_mul_f32 s2, s2, 0x4f7ffffe
	s_sub_co_i32 s3, 0, s35
	s_load_b256 s[20:27], s[0:1], 0x0
	s_ashr_i32 s38, ttmp9, 31
	s_cvt_u32_f32 s34, s2
	s_abs_i32 s2, ttmp9
	s_ashr_i32 s41, s8, 31
	s_mov_b32 s42, s9
	s_mul_i32 s36, s3, s34
	s_mov_b32 s3, 0
	s_mul_hi_u32 s36, s34, s36
	s_wait_alu 0xfffe
	s_mov_b32 s37, s3
	s_add_co_i32 s36, s34, s36
	s_xor_b32 s44, s38, s41
	s_mul_u64 s[36:37], s[2:3], s[36:37]
	s_mov_b32 s34, s4
	s_mul_i32 s39, s37, s35
	s_mov_b32 s36, s5
	s_sub_co_i32 s2, s2, s39
	s_add_co_i32 s39, s37, 1
	s_wait_alu 0xfffe
	s_sub_co_i32 s40, s2, s35
	s_cmp_ge_u32 s2, s35
	s_mov_b32 s38, s6
	s_cselect_b32 s37, s39, s37
	s_cselect_b32 s2, s40, s2
	s_add_co_i32 s39, s37, 1
	s_wait_alu 0xfffe
	s_cmp_ge_u32 s2, s35
	s_mov_b32 s40, s8
	s_cselect_b32 s2, s39, s37
	s_ashr_i32 s35, s4, 31
	s_ashr_i32 s37, s5, 31
	s_wait_alu 0xfffe
	s_xor_b32 s2, s2, s44
	s_mul_u64 s[4:5], s[36:37], s[34:35]
	s_ashr_i32 s39, s6, 31
	s_wait_alu 0xfffe
	s_sub_co_i32 s44, s2, s44
	s_ashr_i32 s43, s9, 31
	s_mul_u64 s[4:5], s[4:5], s[38:39]
	s_mul_i32 s2, s44, s8
	s_ashr_i32 s45, s44, 31
	s_mul_u64 s[52:53], s[4:5], s[42:43]
	s_ashr_i32 s5, s30, 31
	s_mov_b32 s4, s30
	s_wait_alu 0xfffe
	s_sub_co_i32 s46, ttmp9, s2
	s_wait_kmcnt 0x0
	v_cmp_neq_f64_e64 s2, s[24:25], 1.0
	v_cmp_neq_f64_e64 s66, s[26:27], 0
	s_mul_u64 s[50:51], s[44:45], s[40:41]
	s_ashr_i32 s41, s31, 31
	s_mul_u64 s[56:57], s[4:5], s[42:43]
	s_mov_b32 s40, s31
	s_ashr_i32 s43, s48, 31
	s_mov_b32 s42, s48
	s_ashr_i32 s47, s46, 31
	s_mul_u64 s[56:57], s[56:57], s[40:41]
	s_add_nc_u64 s[50:51], s[50:51], s[46:47]
	s_mul_u64 s[46:47], s[56:57], s[42:43]
	s_mul_u64 s[44:45], s[52:53], s[44:45]
	;; [unrolled: 1-line block ×3, first 2 shown]
	s_lshl_b64 s[56:57], s[44:45], 1
	s_lshl_b64 s[62:63], s[46:47], 1
	s_ashr_i32 s45, s10, 31
	s_ashr_i32 s47, s11, 31
	;; [unrolled: 1-line block ×3, first 2 shown]
	s_cmp_lt_i32 s7, 1
	s_add_nc_u64 s[22:23], s[22:23], s[62:63]
	s_cselect_b32 s6, -1, 0
	s_cmp_gt_i32 s10, 0
	s_mul_i32 s63, s49, s9
	s_cselect_b32 s58, -1, 0
	s_cmp_gt_i32 s11, 0
	s_mov_b32 s46, s11
	s_cselect_b32 s59, -1, 0
	s_cmp_gt_i32 s12, 0
	s_add_nc_u64 s[20:21], s[20:21], s[56:57]
	s_cselect_b32 s60, -1, 0
	s_abs_i32 s61, s48
	s_abs_i32 s62, s31
	s_cvt_f32_u32 s44, s61
	s_abs_i32 s65, s55
	s_abs_i32 s67, s30
	;; [unrolled: 1-line block ×3, first 2 shown]
	v_rcp_iflag_f32_e32 v1, s44
	s_mov_b32 s44, s10
	s_cvt_f32_u32 s10, s62
	s_or_b32 s66, s2, s66
	s_cvt_f32_u32 s2, s65
	s_cvt_f32_u32 s11, s69
	v_rcp_iflag_f32_e32 v2, s10
	s_clause 0x1
	s_load_b64 s[56:57], s[0:1], 0x20
	s_load_b32 s31, s[0:1], 0x11c
	s_mul_i32 s0, s49, s8
	s_mov_b32 s52, s12
	v_readfirstlane_b32 s10, v1
	v_rcp_iflag_f32_e32 v1, s2
	s_ashr_i32 s1, s0, 31
	v_mov_b32_e32 v15, 0x7e00
	s_ashr_i32 s64, s63, 31
	s_mul_f32 s8, s10, 0x4f7ffffe
	v_readfirstlane_b32 s9, v2
	s_sub_co_i32 s10, 0, s61
	s_ashr_i32 s72, s55, 31
	s_cvt_u32_f32 s8, s8
	s_ashr_i32 s74, s54, 31
	s_mul_f32 s2, s9, 0x4f7ffffe
	s_cvt_f32_u32 s9, s67
	v_readfirstlane_b32 s30, v1
	v_rcp_iflag_f32_e32 v1, s11
	s_wait_alu 0xfffe
	s_cvt_u32_f32 s2, s2
	v_rcp_iflag_f32_e32 v2, s9
	s_mul_i32 s10, s10, s8
	s_mul_f32 s11, s30, 0x4f7ffffe
	s_sub_co_i32 s9, 0, s62
	s_wait_alu 0xfffe
	s_mul_hi_u32 s10, s8, s10
	s_mul_i32 s9, s9, s2
	s_wait_alu 0xfffe
	s_add_co_i32 s70, s8, s10
	s_mul_hi_u32 s9, s2, s9
	v_readfirstlane_b32 s10, v1
	s_wait_alu 0xfffe
	s_add_co_i32 s71, s2, s9
	v_readfirstlane_b32 s30, v2
	s_cvt_u32_f32 s2, s11
	s_sub_co_i32 s9, 0, s65
	s_sub_co_i32 s11, 0, s67
	s_mul_f32 s10, s10, 0x4f7ffffe
	s_mul_f32 s8, s30, 0x4f7ffffe
	s_wait_alu 0xfffe
	s_mul_i32 s9, s9, s2
	s_wait_kmcnt 0x0
	s_and_b32 s68, s31, 0xffff
	s_wait_alu 0xfffe
	s_mul_hi_u32 s9, s2, s9
	s_cvt_u32_f32 s8, s8
	s_wait_alu 0xfffe
	s_add_co_i32 s73, s2, s9
	s_cvt_u32_f32 s48, s10
	s_mul_u64 s[30:31], s[52:53], s[46:47]
	s_mul_i32 s11, s11, s8
	v_mov_b32_e32 v2, 0
	s_wait_alu 0xfffe
	s_mul_hi_u32 s2, s8, s11
	s_wait_alu 0xfffe
	s_add_co_i32 s47, s8, s2
	s_sub_co_i32 s2, 0, s69
	s_mul_u64 s[8:9], s[30:31], s[44:45]
	s_wait_alu 0xfffe
	s_mul_i32 s2, s2, s48
	s_mul_u64 s[10:11], s[8:9], s[50:51]
	s_wait_alu 0xfffe
	s_mul_hi_u32 s2, s48, s2
	s_lshl_b64 s[10:11], s[10:11], 1
	s_mul_u64 s[0:1], s[8:9], s[0:1]
	s_wait_alu 0xfffe
	s_add_co_i32 s45, s48, s2
	s_add_nc_u64 s[8:9], s[56:57], s[10:11]
	s_lshl_b64 s[10:11], s[0:1], 1
	s_lshl_b64 s[30:31], s[30:31], 1
	s_lshl_b64 s[48:49], s[52:53], 1
	s_sub_co_i32 s2, 0, s29
	s_branch .LBB104_3
.LBB104_2:                              ;   in Loop: Header=BB104_3 Depth=1
	v_add_nc_u32_e32 v0, s68, v0
	s_delay_alu instid0(VALU_DEP_1)
	v_cmp_le_i32_e32 vcc_lo, s33, v0
	s_or_b32 s3, vcc_lo, s3
	s_wait_alu 0xfffe
	s_and_not1_b32 exec_lo, exec_lo, s3
	s_cbranch_execz .LBB104_23
.LBB104_3:                              ; =>This Loop Header: Depth=1
                                        ;     Child Loop BB104_8 Depth 2
                                        ;       Child Loop BB104_11 Depth 3
                                        ;         Child Loop BB104_14 Depth 4
                                        ;           Child Loop BB104_17 Depth 5
	v_sub_nc_u32_e32 v1, 0, v0
	v_ashrrev_i32_e32 v8, 31, v0
	s_mov_b32 s29, -1
	s_delay_alu instid0(VALU_DEP_2) | instskip(NEXT) | instid1(VALU_DEP_2)
	v_max_i32_e32 v4, v0, v1
	v_xor_b32_e32 v11, s72, v8
	s_delay_alu instid0(VALU_DEP_2) | instskip(SKIP_1) | instid1(VALU_DEP_2)
	v_mul_hi_u32 v1, v4, s70
	v_mul_hi_u32 v3, v4, s73
	v_mul_lo_u32 v5, v1, s61
	v_add_nc_u32_e32 v7, 1, v1
	s_delay_alu instid0(VALU_DEP_3) | instskip(SKIP_1) | instid1(VALU_DEP_4)
	v_mul_lo_u32 v6, v3, s65
	v_add_nc_u32_e32 v9, 1, v3
	v_sub_nc_u32_e32 v5, v4, v5
	s_delay_alu instid0(VALU_DEP_3) | instskip(NEXT) | instid1(VALU_DEP_2)
	v_sub_nc_u32_e32 v6, v4, v6
	v_cmp_le_u32_e32 vcc_lo, s61, v5
	s_delay_alu instid0(VALU_DEP_2)
	v_subrev_nc_u32_e32 v10, s65, v6
	v_cmp_le_u32_e64 s0, s65, v6
	s_wait_alu 0xfffd
	v_cndmask_b32_e32 v1, v1, v7, vcc_lo
	v_subrev_nc_u32_e32 v7, s61, v5
	s_wait_alu 0xf1ff
	v_cndmask_b32_e64 v3, v3, v9, s0
	v_cndmask_b32_e64 v6, v6, v10, s0
	v_xor_b32_e32 v9, s43, v8
	v_cndmask_b32_e32 v5, v5, v7, vcc_lo
	v_xor_b32_e32 v8, s74, v8
	s_delay_alu instid0(VALU_DEP_2) | instskip(SKIP_2) | instid1(VALU_DEP_1)
	v_cmp_le_u32_e32 vcc_lo, s61, v5
	s_wait_alu 0xfffe
	v_mul_hi_u32 v5, v4, s45
	v_add_nc_u32_e32 v12, 1, v5
	v_add_nc_u32_e32 v7, 1, v1
	;; [unrolled: 1-line block ×3, first 2 shown]
	s_wait_alu 0xfffd
	s_delay_alu instid0(VALU_DEP_2) | instskip(SKIP_1) | instid1(VALU_DEP_2)
	v_cndmask_b32_e32 v1, v1, v7, vcc_lo
	v_cmp_le_u32_e32 vcc_lo, s65, v6
	v_xor_b32_e32 v1, v1, v9
	s_wait_alu 0xfffd
	v_cndmask_b32_e32 v3, v3, v10, vcc_lo
	s_delay_alu instid0(VALU_DEP_2) | instskip(NEXT) | instid1(VALU_DEP_2)
	v_sub_nc_u32_e32 v1, v1, v9
	v_xor_b32_e32 v3, v3, v11
	v_mul_lo_u32 v9, v5, s69
	s_delay_alu instid0(VALU_DEP_3) | instskip(NEXT) | instid1(VALU_DEP_3)
	v_sub_nc_u32_e32 v6, 0, v1
	v_sub_nc_u32_e32 v3, v3, v11
	s_delay_alu instid0(VALU_DEP_2) | instskip(NEXT) | instid1(VALU_DEP_2)
	v_max_i32_e32 v6, v1, v6
	v_sub_nc_u32_e32 v7, 0, v3
	v_sub_nc_u32_e32 v4, v4, v9
	s_delay_alu instid0(VALU_DEP_3) | instskip(NEXT) | instid1(VALU_DEP_3)
	v_mul_hi_u32 v10, v6, s71
	v_max_i32_e32 v7, v3, v7
	s_delay_alu instid0(VALU_DEP_3) | instskip(NEXT) | instid1(VALU_DEP_2)
	v_cmp_le_u32_e32 vcc_lo, s69, v4
	v_mul_hi_u32 v11, v7, s47
	s_wait_alu 0xfffd
	v_cndmask_b32_e32 v5, v5, v12, vcc_lo
	v_mul_lo_u32 v9, v10, s62
	s_delay_alu instid0(VALU_DEP_3) | instskip(SKIP_1) | instid1(VALU_DEP_3)
	v_mul_lo_u32 v10, v11, s67
	v_subrev_nc_u32_e32 v11, s69, v4
	v_sub_nc_u32_e32 v6, v6, v9
	s_delay_alu instid0(VALU_DEP_2) | instskip(NEXT) | instid1(VALU_DEP_4)
	v_dual_cndmask_b32 v4, v4, v11 :: v_dual_add_nc_u32 v9, 1, v5
	v_sub_nc_u32_e32 v7, v7, v10
	s_delay_alu instid0(VALU_DEP_3) | instskip(NEXT) | instid1(VALU_DEP_3)
	v_subrev_nc_u32_e32 v10, s62, v6
	v_cmp_le_u32_e32 vcc_lo, s69, v4
	s_delay_alu instid0(VALU_DEP_3) | instskip(SKIP_3) | instid1(VALU_DEP_2)
	v_subrev_nc_u32_e32 v11, s67, v7
	s_wait_alu 0xfffd
	v_cndmask_b32_e32 v5, v5, v9, vcc_lo
	v_cmp_le_u32_e32 vcc_lo, s62, v6
	v_xor_b32_e32 v5, v5, v8
	s_wait_alu 0xfffd
	v_cndmask_b32_e32 v4, v6, v10, vcc_lo
	v_cmp_le_u32_e32 vcc_lo, s67, v7
	s_delay_alu instid0(VALU_DEP_3) | instskip(NEXT) | instid1(VALU_DEP_3)
	v_sub_nc_u32_e32 v5, v5, v8
	v_cmp_le_u32_e64 s0, s62, v4
	s_wait_alu 0xfffd
	v_cndmask_b32_e32 v7, v7, v11, vcc_lo
	s_and_not1_b32 vcc_lo, exec_lo, s6
	s_delay_alu instid0(VALU_DEP_1)
	v_cmp_le_u32_e64 s1, s67, v7
	s_wait_alu 0xfffe
	s_cbranch_vccnz .LBB104_5
; %bb.4:                                ;   in Loop: Header=BB104_3 Depth=1
	v_ashrrev_i32_e32 v6, 31, v5
	s_mov_b32 s29, 0
.LBB104_5:                              ;   in Loop: Header=BB104_3 Depth=1
	v_subrev_nc_u32_e32 v8, s62, v4
	v_subrev_nc_u32_e32 v9, s67, v7
	v_ashrrev_i32_e32 v10, 31, v1
	v_ashrrev_i32_e32 v11, 31, v3
	v_mul_lo_u32 v1, v1, s42
	s_wait_alu 0xf1ff
	v_cndmask_b32_e64 v3, v4, v8, s0
	v_cndmask_b32_e64 v4, v7, v9, s1
	s_and_not1_b32 vcc_lo, exec_lo, s29
	s_delay_alu instid0(VALU_DEP_2) | instskip(NEXT) | instid1(VALU_DEP_2)
	v_xor_b32_e32 v8, v3, v10
	v_xor_b32_e32 v9, v4, v11
	v_mov_b32_e32 v3, 0
	v_mov_b32_e32 v4, 0
	v_sub_nc_u32_e32 v7, v0, v1
	v_sub_nc_u32_e32 v8, v8, v10
	;; [unrolled: 1-line block ×3, first 2 shown]
	s_wait_alu 0xfffe
	s_cbranch_vccnz .LBB104_19
; %bb.6:                                ;   in Loop: Header=BB104_3 Depth=1
	s_delay_alu instid0(VALU_DEP_1)
	v_mul_lo_u32 v16, v9, s16
	v_mul_lo_u32 v17, v8, s17
	v_mad_co_u64_u32 v[10:11], null, v7, s18, s[2:3]
	v_mov_b32_e32 v3, 0
	v_mov_b32_e32 v4, 0
	v_ashrrev_i32_e32 v6, 31, v5
	s_mov_b32 s1, 0
	s_mov_b64 s[50:51], s[8:9]
	s_branch .LBB104_8
.LBB104_7:                              ;   in Loop: Header=BB104_8 Depth=2
	s_add_co_i32 s1, s1, 1
	s_add_nc_u64 s[50:51], s[50:51], s[10:11]
	s_wait_alu 0xfffe
	s_cmp_eq_u32 s1, s7
	s_cbranch_scc1 .LBB104_19
.LBB104_8:                              ;   Parent Loop BB104_3 Depth=1
                                        ; =>  This Loop Header: Depth=2
                                        ;       Child Loop BB104_11 Depth 3
                                        ;         Child Loop BB104_14 Depth 4
                                        ;           Child Loop BB104_17 Depth 5
	s_and_not1_b32 vcc_lo, exec_lo, s58
	s_wait_alu 0xfffe
	s_cbranch_vccnz .LBB104_7
; %bb.9:                                ;   in Loop: Header=BB104_8 Depth=2
	v_mad_co_u64_u32 v[11:12], null, s1, s63, v[5:6]
	s_mov_b32 s29, 0
	s_mov_b64 s[52:53], s[50:51]
	v_mov_b32_e32 v1, v12
	s_delay_alu instid0(VALU_DEP_1) | instskip(SKIP_1) | instid1(VALU_DEP_2)
	v_mad_co_u64_u32 v[12:13], null, s1, s64, v[1:2]
	v_mul_lo_u32 v1, v11, s35
	v_mul_lo_u32 v13, v12, s34
	v_mad_co_u64_u32 v[11:12], null, v11, s34, 0
	s_delay_alu instid0(VALU_DEP_1)
	v_add3_u32 v12, v12, v1, v13
	s_branch .LBB104_11
.LBB104_10:                             ;   in Loop: Header=BB104_11 Depth=3
	s_add_co_i32 s29, s29, 1
	s_add_nc_u64 s[52:53], s[52:53], s[30:31]
	s_cmp_eq_u32 s29, s44
	s_cbranch_scc1 .LBB104_7
.LBB104_11:                             ;   Parent Loop BB104_3 Depth=1
                                        ;     Parent Loop BB104_8 Depth=2
                                        ; =>    This Loop Header: Depth=3
                                        ;         Child Loop BB104_14 Depth 4
                                        ;           Child Loop BB104_17 Depth 5
	s_and_not1_b32 vcc_lo, exec_lo, s59
	s_wait_alu 0xfffe
	s_cbranch_vccnz .LBB104_10
; %bb.12:                               ;   in Loop: Header=BB104_11 Depth=3
	s_mul_i32 s0, s29, s13
	s_mov_b32 s75, 0
	s_wait_alu 0xfffe
	s_sub_co_i32 s0, s0, s19
	s_mov_b64 s[54:55], s[52:53]
	s_wait_alu 0xfffe
	v_add_nc_u32_e32 v1, s0, v16
	s_delay_alu instid0(VALU_DEP_1) | instskip(SKIP_3) | instid1(VALU_DEP_3)
	v_add_co_u32 v13, vcc_lo, v11, v1
	s_wait_alu 0xfffd
	v_add_co_ci_u32_e64 v14, null, 0, v12, vcc_lo
	v_cmp_gt_i32_e32 vcc_lo, 0, v1
	v_mul_lo_u32 v19, v13, s37
	v_cmp_le_i32_e64 s0, s34, v1
	s_delay_alu instid0(VALU_DEP_4)
	v_mul_lo_u32 v18, v14, s36
	v_mad_co_u64_u32 v[13:14], null, v13, s36, 0
	s_or_b32 s76, vcc_lo, s0
	v_add3_u32 v14, v14, v19, v18
	s_branch .LBB104_14
.LBB104_13:                             ;   in Loop: Header=BB104_14 Depth=4
	s_add_co_i32 s75, s75, 1
	s_add_nc_u64 s[54:55], s[54:55], s[48:49]
	s_wait_alu 0xfffe
	s_cmp_eq_u32 s75, s46
	s_cbranch_scc1 .LBB104_10
.LBB104_14:                             ;   Parent Loop BB104_3 Depth=1
                                        ;     Parent Loop BB104_8 Depth=2
                                        ;       Parent Loop BB104_11 Depth=3
                                        ; =>      This Loop Header: Depth=4
                                        ;           Child Loop BB104_17 Depth 5
	s_and_not1_b32 vcc_lo, exec_lo, s60
	s_wait_alu 0xfffe
	s_cbranch_vccnz .LBB104_13
; %bb.15:                               ;   in Loop: Header=BB104_14 Depth=4
	s_mul_i32 s0, s75, s14
	s_mov_b64 s[56:57], s[54:55]
	s_wait_alu 0xfffe
	s_sub_co_i32 s0, s0, s28
	s_mov_b32 s78, s12
	s_wait_alu 0xfffe
	v_add_nc_u32_e32 v1, s0, v17
	s_delay_alu instid0(VALU_DEP_1) | instskip(SKIP_3) | instid1(VALU_DEP_3)
	v_add_co_u32 v18, vcc_lo, v13, v1
	s_wait_alu 0xfffd
	v_add_co_ci_u32_e64 v19, null, 0, v14, vcc_lo
	v_cmp_gt_i32_e32 vcc_lo, 0, v1
	v_mul_lo_u32 v21, v18, s39
	v_cmp_le_i32_e64 s0, s36, v1
	s_delay_alu instid0(VALU_DEP_4) | instskip(SKIP_2) | instid1(VALU_DEP_4)
	v_mul_lo_u32 v20, v19, s38
	v_mad_co_u64_u32 v[18:19], null, v18, s38, 0
	v_mov_b32_e32 v1, v10
	s_or_b32 s0, vcc_lo, s0
	s_wait_alu 0xfffe
	s_or_b32 s77, s76, s0
	s_delay_alu instid0(VALU_DEP_2) | instskip(NEXT) | instid1(VALU_DEP_1)
	v_add3_u32 v19, v19, v21, v20
	v_lshlrev_b64_e32 v[18:19], 1, v[18:19]
	s_delay_alu instid0(VALU_DEP_1) | instskip(SKIP_1) | instid1(VALU_DEP_2)
	v_add_co_u32 v18, vcc_lo, s20, v18
	s_wait_alu 0xfffd
	v_add_co_ci_u32_e64 v19, null, s21, v19, vcc_lo
	s_branch .LBB104_17
.LBB104_16:                             ;   in Loop: Header=BB104_17 Depth=5
	s_wait_alu 0xfffe
	s_or_b32 exec_lo, exec_lo, s0
	v_add_nc_u32_e32 v1, s15, v1
	s_add_co_i32 s78, s78, -1
	s_add_nc_u64 s[56:57], s[56:57], 2
	s_cmp_eq_u32 s78, 0
	s_cbranch_scc1 .LBB104_13
.LBB104_17:                             ;   Parent Loop BB104_3 Depth=1
                                        ;     Parent Loop BB104_8 Depth=2
                                        ;       Parent Loop BB104_11 Depth=3
                                        ;         Parent Loop BB104_14 Depth=4
                                        ; =>        This Inner Loop Header: Depth=5
	v_cmp_gt_i32_e32 vcc_lo, 0, v1
	v_cmp_le_i32_e64 s0, s38, v1
	s_or_b32 s0, vcc_lo, s0
	s_wait_alu 0xfffe
	s_nor_b32 s79, s77, s0
	s_delay_alu instid0(SALU_CYCLE_1)
	s_and_saveexec_b32 s0, s79
	s_cbranch_execz .LBB104_16
; %bb.18:                               ;   in Loop: Header=BB104_17 Depth=5
	v_lshlrev_b64_e32 v[20:21], 1, v[1:2]
	s_delay_alu instid0(VALU_DEP_1) | instskip(SKIP_1) | instid1(VALU_DEP_2)
	v_add_co_u32 v20, vcc_lo, v18, v20
	s_wait_alu 0xfffd
	v_add_co_ci_u32_e64 v21, null, v19, v21, vcc_lo
	global_load_u16 v20, v[20:21], off
	global_load_u16 v21, v2, s[56:57]
	s_wait_loadcnt 0x1
	v_cvt_f32_f16_e32 v20, v20
	s_wait_loadcnt 0x0
	v_cvt_f32_f16_e32 v22, v21
	s_delay_alu instid0(VALU_DEP_2) | instskip(NEXT) | instid1(VALU_DEP_2)
	v_cvt_f64_f32_e32 v[20:21], v20
	v_cvt_f64_f32_e32 v[22:23], v22
	s_delay_alu instid0(VALU_DEP_1)
	v_fma_f64 v[3:4], v[20:21], v[22:23], v[3:4]
	s_branch .LBB104_16
.LBB104_19:                             ;   in Loop: Header=BB104_3 Depth=1
	s_delay_alu instid0(VALU_DEP_1)
	v_ashrrev_i32_e32 v10, 31, v9
	v_mul_lo_u32 v1, v5, s5
	v_mul_lo_u32 v11, v6, s4
	s_and_b32 vcc_lo, exec_lo, s66
	s_mov_b32 s0, -1
	v_mad_co_u64_u32 v[5:6], null, v5, s4, v[9:10]
	v_ashrrev_i32_e32 v9, 31, v8
	s_delay_alu instid0(VALU_DEP_2) | instskip(NEXT) | instid1(VALU_DEP_2)
	v_add3_u32 v1, v11, v6, v1
	v_mad_co_u64_u32 v[9:10], null, v5, s40, v[8:9]
	v_mul_lo_u32 v5, v5, s41
	v_ashrrev_i32_e32 v8, 31, v7
	s_delay_alu instid0(VALU_DEP_4) | instskip(NEXT) | instid1(VALU_DEP_1)
	v_mul_lo_u32 v1, v1, s40
	v_add3_u32 v1, v1, v10, v5
	v_mul_lo_u32 v10, v9, s43
	s_delay_alu instid0(VALU_DEP_4) | instskip(NEXT) | instid1(VALU_DEP_3)
	v_mad_co_u64_u32 v[5:6], null, v9, s42, v[7:8]
	v_mul_lo_u32 v1, v1, s42
	s_delay_alu instid0(VALU_DEP_1)
	v_add3_u32 v6, v1, v6, v10
	s_wait_alu 0xfffe
	s_cbranch_vccz .LBB104_21
; %bb.20:                               ;   in Loop: Header=BB104_3 Depth=1
	s_delay_alu instid0(VALU_DEP_1) | instskip(SKIP_1) | instid1(VALU_DEP_1)
	v_lshlrev_b64_e32 v[7:8], 1, v[5:6]
	s_mov_b32 s0, 0
	v_add_co_u32 v7, vcc_lo, s22, v7
	s_wait_alu 0xfffd
	s_delay_alu instid0(VALU_DEP_2) | instskip(SKIP_3) | instid1(VALU_DEP_1)
	v_add_co_ci_u32_e64 v8, null, s23, v8, vcc_lo
	global_load_u16 v1, v[7:8], off
	s_wait_loadcnt 0x0
	v_cvt_f32_f16_e32 v1, v1
	v_cvt_f64_f32_e32 v[9:10], v1
	s_delay_alu instid0(VALU_DEP_1) | instskip(NEXT) | instid1(VALU_DEP_1)
	v_mul_f64_e32 v[9:10], s[26:27], v[9:10]
	v_fma_f64 v[9:10], s[24:25], v[3:4], v[9:10]
	s_delay_alu instid0(VALU_DEP_1) | instskip(SKIP_2) | instid1(VALU_DEP_3)
	v_and_or_b32 v1, 0x1ff, v10, v9
	v_lshrrev_b32_e32 v9, 8, v10
	v_bfe_u32 v11, v10, 20, 11
	v_cmp_ne_u32_e32 vcc_lo, 0, v1
	s_delay_alu instid0(VALU_DEP_2) | instskip(SKIP_3) | instid1(VALU_DEP_1)
	v_sub_nc_u32_e32 v12, 0x3f1, v11
	v_add_nc_u32_e32 v11, 0xfffffc10, v11
	s_wait_alu 0xfffd
	v_cndmask_b32_e64 v1, 0, 1, vcc_lo
	v_and_or_b32 v1, 0xffe, v9, v1
	v_med3_i32 v9, v12, 0, 13
	s_delay_alu instid0(VALU_DEP_2) | instskip(NEXT) | instid1(VALU_DEP_1)
	v_or_b32_e32 v12, 0x1000, v1
	v_lshrrev_b32_e32 v13, v9, v12
	s_delay_alu instid0(VALU_DEP_1) | instskip(NEXT) | instid1(VALU_DEP_1)
	v_lshlrev_b32_e32 v9, v9, v13
	v_cmp_ne_u32_e32 vcc_lo, v9, v12
	v_lshl_or_b32 v12, v11, 12, v1
	s_wait_alu 0xfffd
	v_cndmask_b32_e64 v9, 0, 1, vcc_lo
	v_cmp_gt_i32_e32 vcc_lo, 1, v11
	s_delay_alu instid0(VALU_DEP_2) | instskip(SKIP_1) | instid1(VALU_DEP_1)
	v_or_b32_e32 v9, v13, v9
	s_wait_alu 0xfffd
	v_cndmask_b32_e32 v9, v12, v9, vcc_lo
	s_delay_alu instid0(VALU_DEP_1) | instskip(SKIP_1) | instid1(VALU_DEP_2)
	v_and_b32_e32 v12, 7, v9
	v_lshrrev_b32_e32 v9, 2, v9
	v_cmp_lt_i32_e32 vcc_lo, 5, v12
	s_wait_alu 0xfffd
	v_cndmask_b32_e64 v13, 0, 1, vcc_lo
	v_cmp_eq_u32_e32 vcc_lo, 3, v12
	s_wait_alu 0xfffd
	v_cndmask_b32_e64 v12, 0, 1, vcc_lo
	v_cmp_ne_u32_e32 vcc_lo, 0, v1
	s_delay_alu instid0(VALU_DEP_2) | instskip(SKIP_3) | instid1(VALU_DEP_3)
	v_or_b32_e32 v12, v12, v13
	s_wait_alu 0xfffd
	v_cndmask_b32_e32 v1, 0x7c00, v15, vcc_lo
	v_cmp_gt_i32_e32 vcc_lo, 31, v11
	v_add_nc_u32_e32 v9, v9, v12
	s_wait_alu 0xfffd
	s_delay_alu instid0(VALU_DEP_1) | instskip(SKIP_2) | instid1(VALU_DEP_2)
	v_cndmask_b32_e32 v9, 0x7c00, v9, vcc_lo
	v_cmp_eq_u32_e32 vcc_lo, 0x40f, v11
	s_wait_alu 0xfffd
	v_cndmask_b32_e32 v1, v9, v1, vcc_lo
	v_lshrrev_b32_e32 v9, 16, v10
	s_delay_alu instid0(VALU_DEP_1)
	v_and_or_b32 v1, 0x8000, v9, v1
	global_store_b16 v[7:8], v1, off
.LBB104_21:                             ;   in Loop: Header=BB104_3 Depth=1
	s_wait_alu 0xfffe
	s_and_not1_b32 vcc_lo, exec_lo, s0
	s_wait_alu 0xfffe
	s_cbranch_vccnz .LBB104_2
; %bb.22:                               ;   in Loop: Header=BB104_3 Depth=1
	v_and_or_b32 v1, 0x1ff, v4, v3
	v_lshrrev_b32_e32 v3, 8, v4
	v_bfe_u32 v7, v4, 20, 11
	s_delay_alu instid0(VALU_DEP_3) | instskip(NEXT) | instid1(VALU_DEP_2)
	v_cmp_ne_u32_e32 vcc_lo, 0, v1
	v_sub_nc_u32_e32 v8, 0x3f1, v7
	v_add_nc_u32_e32 v7, 0xfffffc10, v7
	s_wait_alu 0xfffd
	v_cndmask_b32_e64 v1, 0, 1, vcc_lo
	s_delay_alu instid0(VALU_DEP_1) | instskip(SKIP_1) | instid1(VALU_DEP_2)
	v_and_or_b32 v1, 0xffe, v3, v1
	v_med3_i32 v3, v8, 0, 13
	v_or_b32_e32 v8, 0x1000, v1
	s_delay_alu instid0(VALU_DEP_1) | instskip(NEXT) | instid1(VALU_DEP_1)
	v_lshrrev_b32_e32 v9, v3, v8
	v_lshlrev_b32_e32 v3, v3, v9
	s_delay_alu instid0(VALU_DEP_1) | instskip(SKIP_4) | instid1(VALU_DEP_2)
	v_cmp_ne_u32_e32 vcc_lo, v3, v8
	v_lshl_or_b32 v8, v7, 12, v1
	s_wait_alu 0xfffd
	v_cndmask_b32_e64 v3, 0, 1, vcc_lo
	v_cmp_gt_i32_e32 vcc_lo, 1, v7
	v_or_b32_e32 v3, v9, v3
	s_wait_alu 0xfffd
	s_delay_alu instid0(VALU_DEP_1) | instskip(NEXT) | instid1(VALU_DEP_1)
	v_cndmask_b32_e32 v3, v8, v3, vcc_lo
	v_and_b32_e32 v8, 7, v3
	v_lshrrev_b32_e32 v3, 2, v3
	s_delay_alu instid0(VALU_DEP_2)
	v_cmp_lt_i32_e32 vcc_lo, 5, v8
	s_wait_alu 0xfffd
	v_cndmask_b32_e64 v9, 0, 1, vcc_lo
	v_cmp_eq_u32_e32 vcc_lo, 3, v8
	s_wait_alu 0xfffd
	v_cndmask_b32_e64 v8, 0, 1, vcc_lo
	v_cmp_ne_u32_e32 vcc_lo, 0, v1
	s_delay_alu instid0(VALU_DEP_2) | instskip(SKIP_3) | instid1(VALU_DEP_3)
	v_or_b32_e32 v8, v8, v9
	s_wait_alu 0xfffd
	v_cndmask_b32_e32 v1, 0x7c00, v15, vcc_lo
	v_cmp_gt_i32_e32 vcc_lo, 31, v7
	v_add_nc_u32_e32 v3, v3, v8
	v_lshrrev_b32_e32 v8, 16, v4
	s_wait_alu 0xfffd
	s_delay_alu instid0(VALU_DEP_2) | instskip(SKIP_2) | instid1(VALU_DEP_2)
	v_cndmask_b32_e32 v3, 0x7c00, v3, vcc_lo
	v_cmp_eq_u32_e32 vcc_lo, 0x40f, v7
	s_wait_alu 0xfffd
	v_cndmask_b32_e32 v1, v3, v1, vcc_lo
	v_lshlrev_b64_e32 v[3:4], 1, v[5:6]
	s_delay_alu instid0(VALU_DEP_2) | instskip(NEXT) | instid1(VALU_DEP_2)
	v_and_or_b32 v1, 0x8000, v8, v1
	v_add_co_u32 v3, vcc_lo, s22, v3
	s_wait_alu 0xfffd
	s_delay_alu instid0(VALU_DEP_3)
	v_add_co_ci_u32_e64 v4, null, s23, v4, vcc_lo
	global_store_b16 v[3:4], v1, off
	s_branch .LBB104_2
.LBB104_23:
	s_endpgm
	.section	.rodata,"a",@progbits
	.p2align	6, 0x0
	.amdhsa_kernel naive_conv_ab_packed_wrw_ncdhw_half_double_half_0
		.amdhsa_group_segment_fixed_size 0
		.amdhsa_private_segment_fixed_size 0
		.amdhsa_kernarg_size 528
		.amdhsa_user_sgpr_count 2
		.amdhsa_user_sgpr_dispatch_ptr 0
		.amdhsa_user_sgpr_queue_ptr 0
		.amdhsa_user_sgpr_kernarg_segment_ptr 1
		.amdhsa_user_sgpr_dispatch_id 0
		.amdhsa_user_sgpr_private_segment_size 0
		.amdhsa_wavefront_size32 1
		.amdhsa_uses_dynamic_stack 0
		.amdhsa_enable_private_segment 0
		.amdhsa_system_sgpr_workgroup_id_x 1
		.amdhsa_system_sgpr_workgroup_id_y 0
		.amdhsa_system_sgpr_workgroup_id_z 0
		.amdhsa_system_sgpr_workgroup_info 0
		.amdhsa_system_vgpr_workitem_id 0
		.amdhsa_next_free_vgpr 24
		.amdhsa_next_free_sgpr 80
		.amdhsa_reserve_vcc 1
		.amdhsa_float_round_mode_32 0
		.amdhsa_float_round_mode_16_64 0
		.amdhsa_float_denorm_mode_32 3
		.amdhsa_float_denorm_mode_16_64 3
		.amdhsa_fp16_overflow 0
		.amdhsa_workgroup_processor_mode 1
		.amdhsa_memory_ordered 1
		.amdhsa_forward_progress 1
		.amdhsa_inst_pref_size 23
		.amdhsa_round_robin_scheduling 0
		.amdhsa_exception_fp_ieee_invalid_op 0
		.amdhsa_exception_fp_denorm_src 0
		.amdhsa_exception_fp_ieee_div_zero 0
		.amdhsa_exception_fp_ieee_overflow 0
		.amdhsa_exception_fp_ieee_underflow 0
		.amdhsa_exception_fp_ieee_inexact 0
		.amdhsa_exception_int_div_zero 0
	.end_amdhsa_kernel
	.text
.Lfunc_end104:
	.size	naive_conv_ab_packed_wrw_ncdhw_half_double_half_0, .Lfunc_end104-naive_conv_ab_packed_wrw_ncdhw_half_double_half_0
                                        ; -- End function
	.set naive_conv_ab_packed_wrw_ncdhw_half_double_half_0.num_vgpr, 24
	.set naive_conv_ab_packed_wrw_ncdhw_half_double_half_0.num_agpr, 0
	.set naive_conv_ab_packed_wrw_ncdhw_half_double_half_0.numbered_sgpr, 80
	.set naive_conv_ab_packed_wrw_ncdhw_half_double_half_0.num_named_barrier, 0
	.set naive_conv_ab_packed_wrw_ncdhw_half_double_half_0.private_seg_size, 0
	.set naive_conv_ab_packed_wrw_ncdhw_half_double_half_0.uses_vcc, 1
	.set naive_conv_ab_packed_wrw_ncdhw_half_double_half_0.uses_flat_scratch, 0
	.set naive_conv_ab_packed_wrw_ncdhw_half_double_half_0.has_dyn_sized_stack, 0
	.set naive_conv_ab_packed_wrw_ncdhw_half_double_half_0.has_recursion, 0
	.set naive_conv_ab_packed_wrw_ncdhw_half_double_half_0.has_indirect_call, 0
	.section	.AMDGPU.csdata,"",@progbits
; Kernel info:
; codeLenInByte = 2864
; TotalNumSgprs: 82
; NumVgprs: 24
; ScratchSize: 0
; MemoryBound: 0
; FloatMode: 240
; IeeeMode: 1
; LDSByteSize: 0 bytes/workgroup (compile time only)
; SGPRBlocks: 0
; VGPRBlocks: 2
; NumSGPRsForWavesPerEU: 82
; NumVGPRsForWavesPerEU: 24
; Occupancy: 16
; WaveLimiterHint : 0
; COMPUTE_PGM_RSRC2:SCRATCH_EN: 0
; COMPUTE_PGM_RSRC2:USER_SGPR: 2
; COMPUTE_PGM_RSRC2:TRAP_HANDLER: 0
; COMPUTE_PGM_RSRC2:TGID_X_EN: 1
; COMPUTE_PGM_RSRC2:TGID_Y_EN: 0
; COMPUTE_PGM_RSRC2:TGID_Z_EN: 0
; COMPUTE_PGM_RSRC2:TIDIG_COMP_CNT: 0
	.text
	.protected	naive_conv_ab_nonpacked_wrw_ncdhw_half_double_half_0 ; -- Begin function naive_conv_ab_nonpacked_wrw_ncdhw_half_double_half_0
	.globl	naive_conv_ab_nonpacked_wrw_ncdhw_half_double_half_0
	.p2align	8
	.type	naive_conv_ab_nonpacked_wrw_ncdhw_half_double_half_0,@function
naive_conv_ab_nonpacked_wrw_ncdhw_half_double_half_0: ; @naive_conv_ab_nonpacked_wrw_ncdhw_half_double_half_0
; %bb.0:
	s_clause 0x2
	s_load_b512 s[4:19], s[0:1], 0xb8
	s_load_b32 s33, s[0:1], 0x108
	s_load_b128 s[28:31], s[0:1], 0xf8
	s_mov_b32 s3, exec_lo
	s_wait_kmcnt 0x0
	s_abs_i32 s73, s8
	s_delay_alu instid0(SALU_CYCLE_1) | instskip(SKIP_1) | instid1(SALU_CYCLE_1)
	s_cvt_f32_u32 s2, s73
	s_mul_i32 s35, s33, s31
	s_mul_i32 s34, s35, s30
	s_delay_alu instid0(SALU_CYCLE_1) | instskip(SKIP_1) | instid1(TRANS32_DEP_1)
	v_rcp_iflag_f32_e32 v1, s2
	s_mul_i32 s72, s34, s9
	v_readfirstlane_b32 s2, v1
	v_cmpx_gt_i32_e64 s72, v0
	s_cbranch_execz .LBB105_23
; %bb.1:
	s_mul_f32 s2, s2, 0x4f7ffffe
	s_sub_co_i32 s3, 0, s73
	s_load_b256 s[20:27], s[0:1], 0x0
	v_dual_mov_b32 v5, 0 :: v_dual_mov_b32 v6, 0x7e00
	s_cvt_u32_f32 s9, s2
	s_abs_i32 s2, ttmp9
	s_delay_alu instid0(SALU_CYCLE_2)
	s_mul_i32 s36, s3, s9
	s_mov_b32 s3, 0
	s_mul_hi_u32 s36, s9, s36
	s_wait_alu 0xfffe
	s_mov_b32 s37, s3
	s_add_co_i32 s36, s9, s36
	s_ashr_i32 s9, ttmp9, 31
	s_mul_u64 s[74:75], s[2:3], s[36:37]
	s_ashr_i32 s74, s8, 31
	s_mul_i32 s76, s75, s73
	s_clause 0x2
	s_load_b512 s[36:51], s[0:1], 0x28
	s_load_b512 s[52:67], s[0:1], 0x68
	s_load_b128 s[68:71], s[0:1], 0xa8
	s_sub_co_i32 s2, s2, s76
	s_xor_b32 s9, s9, s74
	s_add_co_i32 s74, s75, 1
	s_wait_alu 0xfffe
	s_sub_co_i32 s76, s2, s73
	s_cmp_ge_u32 s2, s73
	s_load_b32 s80, s[0:1], 0x11c
	s_cselect_b32 s74, s74, s75
	s_cselect_b32 s2, s76, s2
	s_add_co_i32 s75, s74, 1
	s_wait_alu 0xfffe
	s_cmp_ge_u32 s2, s73
	s_load_b64 s[76:77], s[0:1], 0x20
	s_cselect_b32 s2, s75, s74
	s_wait_alu 0xfffe
	s_xor_b32 s2, s2, s9
	s_wait_alu 0xfffe
	s_sub_co_i32 s0, s2, s9
	s_wait_kmcnt 0x0
	v_cmp_neq_f64_e64 s2, s[24:25], 1.0
	s_mul_i32 s8, s0, s8
	s_ashr_i32 s1, s0, 31
	s_sub_co_i32 s8, ttmp9, s8
	s_mul_u64 s[44:45], s[44:45], s[0:1]
	s_ashr_i32 s9, s8, 31
	s_mul_u64 s[58:59], s[58:59], s[0:1]
	s_mul_u64 s[0:1], s[68:69], s[0:1]
	;; [unrolled: 1-line block ×4, first 2 shown]
	s_lshl_b64 s[44:45], s[44:45], 1
	s_lshl_b64 s[78:79], s[58:59], 1
	;; [unrolled: 1-line block ×5, first 2 shown]
	v_cmp_neq_f64_e64 s58, s[26:27], 0
	s_cmp_lt_i32 s7, 1
	s_add_nc_u64 s[0:1], s[76:77], s[0:1]
	s_cselect_b32 s59, -1, 0
	s_cmp_gt_i32 s10, 0
	s_add_nc_u64 s[8:9], s[20:21], s[44:45]
	s_cselect_b32 s68, -1, 0
	s_cmp_gt_i32 s11, 0
	;; [unrolled: 3-line block ×3, first 2 shown]
	s_add_nc_u64 s[22:23], s[0:1], s[66:67]
	s_cselect_b32 s73, -1, 0
	s_abs_i32 s74, s33
	s_abs_i32 s77, s35
	s_cvt_f32_u32 s75, s74
	s_cvt_f32_u32 s0, s77
	s_abs_i32 s79, s30
	s_and_b32 s76, s80, 0xffff
	v_rcp_iflag_f32_e32 v1, s75
	s_abs_i32 s75, s31
	s_abs_i32 s80, s34
	s_wait_alu 0xfffe
	s_cvt_f32_u32 s31, s75
	s_cvt_f32_u32 s44, s80
	s_sub_co_i32 s30, 0, s74
	s_add_nc_u64 s[20:21], s[20:21], s[56:57]
	v_rcp_iflag_f32_e32 v2, s31
	s_ashr_i32 s78, s33, 31
	s_ashr_i32 s84, s35, 31
	v_readfirstlane_b32 s1, v1
	v_rcp_iflag_f32_e32 v1, s0
	s_ashr_i32 s87, s34, 31
	s_lshl_b64 s[34:35], s[64:65], 1
	s_lshl_b64 s[56:57], s[60:61], 1
	s_mul_f32 s0, s1, 0x4f7ffffe
	s_cvt_f32_u32 s1, s79
	v_readfirstlane_b32 s31, v2
	s_wait_alu 0xfffe
	s_cvt_u32_f32 s0, s0
	v_rcp_iflag_f32_e32 v2, s1
	s_or_b32 s81, s2, s58
	s_mul_f32 s1, s31, 0x4f7ffffe
	v_readfirstlane_b32 s2, v1
	v_rcp_iflag_f32_e32 v1, s44
	s_wait_alu 0xfffe
	s_mul_i32 s30, s30, s0
	s_cvt_u32_f32 s1, s1
	s_sub_co_i32 s31, 0, s75
	s_wait_alu 0xfffe
	s_mul_hi_u32 s30, s0, s30
	s_mul_f32 s2, s2, 0x4f7ffffe
	s_mul_i32 s31, s31, s1
	s_wait_alu 0xfffe
	s_add_co_i32 s82, s0, s30
	s_mul_hi_u32 s0, s1, s31
	v_readfirstlane_b32 s30, v2
	s_wait_alu 0xfffe
	s_add_co_i32 s83, s1, s0
	v_readfirstlane_b32 s1, v1
	s_cvt_u32_f32 s2, s2
	s_sub_co_i32 s0, 0, s77
	s_mul_f32 s30, s30, 0x4f7ffffe
	s_lshl_b64 s[44:45], s[62:63], 1
	s_wait_alu 0xfffe
	s_mul_i32 s0, s0, s2
	s_mul_f32 s1, s1, 0x4f7ffffe
	s_wait_alu 0xfffe
	s_mul_hi_u32 s0, s2, s0
	s_cvt_u32_f32 s30, s30
	s_wait_alu 0xfffe
	s_add_co_i32 s85, s2, s0
	s_sub_co_i32 s0, 0, s79
	s_cvt_u32_f32 s1, s1
	s_wait_alu 0xfffe
	s_mul_i32 s0, s0, s30
	s_sub_co_i32 s2, 0, s80
	s_wait_alu 0xfffe
	s_mul_hi_u32 s0, s30, s0
	s_mul_i32 s2, s2, s1
	s_wait_alu 0xfffe
	s_add_co_i32 s86, s30, s0
	s_mul_hi_u32 s0, s1, s2
	s_lshl_b64 s[30:31], s[70:71], 1
	s_wait_alu 0xfffe
	s_add_co_i32 s88, s1, s0
	s_sub_co_i32 s58, 0, s29
	s_mov_b32 s29, 0
	s_branch .LBB105_3
.LBB105_2:                              ;   in Loop: Header=BB105_3 Depth=1
	v_add_nc_u32_e32 v0, s76, v0
	s_delay_alu instid0(VALU_DEP_1) | instskip(SKIP_1) | instid1(SALU_CYCLE_1)
	v_cmp_le_i32_e32 vcc_lo, s72, v0
	s_or_b32 s29, vcc_lo, s29
	s_and_not1_b32 exec_lo, exec_lo, s29
	s_cbranch_execz .LBB105_23
.LBB105_3:                              ; =>This Loop Header: Depth=1
                                        ;     Child Loop BB105_8 Depth 2
                                        ;       Child Loop BB105_11 Depth 3
                                        ;         Child Loop BB105_14 Depth 4
                                        ;           Child Loop BB105_17 Depth 5
	v_sub_nc_u32_e32 v1, 0, v0
	v_ashrrev_i32_e32 v9, 31, v0
	s_mov_b32 s2, -1
	s_delay_alu instid0(VALU_DEP_2) | instskip(NEXT) | instid1(VALU_DEP_2)
	v_max_i32_e32 v3, v0, v1
	v_xor_b32_e32 v12, s84, v9
	s_delay_alu instid0(VALU_DEP_2) | instskip(SKIP_1) | instid1(VALU_DEP_2)
	v_mul_hi_u32 v1, v3, s82
	v_mul_hi_u32 v2, v3, s85
	v_mul_lo_u32 v4, v1, s74
	s_delay_alu instid0(VALU_DEP_2) | instskip(SKIP_1) | instid1(VALU_DEP_3)
	v_mul_lo_u32 v7, v2, s77
	v_add_nc_u32_e32 v8, 1, v1
	v_sub_nc_u32_e32 v4, v3, v4
	s_delay_alu instid0(VALU_DEP_3) | instskip(NEXT) | instid1(VALU_DEP_2)
	v_sub_nc_u32_e32 v7, v3, v7
	v_cmp_le_u32_e32 vcc_lo, s74, v4
	v_add_nc_u32_e32 v10, 1, v2
	s_delay_alu instid0(VALU_DEP_3)
	v_cmp_le_u32_e64 s0, s77, v7
	v_subrev_nc_u32_e32 v11, s77, v7
	s_wait_alu 0xfffd
	v_cndmask_b32_e32 v1, v1, v8, vcc_lo
	v_subrev_nc_u32_e32 v8, s74, v4
	s_wait_alu 0xf1ff
	v_cndmask_b32_e64 v2, v2, v10, s0
	v_cndmask_b32_e64 v7, v7, v11, s0
	v_xor_b32_e32 v10, s78, v9
	v_xor_b32_e32 v9, s87, v9
	s_delay_alu instid0(VALU_DEP_4) | instskip(SKIP_1) | instid1(VALU_DEP_2)
	v_dual_cndmask_b32 v4, v4, v8 :: v_dual_add_nc_u32 v11, 1, v2
	v_add_nc_u32_e32 v8, 1, v1
	v_cmp_le_u32_e32 vcc_lo, s74, v4
	v_mul_hi_u32 v4, v3, s88
	s_wait_alu 0xfffd
	s_delay_alu instid0(VALU_DEP_3) | instskip(SKIP_2) | instid1(VALU_DEP_3)
	v_cndmask_b32_e32 v1, v1, v8, vcc_lo
	v_cmp_le_u32_e32 vcc_lo, s77, v7
	s_wait_alu 0xfffd
	v_dual_cndmask_b32 v2, v2, v11 :: v_dual_add_nc_u32 v13, 1, v4
	s_delay_alu instid0(VALU_DEP_3) | instskip(NEXT) | instid1(VALU_DEP_2)
	v_xor_b32_e32 v1, v1, v10
	v_xor_b32_e32 v2, v2, v12
	s_delay_alu instid0(VALU_DEP_2) | instskip(SKIP_1) | instid1(VALU_DEP_3)
	v_sub_nc_u32_e32 v1, v1, v10
	v_mul_lo_u32 v10, v4, s80
	v_sub_nc_u32_e32 v2, v2, v12
	s_delay_alu instid0(VALU_DEP_3) | instskip(NEXT) | instid1(VALU_DEP_3)
	v_sub_nc_u32_e32 v7, 0, v1
	v_sub_nc_u32_e32 v3, v3, v10
	s_delay_alu instid0(VALU_DEP_3) | instskip(NEXT) | instid1(VALU_DEP_3)
	v_sub_nc_u32_e32 v8, 0, v2
	v_max_i32_e32 v7, v1, v7
	s_delay_alu instid0(VALU_DEP_3) | instskip(NEXT) | instid1(VALU_DEP_3)
	v_cmp_le_u32_e32 vcc_lo, s80, v3
	v_max_i32_e32 v8, v2, v8
	s_delay_alu instid0(VALU_DEP_3) | instskip(SKIP_2) | instid1(VALU_DEP_3)
	v_mul_hi_u32 v11, v7, s83
	s_wait_alu 0xfffd
	v_cndmask_b32_e32 v4, v4, v13, vcc_lo
	v_mul_hi_u32 v12, v8, s86
	s_delay_alu instid0(VALU_DEP_3) | instskip(NEXT) | instid1(VALU_DEP_2)
	v_mul_lo_u32 v10, v11, s75
	v_mul_lo_u32 v11, v12, s79
	v_subrev_nc_u32_e32 v12, s80, v3
	s_delay_alu instid0(VALU_DEP_3) | instskip(SKIP_1) | instid1(VALU_DEP_3)
	v_sub_nc_u32_e32 v7, v7, v10
	v_add_nc_u32_e32 v10, 1, v4
	v_cndmask_b32_e32 v3, v3, v12, vcc_lo
	v_sub_nc_u32_e32 v8, v8, v11
	s_delay_alu instid0(VALU_DEP_4) | instskip(NEXT) | instid1(VALU_DEP_3)
	v_subrev_nc_u32_e32 v11, s75, v7
	v_cmp_le_u32_e32 vcc_lo, s80, v3
	s_delay_alu instid0(VALU_DEP_3)
	v_subrev_nc_u32_e32 v12, s79, v8
	s_wait_alu 0xfffd
	v_cndmask_b32_e32 v10, v4, v10, vcc_lo
	v_cmp_le_u32_e32 vcc_lo, s75, v7
	s_wait_alu 0xfffd
	v_cndmask_b32_e32 v3, v7, v11, vcc_lo
	v_cmp_le_u32_e32 vcc_lo, s79, v8
	v_xor_b32_e32 v7, v10, v9
	s_delay_alu instid0(VALU_DEP_3) | instskip(SKIP_2) | instid1(VALU_DEP_3)
	v_cmp_le_u32_e64 s0, s75, v3
	s_wait_alu 0xfffd
	v_cndmask_b32_e32 v4, v8, v12, vcc_lo
	v_sub_nc_u32_e32 v7, v7, v9
	s_and_not1_b32 vcc_lo, exec_lo, s59
                                        ; implicit-def: $vgpr8
	s_delay_alu instid0(VALU_DEP_2)
	v_cmp_le_u32_e64 s1, s79, v4
	s_wait_alu 0xfffe
	s_cbranch_vccnz .LBB105_5
; %bb.4:                                ;   in Loop: Header=BB105_3 Depth=1
	v_ashrrev_i32_e32 v8, 31, v7
	s_mov_b32 s2, 0
.LBB105_5:                              ;   in Loop: Header=BB105_3 Depth=1
	v_subrev_nc_u32_e32 v9, s75, v3
	v_subrev_nc_u32_e32 v10, s79, v4
	v_ashrrev_i32_e32 v12, 31, v1
	v_ashrrev_i32_e32 v13, 31, v2
	s_wait_alu 0xfffe
	s_and_not1_b32 vcc_lo, exec_lo, s2
	v_cndmask_b32_e64 v2, v3, v9, s0
	v_cndmask_b32_e64 v3, v4, v10, s1
	v_mul_lo_u32 v4, v1, s33
	s_delay_alu instid0(VALU_DEP_3) | instskip(NEXT) | instid1(VALU_DEP_3)
	v_xor_b32_e32 v9, v2, v12
	v_xor_b32_e32 v3, v3, v13
	v_mov_b32_e32 v1, 0
	v_mov_b32_e32 v2, 0
	v_sub_nc_u32_e32 v11, v0, v4
	v_sub_nc_u32_e32 v10, v9, v12
	;; [unrolled: 1-line block ×3, first 2 shown]
	s_wait_alu 0xfffe
	s_cbranch_vccnz .LBB105_19
; %bb.6:                                ;   in Loop: Header=BB105_3 Depth=1
	v_ashrrev_i32_e32 v8, 31, v7
	v_mul_lo_u32 v3, s43, v7
	v_mad_co_u64_u32 v[1:2], null, s42, v7, 0
	v_mul_lo_u32 v12, v9, s16
	s_delay_alu instid0(VALU_DEP_4) | instskip(SKIP_3) | instid1(VALU_DEP_2)
	v_mul_lo_u32 v4, s42, v8
	v_mul_lo_u32 v13, v10, s17
	s_mov_b32 s2, 0
	s_mov_b64 s[60:61], s[22:23]
	v_add3_u32 v2, v2, v4, v3
	v_mad_co_u64_u32 v[3:4], null, v11, s18, s[58:59]
	s_delay_alu instid0(VALU_DEP_2) | instskip(SKIP_2) | instid1(VALU_DEP_3)
	v_lshlrev_b64_e32 v[14:15], 1, v[1:2]
	v_mov_b32_e32 v1, 0
	v_mov_b32_e32 v2, 0
	v_add_co_u32 v4, vcc_lo, s8, v14
	s_wait_alu 0xfffd
	s_delay_alu instid0(VALU_DEP_4)
	v_add_co_ci_u32_e64 v14, null, s9, v15, vcc_lo
	s_branch .LBB105_8
.LBB105_7:                              ;   in Loop: Header=BB105_8 Depth=2
	s_add_co_i32 s2, s2, 1
	s_add_nc_u64 s[60:61], s[60:61], s[30:31]
	s_wait_alu 0xfffe
	s_cmp_eq_u32 s2, s7
	s_cbranch_scc1 .LBB105_19
.LBB105_8:                              ;   Parent Loop BB105_3 Depth=1
                                        ; =>  This Loop Header: Depth=2
                                        ;       Child Loop BB105_11 Depth 3
                                        ;         Child Loop BB105_14 Depth 4
                                        ;           Child Loop BB105_17 Depth 5
	s_and_not1_b32 vcc_lo, exec_lo, s68
	s_wait_alu 0xfffe
	s_cbranch_vccnz .LBB105_7
; %bb.9:                                ;   in Loop: Header=BB105_8 Depth=2
	s_mul_u64 s[0:1], s[46:47], s[2:3]
	s_mov_b32 s70, 0
	s_wait_alu 0xfffe
	s_lshl_b64 s[0:1], s[0:1], 1
	s_mov_b64 s[62:63], s[60:61]
	s_wait_alu 0xfffe
	v_add_co_u32 v15, vcc_lo, v4, s0
	s_wait_alu 0xfffd
	v_add_co_ci_u32_e64 v16, null, s1, v14, vcc_lo
	s_branch .LBB105_11
.LBB105_10:                             ;   in Loop: Header=BB105_11 Depth=3
	s_add_co_i32 s70, s70, 1
	s_add_nc_u64 s[62:63], s[62:63], s[34:35]
	s_cmp_eq_u32 s70, s10
	s_cbranch_scc1 .LBB105_7
.LBB105_11:                             ;   Parent Loop BB105_3 Depth=1
                                        ;     Parent Loop BB105_8 Depth=2
                                        ; =>    This Loop Header: Depth=3
                                        ;         Child Loop BB105_14 Depth 4
                                        ;           Child Loop BB105_17 Depth 5
	s_and_not1_b32 vcc_lo, exec_lo, s69
	s_wait_alu 0xfffe
	s_cbranch_vccnz .LBB105_10
; %bb.12:                               ;   in Loop: Header=BB105_11 Depth=3
	s_mul_i32 s0, s70, s13
	s_mov_b64 s[64:65], s[62:63]
	s_wait_alu 0xfffe
	s_sub_co_i32 s0, s0, s19
	s_wait_alu 0xfffe
	v_add_nc_u32_e32 v20, s0, v12
	s_delay_alu instid0(VALU_DEP_1) | instskip(SKIP_4) | instid1(VALU_DEP_1)
	v_mad_co_u64_u32 v[17:18], null, s40, v20, 0
	v_cmp_gt_i32_e32 vcc_lo, 0, v20
	v_cmp_le_i32_e64 s0, s4, v20
	s_or_b32 s71, vcc_lo, s0
	v_mad_co_u64_u32 v[18:19], null, s41, v20, v[18:19]
	v_lshlrev_b64_e32 v[17:18], 1, v[17:18]
	s_delay_alu instid0(VALU_DEP_1) | instskip(SKIP_1) | instid1(VALU_DEP_2)
	v_add_co_u32 v17, s1, v15, v17
	s_wait_alu 0xf1ff
	v_add_co_ci_u32_e64 v18, null, v16, v18, s1
	s_mov_b32 s1, 0
	s_branch .LBB105_14
.LBB105_13:                             ;   in Loop: Header=BB105_14 Depth=4
	s_add_co_i32 s1, s1, 1
	s_add_nc_u64 s[64:65], s[64:65], s[44:45]
	s_wait_alu 0xfffe
	s_cmp_eq_u32 s1, s11
	s_cbranch_scc1 .LBB105_10
.LBB105_14:                             ;   Parent Loop BB105_3 Depth=1
                                        ;     Parent Loop BB105_8 Depth=2
                                        ;       Parent Loop BB105_11 Depth=3
                                        ; =>      This Loop Header: Depth=4
                                        ;           Child Loop BB105_17 Depth 5
	s_and_not1_b32 vcc_lo, exec_lo, s73
	s_wait_alu 0xfffe
	s_cbranch_vccnz .LBB105_13
; %bb.15:                               ;   in Loop: Header=BB105_14 Depth=4
	s_mul_i32 s0, s1, s14
	s_mov_b64 s[66:67], s[64:65]
	s_wait_alu 0xfffe
	s_sub_co_i32 s0, s0, s28
	s_mov_b32 s90, s12
	s_wait_alu 0xfffe
	v_add_nc_u32_e32 v22, s0, v13
	s_delay_alu instid0(VALU_DEP_1) | instskip(NEXT) | instid1(VALU_DEP_1)
	v_mad_co_u64_u32 v[19:20], null, s38, v22, 0
	v_mad_co_u64_u32 v[20:21], null, s39, v22, v[20:21]
	v_mov_b32_e32 v21, v3
	v_cmp_gt_i32_e32 vcc_lo, 0, v22
	v_cmp_le_i32_e64 s0, s5, v22
	s_delay_alu instid0(VALU_DEP_4) | instskip(SKIP_3) | instid1(VALU_DEP_1)
	v_lshlrev_b64_e32 v[19:20], 1, v[19:20]
	s_or_b32 s0, vcc_lo, s0
	s_wait_alu 0xfffe
	s_or_b32 s89, s71, s0
	v_add_co_u32 v19, vcc_lo, v17, v19
	s_wait_alu 0xfffd
	v_add_co_ci_u32_e64 v20, null, v18, v20, vcc_lo
	s_branch .LBB105_17
.LBB105_16:                             ;   in Loop: Header=BB105_17 Depth=5
	s_wait_alu 0xfffe
	s_or_b32 exec_lo, exec_lo, s0
	v_add_nc_u32_e32 v21, s15, v21
	s_add_co_i32 s90, s90, -1
	s_add_nc_u64 s[66:67], s[66:67], s[56:57]
	s_cmp_eq_u32 s90, 0
	s_cbranch_scc1 .LBB105_13
.LBB105_17:                             ;   Parent Loop BB105_3 Depth=1
                                        ;     Parent Loop BB105_8 Depth=2
                                        ;       Parent Loop BB105_11 Depth=3
                                        ;         Parent Loop BB105_14 Depth=4
                                        ; =>        This Inner Loop Header: Depth=5
	v_cmp_gt_i32_e32 vcc_lo, 0, v21
	v_cmp_le_i32_e64 s0, s6, v21
	s_or_b32 s0, vcc_lo, s0
	s_wait_alu 0xfffe
	s_nor_b32 s91, s89, s0
	s_delay_alu instid0(SALU_CYCLE_1)
	s_and_saveexec_b32 s0, s91
	s_cbranch_execz .LBB105_16
; %bb.18:                               ;   in Loop: Header=BB105_17 Depth=5
	v_mad_co_u64_u32 v[22:23], null, s36, v21, 0
	s_delay_alu instid0(VALU_DEP_1) | instskip(NEXT) | instid1(VALU_DEP_1)
	v_mad_co_u64_u32 v[23:24], null, s37, v21, v[23:24]
	v_lshlrev_b64_e32 v[22:23], 1, v[22:23]
	s_delay_alu instid0(VALU_DEP_1) | instskip(SKIP_1) | instid1(VALU_DEP_2)
	v_add_co_u32 v22, vcc_lo, v19, v22
	s_wait_alu 0xfffd
	v_add_co_ci_u32_e64 v23, null, v20, v23, vcc_lo
	global_load_u16 v22, v[22:23], off
	global_load_u16 v23, v5, s[66:67]
	s_wait_loadcnt 0x1
	v_cvt_f32_f16_e32 v22, v22
	s_wait_loadcnt 0x0
	v_cvt_f32_f16_e32 v24, v23
	s_delay_alu instid0(VALU_DEP_2) | instskip(NEXT) | instid1(VALU_DEP_2)
	v_cvt_f64_f32_e32 v[22:23], v22
	v_cvt_f64_f32_e32 v[24:25], v24
	s_delay_alu instid0(VALU_DEP_1)
	v_fma_f64 v[1:2], v[22:23], v[24:25], v[1:2]
	s_branch .LBB105_16
.LBB105_19:                             ;   in Loop: Header=BB105_3 Depth=1
	v_ashrrev_i32_e32 v12, 31, v11
	v_mul_lo_u32 v13, s49, v11
	v_mad_co_u64_u32 v[3:4], null, s48, v11, 0
	v_mul_lo_u32 v8, v8, s54
	s_delay_alu instid0(VALU_DEP_4) | instskip(SKIP_3) | instid1(VALU_DEP_1)
	v_mul_lo_u32 v11, s48, v12
	v_ashrrev_i32_e32 v12, 31, v10
	s_and_b32 vcc_lo, exec_lo, s81
	s_mov_b32 s0, -1
	v_mul_lo_u32 v12, s50, v12
	s_delay_alu instid0(VALU_DEP_3) | instskip(SKIP_1) | instid1(VALU_DEP_2)
	v_add3_u32 v4, v4, v11, v13
	v_mul_lo_u32 v11, s51, v10
	v_mad_co_u64_u32 v[3:4], null, s50, v10, v[3:4]
	v_ashrrev_i32_e32 v10, 31, v9
	s_delay_alu instid0(VALU_DEP_1) | instskip(NEXT) | instid1(VALU_DEP_3)
	v_mul_lo_u32 v10, s52, v10
	v_add3_u32 v4, v11, v4, v12
	v_mul_lo_u32 v11, s53, v9
	s_delay_alu instid0(VALU_DEP_2) | instskip(SKIP_1) | instid1(VALU_DEP_2)
	v_mad_co_u64_u32 v[3:4], null, s52, v9, v[3:4]
	v_mul_lo_u32 v9, v7, s55
	v_add3_u32 v4, v11, v4, v10
	s_delay_alu instid0(VALU_DEP_1) | instskip(NEXT) | instid1(VALU_DEP_1)
	v_mad_co_u64_u32 v[3:4], null, v7, s54, v[3:4]
	v_add3_u32 v4, v8, v4, v9
	s_wait_alu 0xfffe
	s_cbranch_vccz .LBB105_21
; %bb.20:                               ;   in Loop: Header=BB105_3 Depth=1
	s_delay_alu instid0(VALU_DEP_1) | instskip(SKIP_1) | instid1(VALU_DEP_1)
	v_lshlrev_b64_e32 v[7:8], 1, v[3:4]
	s_mov_b32 s0, 0
	v_add_co_u32 v7, vcc_lo, s20, v7
	s_wait_alu 0xfffd
	s_delay_alu instid0(VALU_DEP_2) | instskip(SKIP_3) | instid1(VALU_DEP_1)
	v_add_co_ci_u32_e64 v8, null, s21, v8, vcc_lo
	global_load_u16 v9, v[7:8], off
	s_wait_loadcnt 0x0
	v_cvt_f32_f16_e32 v9, v9
	v_cvt_f64_f32_e32 v[9:10], v9
	s_delay_alu instid0(VALU_DEP_1) | instskip(NEXT) | instid1(VALU_DEP_1)
	v_mul_f64_e32 v[9:10], s[26:27], v[9:10]
	v_fma_f64 v[9:10], s[24:25], v[1:2], v[9:10]
	s_delay_alu instid0(VALU_DEP_1) | instskip(SKIP_3) | instid1(VALU_DEP_4)
	v_and_or_b32 v9, 0x1ff, v10, v9
	v_lshrrev_b32_e32 v11, 8, v10
	v_bfe_u32 v12, v10, 20, 11
	v_lshrrev_b32_e32 v10, 16, v10
	v_cmp_ne_u32_e32 vcc_lo, 0, v9
	s_delay_alu instid0(VALU_DEP_3) | instskip(SKIP_2) | instid1(VALU_DEP_1)
	v_sub_nc_u32_e32 v13, 0x3f1, v12
	s_wait_alu 0xfffd
	v_cndmask_b32_e64 v9, 0, 1, vcc_lo
	v_and_or_b32 v9, 0xffe, v11, v9
	s_delay_alu instid0(VALU_DEP_3) | instskip(NEXT) | instid1(VALU_DEP_2)
	v_med3_i32 v11, v13, 0, 13
	v_or_b32_e32 v13, 0x1000, v9
	s_delay_alu instid0(VALU_DEP_1) | instskip(NEXT) | instid1(VALU_DEP_1)
	v_lshrrev_b32_e32 v14, v11, v13
	v_lshlrev_b32_e32 v11, v11, v14
	s_delay_alu instid0(VALU_DEP_1) | instskip(SKIP_2) | instid1(VALU_DEP_1)
	v_cmp_ne_u32_e32 vcc_lo, v11, v13
	s_wait_alu 0xfffd
	v_cndmask_b32_e64 v11, 0, 1, vcc_lo
	v_or_b32_e32 v11, v14, v11
	v_add_nc_u32_e32 v12, 0xfffffc10, v12
	s_delay_alu instid0(VALU_DEP_1) | instskip(SKIP_2) | instid1(VALU_DEP_2)
	v_lshl_or_b32 v13, v12, 12, v9
	v_cmp_gt_i32_e32 vcc_lo, 1, v12
	s_wait_alu 0xfffd
	v_cndmask_b32_e32 v11, v13, v11, vcc_lo
	s_delay_alu instid0(VALU_DEP_1) | instskip(SKIP_1) | instid1(VALU_DEP_2)
	v_and_b32_e32 v13, 7, v11
	v_lshrrev_b32_e32 v11, 2, v11
	v_cmp_lt_i32_e32 vcc_lo, 5, v13
	s_wait_alu 0xfffd
	v_cndmask_b32_e64 v14, 0, 1, vcc_lo
	v_cmp_eq_u32_e32 vcc_lo, 3, v13
	s_wait_alu 0xfffd
	v_cndmask_b32_e64 v13, 0, 1, vcc_lo
	v_cmp_ne_u32_e32 vcc_lo, 0, v9
	s_delay_alu instid0(VALU_DEP_2) | instskip(SKIP_3) | instid1(VALU_DEP_3)
	v_or_b32_e32 v13, v13, v14
	s_wait_alu 0xfffd
	v_cndmask_b32_e32 v9, 0x7c00, v6, vcc_lo
	v_cmp_gt_i32_e32 vcc_lo, 31, v12
	v_add_nc_u32_e32 v11, v11, v13
	s_wait_alu 0xfffd
	s_delay_alu instid0(VALU_DEP_1) | instskip(SKIP_2) | instid1(VALU_DEP_2)
	v_cndmask_b32_e32 v11, 0x7c00, v11, vcc_lo
	v_cmp_eq_u32_e32 vcc_lo, 0x40f, v12
	s_wait_alu 0xfffd
	v_cndmask_b32_e32 v9, v11, v9, vcc_lo
	s_delay_alu instid0(VALU_DEP_1)
	v_and_or_b32 v9, 0x8000, v10, v9
	global_store_b16 v[7:8], v9, off
.LBB105_21:                             ;   in Loop: Header=BB105_3 Depth=1
	s_wait_alu 0xfffe
	s_and_not1_b32 vcc_lo, exec_lo, s0
	s_wait_alu 0xfffe
	s_cbranch_vccnz .LBB105_2
; %bb.22:                               ;   in Loop: Header=BB105_3 Depth=1
	v_and_or_b32 v1, 0x1ff, v2, v1
	v_lshrrev_b32_e32 v7, 8, v2
	v_bfe_u32 v8, v2, 20, 11
	s_delay_alu instid0(VALU_DEP_3) | instskip(NEXT) | instid1(VALU_DEP_2)
	v_cmp_ne_u32_e32 vcc_lo, 0, v1
	v_sub_nc_u32_e32 v9, 0x3f1, v8
	s_wait_alu 0xfffd
	v_cndmask_b32_e64 v1, 0, 1, vcc_lo
	s_delay_alu instid0(VALU_DEP_1) | instskip(NEXT) | instid1(VALU_DEP_3)
	v_and_or_b32 v1, 0xffe, v7, v1
	v_med3_i32 v7, v9, 0, 13
	s_delay_alu instid0(VALU_DEP_2) | instskip(NEXT) | instid1(VALU_DEP_1)
	v_or_b32_e32 v9, 0x1000, v1
	v_lshrrev_b32_e32 v10, v7, v9
	s_delay_alu instid0(VALU_DEP_1) | instskip(NEXT) | instid1(VALU_DEP_1)
	v_lshlrev_b32_e32 v7, v7, v10
	v_cmp_ne_u32_e32 vcc_lo, v7, v9
	s_wait_alu 0xfffd
	v_cndmask_b32_e64 v7, 0, 1, vcc_lo
	s_delay_alu instid0(VALU_DEP_1) | instskip(SKIP_1) | instid1(VALU_DEP_1)
	v_or_b32_e32 v7, v10, v7
	v_add_nc_u32_e32 v8, 0xfffffc10, v8
	v_lshl_or_b32 v9, v8, 12, v1
	v_cmp_gt_i32_e32 vcc_lo, 1, v8
	s_wait_alu 0xfffd
	s_delay_alu instid0(VALU_DEP_2) | instskip(NEXT) | instid1(VALU_DEP_1)
	v_cndmask_b32_e32 v7, v9, v7, vcc_lo
	v_and_b32_e32 v9, 7, v7
	v_lshrrev_b32_e32 v7, 2, v7
	s_delay_alu instid0(VALU_DEP_2)
	v_cmp_lt_i32_e32 vcc_lo, 5, v9
	s_wait_alu 0xfffd
	v_cndmask_b32_e64 v10, 0, 1, vcc_lo
	v_cmp_eq_u32_e32 vcc_lo, 3, v9
	s_wait_alu 0xfffd
	v_cndmask_b32_e64 v9, 0, 1, vcc_lo
	v_cmp_ne_u32_e32 vcc_lo, 0, v1
	s_delay_alu instid0(VALU_DEP_2) | instskip(SKIP_3) | instid1(VALU_DEP_3)
	v_or_b32_e32 v9, v9, v10
	s_wait_alu 0xfffd
	v_cndmask_b32_e32 v1, 0x7c00, v6, vcc_lo
	v_cmp_gt_i32_e32 vcc_lo, 31, v8
	v_add_nc_u32_e32 v7, v7, v9
	v_lshrrev_b32_e32 v9, 16, v2
	s_wait_alu 0xfffd
	s_delay_alu instid0(VALU_DEP_2) | instskip(SKIP_2) | instid1(VALU_DEP_2)
	v_cndmask_b32_e32 v7, 0x7c00, v7, vcc_lo
	v_cmp_eq_u32_e32 vcc_lo, 0x40f, v8
	s_wait_alu 0xfffd
	v_cndmask_b32_e32 v7, v7, v1, vcc_lo
	v_lshlrev_b64_e32 v[1:2], 1, v[3:4]
	s_delay_alu instid0(VALU_DEP_2) | instskip(NEXT) | instid1(VALU_DEP_2)
	v_and_or_b32 v3, 0x8000, v9, v7
	v_add_co_u32 v1, vcc_lo, s20, v1
	s_wait_alu 0xfffd
	s_delay_alu instid0(VALU_DEP_3)
	v_add_co_ci_u32_e64 v2, null, s21, v2, vcc_lo
	global_store_b16 v[1:2], v3, off
	s_branch .LBB105_2
.LBB105_23:
	s_endpgm
	.section	.rodata,"a",@progbits
	.p2align	6, 0x0
	.amdhsa_kernel naive_conv_ab_nonpacked_wrw_ncdhw_half_double_half_0
		.amdhsa_group_segment_fixed_size 0
		.amdhsa_private_segment_fixed_size 0
		.amdhsa_kernarg_size 528
		.amdhsa_user_sgpr_count 2
		.amdhsa_user_sgpr_dispatch_ptr 0
		.amdhsa_user_sgpr_queue_ptr 0
		.amdhsa_user_sgpr_kernarg_segment_ptr 1
		.amdhsa_user_sgpr_dispatch_id 0
		.amdhsa_user_sgpr_private_segment_size 0
		.amdhsa_wavefront_size32 1
		.amdhsa_uses_dynamic_stack 0
		.amdhsa_enable_private_segment 0
		.amdhsa_system_sgpr_workgroup_id_x 1
		.amdhsa_system_sgpr_workgroup_id_y 0
		.amdhsa_system_sgpr_workgroup_id_z 0
		.amdhsa_system_sgpr_workgroup_info 0
		.amdhsa_system_vgpr_workitem_id 0
		.amdhsa_next_free_vgpr 26
		.amdhsa_next_free_sgpr 92
		.amdhsa_reserve_vcc 1
		.amdhsa_float_round_mode_32 0
		.amdhsa_float_round_mode_16_64 0
		.amdhsa_float_denorm_mode_32 3
		.amdhsa_float_denorm_mode_16_64 3
		.amdhsa_fp16_overflow 0
		.amdhsa_workgroup_processor_mode 1
		.amdhsa_memory_ordered 1
		.amdhsa_forward_progress 1
		.amdhsa_inst_pref_size 23
		.amdhsa_round_robin_scheduling 0
		.amdhsa_exception_fp_ieee_invalid_op 0
		.amdhsa_exception_fp_denorm_src 0
		.amdhsa_exception_fp_ieee_div_zero 0
		.amdhsa_exception_fp_ieee_overflow 0
		.amdhsa_exception_fp_ieee_underflow 0
		.amdhsa_exception_fp_ieee_inexact 0
		.amdhsa_exception_int_div_zero 0
	.end_amdhsa_kernel
	.text
.Lfunc_end105:
	.size	naive_conv_ab_nonpacked_wrw_ncdhw_half_double_half_0, .Lfunc_end105-naive_conv_ab_nonpacked_wrw_ncdhw_half_double_half_0
                                        ; -- End function
	.set naive_conv_ab_nonpacked_wrw_ncdhw_half_double_half_0.num_vgpr, 26
	.set naive_conv_ab_nonpacked_wrw_ncdhw_half_double_half_0.num_agpr, 0
	.set naive_conv_ab_nonpacked_wrw_ncdhw_half_double_half_0.numbered_sgpr, 92
	.set naive_conv_ab_nonpacked_wrw_ncdhw_half_double_half_0.num_named_barrier, 0
	.set naive_conv_ab_nonpacked_wrw_ncdhw_half_double_half_0.private_seg_size, 0
	.set naive_conv_ab_nonpacked_wrw_ncdhw_half_double_half_0.uses_vcc, 1
	.set naive_conv_ab_nonpacked_wrw_ncdhw_half_double_half_0.uses_flat_scratch, 0
	.set naive_conv_ab_nonpacked_wrw_ncdhw_half_double_half_0.has_dyn_sized_stack, 0
	.set naive_conv_ab_nonpacked_wrw_ncdhw_half_double_half_0.has_recursion, 0
	.set naive_conv_ab_nonpacked_wrw_ncdhw_half_double_half_0.has_indirect_call, 0
	.section	.AMDGPU.csdata,"",@progbits
; Kernel info:
; codeLenInByte = 2820
; TotalNumSgprs: 94
; NumVgprs: 26
; ScratchSize: 0
; MemoryBound: 0
; FloatMode: 240
; IeeeMode: 1
; LDSByteSize: 0 bytes/workgroup (compile time only)
; SGPRBlocks: 0
; VGPRBlocks: 3
; NumSGPRsForWavesPerEU: 94
; NumVGPRsForWavesPerEU: 26
; Occupancy: 16
; WaveLimiterHint : 0
; COMPUTE_PGM_RSRC2:SCRATCH_EN: 0
; COMPUTE_PGM_RSRC2:USER_SGPR: 2
; COMPUTE_PGM_RSRC2:TRAP_HANDLER: 0
; COMPUTE_PGM_RSRC2:TGID_X_EN: 1
; COMPUTE_PGM_RSRC2:TGID_Y_EN: 0
; COMPUTE_PGM_RSRC2:TGID_Z_EN: 0
; COMPUTE_PGM_RSRC2:TIDIG_COMP_CNT: 0
	.text
	.protected	naive_conv_ab_packed_wrw_ncdhw_ushort_double_ushort_0 ; -- Begin function naive_conv_ab_packed_wrw_ncdhw_ushort_double_ushort_0
	.globl	naive_conv_ab_packed_wrw_ncdhw_ushort_double_ushort_0
	.p2align	8
	.type	naive_conv_ab_packed_wrw_ncdhw_ushort_double_ushort_0,@function
naive_conv_ab_packed_wrw_ncdhw_ushort_double_ushort_0: ; @naive_conv_ab_packed_wrw_ncdhw_ushort_double_ushort_0
; %bb.0:
	s_clause 0x2
	s_load_b512 s[4:19], s[0:1], 0xb8
	s_load_b64 s[48:49], s[0:1], 0x108
	s_load_b128 s[28:31], s[0:1], 0xf8
	s_mov_b32 s3, exec_lo
	s_wait_kmcnt 0x0
	s_abs_i32 s35, s8
	s_delay_alu instid0(SALU_CYCLE_1) | instskip(SKIP_1) | instid1(SALU_CYCLE_1)
	s_cvt_f32_u32 s2, s35
	s_mul_i32 s55, s48, s31
	s_mul_i32 s54, s55, s30
	s_delay_alu instid0(SALU_CYCLE_1) | instskip(SKIP_1) | instid1(TRANS32_DEP_1)
	v_rcp_iflag_f32_e32 v1, s2
	s_mul_i32 s33, s54, s9
	v_readfirstlane_b32 s2, v1
	v_cmpx_gt_i32_e64 s33, v0
	s_cbranch_execz .LBB106_23
; %bb.1:
	s_mul_f32 s2, s2, 0x4f7ffffe
	s_sub_co_i32 s3, 0, s35
	s_load_b256 s[20:27], s[0:1], 0x0
	s_ashr_i32 s38, ttmp9, 31
	s_cvt_u32_f32 s34, s2
	s_abs_i32 s2, ttmp9
	s_ashr_i32 s41, s8, 31
	s_mov_b32 s42, s9
	s_mul_i32 s36, s3, s34
	s_mov_b32 s3, 0
	s_mul_hi_u32 s36, s34, s36
	s_wait_alu 0xfffe
	s_mov_b32 s37, s3
	s_add_co_i32 s36, s34, s36
	s_xor_b32 s44, s38, s41
	s_mul_u64 s[36:37], s[2:3], s[36:37]
	s_mov_b32 s34, s4
	s_mul_i32 s39, s37, s35
	s_mov_b32 s36, s5
	s_sub_co_i32 s2, s2, s39
	s_add_co_i32 s39, s37, 1
	s_wait_alu 0xfffe
	s_sub_co_i32 s40, s2, s35
	s_cmp_ge_u32 s2, s35
	s_mov_b32 s38, s6
	s_cselect_b32 s37, s39, s37
	s_cselect_b32 s2, s40, s2
	s_add_co_i32 s39, s37, 1
	s_wait_alu 0xfffe
	s_cmp_ge_u32 s2, s35
	s_mov_b32 s40, s8
	s_cselect_b32 s2, s39, s37
	s_ashr_i32 s35, s4, 31
	s_ashr_i32 s37, s5, 31
	s_wait_alu 0xfffe
	s_xor_b32 s2, s2, s44
	s_mul_u64 s[4:5], s[36:37], s[34:35]
	s_ashr_i32 s39, s6, 31
	s_wait_alu 0xfffe
	s_sub_co_i32 s44, s2, s44
	s_ashr_i32 s43, s9, 31
	s_mul_u64 s[4:5], s[4:5], s[38:39]
	s_mul_i32 s2, s44, s8
	s_ashr_i32 s45, s44, 31
	s_mul_u64 s[52:53], s[4:5], s[42:43]
	s_ashr_i32 s5, s30, 31
	s_mov_b32 s4, s30
	s_wait_alu 0xfffe
	s_sub_co_i32 s46, ttmp9, s2
	s_wait_kmcnt 0x0
	v_cmp_neq_f64_e64 s2, s[24:25], 1.0
	v_cmp_neq_f64_e64 s66, s[26:27], 0
	s_mul_u64 s[50:51], s[44:45], s[40:41]
	s_ashr_i32 s41, s31, 31
	s_mul_u64 s[56:57], s[4:5], s[42:43]
	s_mov_b32 s40, s31
	s_ashr_i32 s43, s48, 31
	s_mov_b32 s42, s48
	s_ashr_i32 s47, s46, 31
	s_mul_u64 s[56:57], s[56:57], s[40:41]
	s_add_nc_u64 s[50:51], s[50:51], s[46:47]
	s_mul_u64 s[46:47], s[56:57], s[42:43]
	s_mul_u64 s[44:45], s[52:53], s[44:45]
	;; [unrolled: 1-line block ×3, first 2 shown]
	s_lshl_b64 s[56:57], s[44:45], 1
	s_lshl_b64 s[62:63], s[46:47], 1
	s_ashr_i32 s45, s10, 31
	s_ashr_i32 s47, s11, 31
	;; [unrolled: 1-line block ×3, first 2 shown]
	s_cmp_lt_i32 s7, 1
	s_add_nc_u64 s[22:23], s[22:23], s[62:63]
	s_cselect_b32 s6, -1, 0
	s_cmp_gt_i32 s10, 0
	s_mul_i32 s63, s49, s9
	s_cselect_b32 s58, -1, 0
	s_cmp_gt_i32 s11, 0
	s_mov_b32 s46, s11
	s_cselect_b32 s59, -1, 0
	s_cmp_gt_i32 s12, 0
	s_add_nc_u64 s[20:21], s[20:21], s[56:57]
	s_cselect_b32 s60, -1, 0
	s_abs_i32 s61, s48
	s_abs_i32 s62, s31
	s_cvt_f32_u32 s44, s61
	s_abs_i32 s65, s55
	s_abs_i32 s67, s30
	;; [unrolled: 1-line block ×3, first 2 shown]
	v_rcp_iflag_f32_e32 v1, s44
	s_mov_b32 s44, s10
	s_cvt_f32_u32 s10, s62
	s_or_b32 s66, s2, s66
	s_cvt_f32_u32 s2, s65
	s_cvt_f32_u32 s11, s69
	v_rcp_iflag_f32_e32 v2, s10
	s_clause 0x1
	s_load_b64 s[56:57], s[0:1], 0x20
	s_load_b32 s31, s[0:1], 0x11c
	s_mul_i32 s0, s49, s8
	s_mov_b32 s52, s12
	v_readfirstlane_b32 s10, v1
	v_rcp_iflag_f32_e32 v1, s2
	s_ashr_i32 s1, s0, 31
	s_ashr_i32 s64, s63, 31
	;; [unrolled: 1-line block ×3, first 2 shown]
	s_mul_f32 s8, s10, 0x4f7ffffe
	v_readfirstlane_b32 s9, v2
	s_sub_co_i32 s10, 0, s61
	s_ashr_i32 s74, s54, 31
	s_cvt_u32_f32 s8, s8
	s_mul_f32 s2, s9, 0x4f7ffffe
	s_cvt_f32_u32 s9, s67
	v_readfirstlane_b32 s30, v1
	v_rcp_iflag_f32_e32 v1, s11
	s_wait_alu 0xfffe
	s_cvt_u32_f32 s2, s2
	v_rcp_iflag_f32_e32 v2, s9
	s_mul_i32 s10, s10, s8
	s_mul_f32 s11, s30, 0x4f7ffffe
	s_sub_co_i32 s9, 0, s62
	s_wait_alu 0xfffe
	s_mul_hi_u32 s10, s8, s10
	s_mul_i32 s9, s9, s2
	s_wait_alu 0xfffe
	s_add_co_i32 s70, s8, s10
	s_mul_hi_u32 s9, s2, s9
	v_readfirstlane_b32 s10, v1
	s_wait_alu 0xfffe
	s_add_co_i32 s71, s2, s9
	v_readfirstlane_b32 s30, v2
	s_cvt_u32_f32 s2, s11
	s_sub_co_i32 s9, 0, s65
	s_sub_co_i32 s11, 0, s67
	s_mul_f32 s10, s10, 0x4f7ffffe
	s_mul_f32 s8, s30, 0x4f7ffffe
	s_wait_alu 0xfffe
	s_mul_i32 s9, s9, s2
	s_wait_kmcnt 0x0
	s_and_b32 s68, s31, 0xffff
	s_wait_alu 0xfffe
	s_mul_hi_u32 s9, s2, s9
	s_cvt_u32_f32 s8, s8
	s_wait_alu 0xfffe
	s_add_co_i32 s73, s2, s9
	s_cvt_u32_f32 s48, s10
	s_mul_u64 s[30:31], s[52:53], s[46:47]
	s_mul_i32 s11, s11, s8
	v_mov_b32_e32 v2, 0
	s_wait_alu 0xfffe
	s_mul_hi_u32 s2, s8, s11
	s_wait_alu 0xfffe
	s_add_co_i32 s47, s8, s2
	s_sub_co_i32 s2, 0, s69
	s_mul_u64 s[8:9], s[30:31], s[44:45]
	s_wait_alu 0xfffe
	s_mul_i32 s2, s2, s48
	s_mul_u64 s[10:11], s[8:9], s[50:51]
	s_wait_alu 0xfffe
	s_mul_hi_u32 s2, s48, s2
	s_lshl_b64 s[10:11], s[10:11], 1
	s_mul_u64 s[0:1], s[8:9], s[0:1]
	s_wait_alu 0xfffe
	s_add_co_i32 s45, s48, s2
	s_add_nc_u64 s[8:9], s[56:57], s[10:11]
	s_lshl_b64 s[10:11], s[0:1], 1
	s_lshl_b64 s[30:31], s[30:31], 1
	s_lshl_b64 s[48:49], s[52:53], 1
	s_sub_co_i32 s2, 0, s29
	s_branch .LBB106_3
.LBB106_2:                              ;   in Loop: Header=BB106_3 Depth=1
	v_add_nc_u32_e32 v0, s68, v0
	s_delay_alu instid0(VALU_DEP_1)
	v_cmp_le_i32_e32 vcc_lo, s33, v0
	s_or_b32 s3, vcc_lo, s3
	s_wait_alu 0xfffe
	s_and_not1_b32 exec_lo, exec_lo, s3
	s_cbranch_execz .LBB106_23
.LBB106_3:                              ; =>This Loop Header: Depth=1
                                        ;     Child Loop BB106_8 Depth 2
                                        ;       Child Loop BB106_11 Depth 3
                                        ;         Child Loop BB106_14 Depth 4
                                        ;           Child Loop BB106_17 Depth 5
	v_sub_nc_u32_e32 v1, 0, v0
	v_ashrrev_i32_e32 v8, 31, v0
	s_mov_b32 s29, -1
	s_delay_alu instid0(VALU_DEP_2) | instskip(NEXT) | instid1(VALU_DEP_2)
	v_max_i32_e32 v4, v0, v1
	v_xor_b32_e32 v11, s72, v8
	s_delay_alu instid0(VALU_DEP_2) | instskip(SKIP_1) | instid1(VALU_DEP_2)
	v_mul_hi_u32 v1, v4, s70
	v_mul_hi_u32 v3, v4, s73
	v_mul_lo_u32 v5, v1, s61
	v_add_nc_u32_e32 v7, 1, v1
	s_delay_alu instid0(VALU_DEP_3) | instskip(SKIP_1) | instid1(VALU_DEP_4)
	v_mul_lo_u32 v6, v3, s65
	v_add_nc_u32_e32 v9, 1, v3
	v_sub_nc_u32_e32 v5, v4, v5
	s_delay_alu instid0(VALU_DEP_3) | instskip(NEXT) | instid1(VALU_DEP_2)
	v_sub_nc_u32_e32 v6, v4, v6
	v_cmp_le_u32_e32 vcc_lo, s61, v5
	s_delay_alu instid0(VALU_DEP_2)
	v_subrev_nc_u32_e32 v10, s65, v6
	v_cmp_le_u32_e64 s0, s65, v6
	s_wait_alu 0xfffd
	v_cndmask_b32_e32 v1, v1, v7, vcc_lo
	v_subrev_nc_u32_e32 v7, s61, v5
	s_wait_alu 0xf1ff
	v_cndmask_b32_e64 v3, v3, v9, s0
	v_cndmask_b32_e64 v6, v6, v10, s0
	v_xor_b32_e32 v9, s43, v8
	v_cndmask_b32_e32 v5, v5, v7, vcc_lo
	v_xor_b32_e32 v8, s74, v8
	s_delay_alu instid0(VALU_DEP_2) | instskip(SKIP_2) | instid1(VALU_DEP_1)
	v_cmp_le_u32_e32 vcc_lo, s61, v5
	s_wait_alu 0xfffe
	v_mul_hi_u32 v5, v4, s45
	v_add_nc_u32_e32 v12, 1, v5
	v_add_nc_u32_e32 v7, 1, v1
	v_add_nc_u32_e32 v10, 1, v3
	s_wait_alu 0xfffd
	s_delay_alu instid0(VALU_DEP_2) | instskip(SKIP_1) | instid1(VALU_DEP_2)
	v_cndmask_b32_e32 v1, v1, v7, vcc_lo
	v_cmp_le_u32_e32 vcc_lo, s65, v6
	v_xor_b32_e32 v1, v1, v9
	s_wait_alu 0xfffd
	v_cndmask_b32_e32 v3, v3, v10, vcc_lo
	s_delay_alu instid0(VALU_DEP_2) | instskip(NEXT) | instid1(VALU_DEP_2)
	v_sub_nc_u32_e32 v1, v1, v9
	v_xor_b32_e32 v3, v3, v11
	v_mul_lo_u32 v9, v5, s69
	s_delay_alu instid0(VALU_DEP_3) | instskip(NEXT) | instid1(VALU_DEP_3)
	v_sub_nc_u32_e32 v6, 0, v1
	v_sub_nc_u32_e32 v3, v3, v11
	s_delay_alu instid0(VALU_DEP_2) | instskip(NEXT) | instid1(VALU_DEP_2)
	v_max_i32_e32 v6, v1, v6
	v_sub_nc_u32_e32 v7, 0, v3
	v_sub_nc_u32_e32 v4, v4, v9
	s_delay_alu instid0(VALU_DEP_3) | instskip(NEXT) | instid1(VALU_DEP_3)
	v_mul_hi_u32 v10, v6, s71
	v_max_i32_e32 v7, v3, v7
	s_delay_alu instid0(VALU_DEP_3) | instskip(NEXT) | instid1(VALU_DEP_2)
	v_cmp_le_u32_e32 vcc_lo, s69, v4
	v_mul_hi_u32 v11, v7, s47
	s_wait_alu 0xfffd
	v_cndmask_b32_e32 v5, v5, v12, vcc_lo
	v_mul_lo_u32 v9, v10, s62
	s_delay_alu instid0(VALU_DEP_3) | instskip(SKIP_1) | instid1(VALU_DEP_3)
	v_mul_lo_u32 v10, v11, s67
	v_subrev_nc_u32_e32 v11, s69, v4
	v_sub_nc_u32_e32 v6, v6, v9
	s_delay_alu instid0(VALU_DEP_2) | instskip(NEXT) | instid1(VALU_DEP_4)
	v_dual_cndmask_b32 v4, v4, v11 :: v_dual_add_nc_u32 v9, 1, v5
	v_sub_nc_u32_e32 v7, v7, v10
	s_delay_alu instid0(VALU_DEP_3) | instskip(NEXT) | instid1(VALU_DEP_3)
	v_subrev_nc_u32_e32 v10, s62, v6
	v_cmp_le_u32_e32 vcc_lo, s69, v4
	s_delay_alu instid0(VALU_DEP_3) | instskip(SKIP_3) | instid1(VALU_DEP_2)
	v_subrev_nc_u32_e32 v11, s67, v7
	s_wait_alu 0xfffd
	v_cndmask_b32_e32 v5, v5, v9, vcc_lo
	v_cmp_le_u32_e32 vcc_lo, s62, v6
	v_xor_b32_e32 v5, v5, v8
	s_wait_alu 0xfffd
	v_cndmask_b32_e32 v4, v6, v10, vcc_lo
	v_cmp_le_u32_e32 vcc_lo, s67, v7
	s_delay_alu instid0(VALU_DEP_3) | instskip(NEXT) | instid1(VALU_DEP_3)
	v_sub_nc_u32_e32 v5, v5, v8
	v_cmp_le_u32_e64 s0, s62, v4
	s_wait_alu 0xfffd
	v_cndmask_b32_e32 v7, v7, v11, vcc_lo
	s_and_not1_b32 vcc_lo, exec_lo, s6
	s_delay_alu instid0(VALU_DEP_1)
	v_cmp_le_u32_e64 s1, s67, v7
	s_wait_alu 0xfffe
	s_cbranch_vccnz .LBB106_5
; %bb.4:                                ;   in Loop: Header=BB106_3 Depth=1
	v_ashrrev_i32_e32 v6, 31, v5
	s_mov_b32 s29, 0
.LBB106_5:                              ;   in Loop: Header=BB106_3 Depth=1
	v_subrev_nc_u32_e32 v8, s62, v4
	v_subrev_nc_u32_e32 v9, s67, v7
	v_ashrrev_i32_e32 v10, 31, v1
	v_ashrrev_i32_e32 v11, 31, v3
	v_mul_lo_u32 v1, v1, s42
	s_wait_alu 0xf1ff
	v_cndmask_b32_e64 v3, v4, v8, s0
	v_cndmask_b32_e64 v4, v7, v9, s1
	s_and_not1_b32 vcc_lo, exec_lo, s29
	s_delay_alu instid0(VALU_DEP_2) | instskip(NEXT) | instid1(VALU_DEP_2)
	v_xor_b32_e32 v8, v3, v10
	v_xor_b32_e32 v9, v4, v11
	v_mov_b32_e32 v3, 0
	v_mov_b32_e32 v4, 0
	v_sub_nc_u32_e32 v7, v0, v1
	v_sub_nc_u32_e32 v8, v8, v10
	;; [unrolled: 1-line block ×3, first 2 shown]
	s_wait_alu 0xfffe
	s_cbranch_vccnz .LBB106_19
; %bb.6:                                ;   in Loop: Header=BB106_3 Depth=1
	s_delay_alu instid0(VALU_DEP_1)
	v_mul_lo_u32 v15, v9, s16
	v_mul_lo_u32 v16, v8, s17
	v_mad_co_u64_u32 v[10:11], null, v7, s18, s[2:3]
	v_mov_b32_e32 v3, 0
	v_mov_b32_e32 v4, 0
	v_ashrrev_i32_e32 v6, 31, v5
	s_mov_b32 s1, 0
	s_mov_b64 s[50:51], s[8:9]
	s_branch .LBB106_8
.LBB106_7:                              ;   in Loop: Header=BB106_8 Depth=2
	s_add_co_i32 s1, s1, 1
	s_add_nc_u64 s[50:51], s[50:51], s[10:11]
	s_wait_alu 0xfffe
	s_cmp_eq_u32 s1, s7
	s_cbranch_scc1 .LBB106_19
.LBB106_8:                              ;   Parent Loop BB106_3 Depth=1
                                        ; =>  This Loop Header: Depth=2
                                        ;       Child Loop BB106_11 Depth 3
                                        ;         Child Loop BB106_14 Depth 4
                                        ;           Child Loop BB106_17 Depth 5
	s_and_not1_b32 vcc_lo, exec_lo, s58
	s_wait_alu 0xfffe
	s_cbranch_vccnz .LBB106_7
; %bb.9:                                ;   in Loop: Header=BB106_8 Depth=2
	v_mad_co_u64_u32 v[11:12], null, s1, s63, v[5:6]
	s_mov_b32 s29, 0
	s_mov_b64 s[52:53], s[50:51]
	v_mov_b32_e32 v1, v12
	s_delay_alu instid0(VALU_DEP_1) | instskip(SKIP_1) | instid1(VALU_DEP_2)
	v_mad_co_u64_u32 v[12:13], null, s1, s64, v[1:2]
	v_mul_lo_u32 v1, v11, s35
	v_mul_lo_u32 v13, v12, s34
	v_mad_co_u64_u32 v[11:12], null, v11, s34, 0
	s_delay_alu instid0(VALU_DEP_1)
	v_add3_u32 v12, v12, v1, v13
	s_branch .LBB106_11
.LBB106_10:                             ;   in Loop: Header=BB106_11 Depth=3
	s_add_co_i32 s29, s29, 1
	s_add_nc_u64 s[52:53], s[52:53], s[30:31]
	s_cmp_eq_u32 s29, s44
	s_cbranch_scc1 .LBB106_7
.LBB106_11:                             ;   Parent Loop BB106_3 Depth=1
                                        ;     Parent Loop BB106_8 Depth=2
                                        ; =>    This Loop Header: Depth=3
                                        ;         Child Loop BB106_14 Depth 4
                                        ;           Child Loop BB106_17 Depth 5
	s_and_not1_b32 vcc_lo, exec_lo, s59
	s_wait_alu 0xfffe
	s_cbranch_vccnz .LBB106_10
; %bb.12:                               ;   in Loop: Header=BB106_11 Depth=3
	s_mul_i32 s0, s29, s13
	s_mov_b32 s75, 0
	s_wait_alu 0xfffe
	s_sub_co_i32 s0, s0, s19
	s_mov_b64 s[54:55], s[52:53]
	s_wait_alu 0xfffe
	v_add_nc_u32_e32 v1, s0, v15
	s_delay_alu instid0(VALU_DEP_1) | instskip(SKIP_3) | instid1(VALU_DEP_3)
	v_add_co_u32 v13, vcc_lo, v11, v1
	s_wait_alu 0xfffd
	v_add_co_ci_u32_e64 v14, null, 0, v12, vcc_lo
	v_cmp_gt_i32_e32 vcc_lo, 0, v1
	v_mul_lo_u32 v18, v13, s37
	v_cmp_le_i32_e64 s0, s34, v1
	s_delay_alu instid0(VALU_DEP_4)
	v_mul_lo_u32 v17, v14, s36
	v_mad_co_u64_u32 v[13:14], null, v13, s36, 0
	s_or_b32 s76, vcc_lo, s0
	v_add3_u32 v14, v14, v18, v17
	s_branch .LBB106_14
.LBB106_13:                             ;   in Loop: Header=BB106_14 Depth=4
	s_add_co_i32 s75, s75, 1
	s_add_nc_u64 s[54:55], s[54:55], s[48:49]
	s_wait_alu 0xfffe
	s_cmp_eq_u32 s75, s46
	s_cbranch_scc1 .LBB106_10
.LBB106_14:                             ;   Parent Loop BB106_3 Depth=1
                                        ;     Parent Loop BB106_8 Depth=2
                                        ;       Parent Loop BB106_11 Depth=3
                                        ; =>      This Loop Header: Depth=4
                                        ;           Child Loop BB106_17 Depth 5
	s_and_not1_b32 vcc_lo, exec_lo, s60
	s_wait_alu 0xfffe
	s_cbranch_vccnz .LBB106_13
; %bb.15:                               ;   in Loop: Header=BB106_14 Depth=4
	s_mul_i32 s0, s75, s14
	s_mov_b64 s[56:57], s[54:55]
	s_wait_alu 0xfffe
	s_sub_co_i32 s0, s0, s28
	s_mov_b32 s78, s12
	s_wait_alu 0xfffe
	v_add_nc_u32_e32 v1, s0, v16
	s_delay_alu instid0(VALU_DEP_1) | instskip(SKIP_3) | instid1(VALU_DEP_3)
	v_add_co_u32 v17, vcc_lo, v13, v1
	s_wait_alu 0xfffd
	v_add_co_ci_u32_e64 v18, null, 0, v14, vcc_lo
	v_cmp_gt_i32_e32 vcc_lo, 0, v1
	v_mul_lo_u32 v20, v17, s39
	v_cmp_le_i32_e64 s0, s36, v1
	s_delay_alu instid0(VALU_DEP_4) | instskip(SKIP_2) | instid1(VALU_DEP_4)
	v_mul_lo_u32 v19, v18, s38
	v_mad_co_u64_u32 v[17:18], null, v17, s38, 0
	v_mov_b32_e32 v1, v10
	s_or_b32 s0, vcc_lo, s0
	s_wait_alu 0xfffe
	s_or_b32 s77, s76, s0
	s_delay_alu instid0(VALU_DEP_2) | instskip(NEXT) | instid1(VALU_DEP_1)
	v_add3_u32 v18, v18, v20, v19
	v_lshlrev_b64_e32 v[17:18], 1, v[17:18]
	s_delay_alu instid0(VALU_DEP_1) | instskip(SKIP_1) | instid1(VALU_DEP_2)
	v_add_co_u32 v17, vcc_lo, s20, v17
	s_wait_alu 0xfffd
	v_add_co_ci_u32_e64 v18, null, s21, v18, vcc_lo
	s_branch .LBB106_17
.LBB106_16:                             ;   in Loop: Header=BB106_17 Depth=5
	s_wait_alu 0xfffe
	s_or_b32 exec_lo, exec_lo, s0
	v_add_nc_u32_e32 v1, s15, v1
	s_add_co_i32 s78, s78, -1
	s_add_nc_u64 s[56:57], s[56:57], 2
	s_wait_alu 0xfffe
	s_cmp_eq_u32 s78, 0
	s_cbranch_scc1 .LBB106_13
.LBB106_17:                             ;   Parent Loop BB106_3 Depth=1
                                        ;     Parent Loop BB106_8 Depth=2
                                        ;       Parent Loop BB106_11 Depth=3
                                        ;         Parent Loop BB106_14 Depth=4
                                        ; =>        This Inner Loop Header: Depth=5
	v_cmp_gt_i32_e32 vcc_lo, 0, v1
	v_cmp_le_i32_e64 s0, s38, v1
	s_or_b32 s0, vcc_lo, s0
	s_wait_alu 0xfffe
	s_nor_b32 s79, s77, s0
	s_wait_alu 0xfffe
	s_and_saveexec_b32 s0, s79
	s_cbranch_execz .LBB106_16
; %bb.18:                               ;   in Loop: Header=BB106_17 Depth=5
	v_lshlrev_b64_e32 v[19:20], 1, v[1:2]
	s_load_u16 s79, s[56:57], 0x0
	s_delay_alu instid0(VALU_DEP_1) | instskip(SKIP_1) | instid1(VALU_DEP_2)
	v_add_co_u32 v19, vcc_lo, v17, v19
	s_wait_alu 0xfffd
	v_add_co_ci_u32_e64 v20, null, v18, v20, vcc_lo
	global_load_u16 v19, v[19:20], off
	s_wait_kmcnt 0x0
	s_lshl_b32 s79, s79, 16
	s_wait_loadcnt 0x0
	v_lshlrev_b32_e32 v21, 16, v19
	s_wait_alu 0xfffe
	v_cvt_f64_f32_e32 v[19:20], s79
	s_delay_alu instid0(VALU_DEP_2) | instskip(NEXT) | instid1(VALU_DEP_1)
	v_cvt_f64_f32_e32 v[21:22], v21
	v_fma_f64 v[3:4], v[21:22], v[19:20], v[3:4]
	s_branch .LBB106_16
.LBB106_19:                             ;   in Loop: Header=BB106_3 Depth=1
	s_delay_alu instid0(VALU_DEP_1)
	v_ashrrev_i32_e32 v10, 31, v9
	v_mul_lo_u32 v1, v5, s5
	v_mul_lo_u32 v11, v6, s4
	s_and_b32 vcc_lo, exec_lo, s66
	s_mov_b32 s0, -1
	v_mad_co_u64_u32 v[5:6], null, v5, s4, v[9:10]
	v_ashrrev_i32_e32 v9, 31, v8
	s_delay_alu instid0(VALU_DEP_2) | instskip(NEXT) | instid1(VALU_DEP_2)
	v_add3_u32 v1, v11, v6, v1
	v_mad_co_u64_u32 v[9:10], null, v5, s40, v[8:9]
	v_mul_lo_u32 v5, v5, s41
	v_ashrrev_i32_e32 v8, 31, v7
	s_delay_alu instid0(VALU_DEP_4) | instskip(NEXT) | instid1(VALU_DEP_1)
	v_mul_lo_u32 v1, v1, s40
	v_add3_u32 v1, v1, v10, v5
	v_mul_lo_u32 v10, v9, s43
	s_delay_alu instid0(VALU_DEP_4) | instskip(NEXT) | instid1(VALU_DEP_3)
	v_mad_co_u64_u32 v[5:6], null, v9, s42, v[7:8]
	v_mul_lo_u32 v1, v1, s42
	s_delay_alu instid0(VALU_DEP_1)
	v_add3_u32 v6, v1, v6, v10
	s_wait_alu 0xfffe
	s_cbranch_vccz .LBB106_21
; %bb.20:                               ;   in Loop: Header=BB106_3 Depth=1
	s_delay_alu instid0(VALU_DEP_1) | instskip(NEXT) | instid1(VALU_DEP_1)
	v_lshlrev_b64_e32 v[7:8], 1, v[5:6]
	v_add_co_u32 v7, vcc_lo, s22, v7
	s_wait_alu 0xfffd
	s_delay_alu instid0(VALU_DEP_2) | instskip(SKIP_3) | instid1(VALU_DEP_1)
	v_add_co_ci_u32_e64 v8, null, s23, v8, vcc_lo
	global_load_u16 v1, v[7:8], off
	s_wait_loadcnt 0x0
	v_lshlrev_b32_e32 v1, 16, v1
	v_cvt_f64_f32_e32 v[9:10], v1
	s_delay_alu instid0(VALU_DEP_1) | instskip(NEXT) | instid1(VALU_DEP_1)
	v_mul_f64_e32 v[9:10], s[26:27], v[9:10]
	v_fma_f64 v[9:10], s[24:25], v[3:4], v[9:10]
	s_delay_alu instid0(VALU_DEP_1) | instskip(NEXT) | instid1(VALU_DEP_1)
	v_cvt_f32_f64_e32 v1, v[9:10]
	v_and_b32_e32 v9, 0x7f800000, v1
	v_and_b32_e32 v10, 0xffff, v1
	v_lshrrev_b32_e32 v1, 16, v1
	s_delay_alu instid0(VALU_DEP_3) | instskip(NEXT) | instid1(VALU_DEP_3)
	v_cmp_eq_u32_e32 vcc_lo, 0x7f800000, v9
	v_cmp_ne_u32_e64 s0, 0, v10
	s_and_b32 s0, vcc_lo, s0
	s_wait_alu 0xfffe
	v_cndmask_b32_e64 v9, 0, 1, s0
	s_mov_b32 s0, 0
	s_delay_alu instid0(VALU_DEP_1)
	v_or_b32_e32 v1, v1, v9
	global_store_b16 v[7:8], v1, off
.LBB106_21:                             ;   in Loop: Header=BB106_3 Depth=1
	s_wait_alu 0xfffe
	s_and_not1_b32 vcc_lo, exec_lo, s0
	s_wait_alu 0xfffe
	s_cbranch_vccnz .LBB106_2
; %bb.22:                               ;   in Loop: Header=BB106_3 Depth=1
	v_cvt_f32_f64_e32 v1, v[3:4]
	s_delay_alu instid0(VALU_DEP_1) | instskip(SKIP_2) | instid1(VALU_DEP_3)
	v_and_b32_e32 v3, 0x7f800000, v1
	v_and_b32_e32 v4, 0xffff, v1
	v_lshrrev_b32_e32 v1, 16, v1
	v_cmp_eq_u32_e32 vcc_lo, 0x7f800000, v3
	s_delay_alu instid0(VALU_DEP_3) | instskip(SKIP_4) | instid1(VALU_DEP_2)
	v_cmp_ne_u32_e64 s0, 0, v4
	v_lshlrev_b64_e32 v[3:4], 1, v[5:6]
	s_and_b32 s0, vcc_lo, s0
	s_wait_alu 0xfffe
	v_cndmask_b32_e64 v7, 0, 1, s0
	v_add_co_u32 v3, vcc_lo, s22, v3
	s_wait_alu 0xfffd
	v_add_co_ci_u32_e64 v4, null, s23, v4, vcc_lo
	s_delay_alu instid0(VALU_DEP_3)
	v_or_b32_e32 v1, v1, v7
	global_store_b16 v[3:4], v1, off
	s_branch .LBB106_2
.LBB106_23:
	s_endpgm
	.section	.rodata,"a",@progbits
	.p2align	6, 0x0
	.amdhsa_kernel naive_conv_ab_packed_wrw_ncdhw_ushort_double_ushort_0
		.amdhsa_group_segment_fixed_size 0
		.amdhsa_private_segment_fixed_size 0
		.amdhsa_kernarg_size 528
		.amdhsa_user_sgpr_count 2
		.amdhsa_user_sgpr_dispatch_ptr 0
		.amdhsa_user_sgpr_queue_ptr 0
		.amdhsa_user_sgpr_kernarg_segment_ptr 1
		.amdhsa_user_sgpr_dispatch_id 0
		.amdhsa_user_sgpr_private_segment_size 0
		.amdhsa_wavefront_size32 1
		.amdhsa_uses_dynamic_stack 0
		.amdhsa_enable_private_segment 0
		.amdhsa_system_sgpr_workgroup_id_x 1
		.amdhsa_system_sgpr_workgroup_id_y 0
		.amdhsa_system_sgpr_workgroup_id_z 0
		.amdhsa_system_sgpr_workgroup_info 0
		.amdhsa_system_vgpr_workitem_id 0
		.amdhsa_next_free_vgpr 23
		.amdhsa_next_free_sgpr 80
		.amdhsa_reserve_vcc 1
		.amdhsa_float_round_mode_32 0
		.amdhsa_float_round_mode_16_64 0
		.amdhsa_float_denorm_mode_32 3
		.amdhsa_float_denorm_mode_16_64 3
		.amdhsa_fp16_overflow 0
		.amdhsa_workgroup_processor_mode 1
		.amdhsa_memory_ordered 1
		.amdhsa_forward_progress 1
		.amdhsa_inst_pref_size 20
		.amdhsa_round_robin_scheduling 0
		.amdhsa_exception_fp_ieee_invalid_op 0
		.amdhsa_exception_fp_denorm_src 0
		.amdhsa_exception_fp_ieee_div_zero 0
		.amdhsa_exception_fp_ieee_overflow 0
		.amdhsa_exception_fp_ieee_underflow 0
		.amdhsa_exception_fp_ieee_inexact 0
		.amdhsa_exception_int_div_zero 0
	.end_amdhsa_kernel
	.text
.Lfunc_end106:
	.size	naive_conv_ab_packed_wrw_ncdhw_ushort_double_ushort_0, .Lfunc_end106-naive_conv_ab_packed_wrw_ncdhw_ushort_double_ushort_0
                                        ; -- End function
	.set naive_conv_ab_packed_wrw_ncdhw_ushort_double_ushort_0.num_vgpr, 23
	.set naive_conv_ab_packed_wrw_ncdhw_ushort_double_ushort_0.num_agpr, 0
	.set naive_conv_ab_packed_wrw_ncdhw_ushort_double_ushort_0.numbered_sgpr, 80
	.set naive_conv_ab_packed_wrw_ncdhw_ushort_double_ushort_0.num_named_barrier, 0
	.set naive_conv_ab_packed_wrw_ncdhw_ushort_double_ushort_0.private_seg_size, 0
	.set naive_conv_ab_packed_wrw_ncdhw_ushort_double_ushort_0.uses_vcc, 1
	.set naive_conv_ab_packed_wrw_ncdhw_ushort_double_ushort_0.uses_flat_scratch, 0
	.set naive_conv_ab_packed_wrw_ncdhw_ushort_double_ushort_0.has_dyn_sized_stack, 0
	.set naive_conv_ab_packed_wrw_ncdhw_ushort_double_ushort_0.has_recursion, 0
	.set naive_conv_ab_packed_wrw_ncdhw_ushort_double_ushort_0.has_indirect_call, 0
	.section	.AMDGPU.csdata,"",@progbits
; Kernel info:
; codeLenInByte = 2436
; TotalNumSgprs: 82
; NumVgprs: 23
; ScratchSize: 0
; MemoryBound: 0
; FloatMode: 240
; IeeeMode: 1
; LDSByteSize: 0 bytes/workgroup (compile time only)
; SGPRBlocks: 0
; VGPRBlocks: 2
; NumSGPRsForWavesPerEU: 82
; NumVGPRsForWavesPerEU: 23
; Occupancy: 16
; WaveLimiterHint : 0
; COMPUTE_PGM_RSRC2:SCRATCH_EN: 0
; COMPUTE_PGM_RSRC2:USER_SGPR: 2
; COMPUTE_PGM_RSRC2:TRAP_HANDLER: 0
; COMPUTE_PGM_RSRC2:TGID_X_EN: 1
; COMPUTE_PGM_RSRC2:TGID_Y_EN: 0
; COMPUTE_PGM_RSRC2:TGID_Z_EN: 0
; COMPUTE_PGM_RSRC2:TIDIG_COMP_CNT: 0
	.text
	.protected	naive_conv_ab_nonpacked_wrw_ncdhw_ushort_double_ushort_0 ; -- Begin function naive_conv_ab_nonpacked_wrw_ncdhw_ushort_double_ushort_0
	.globl	naive_conv_ab_nonpacked_wrw_ncdhw_ushort_double_ushort_0
	.p2align	8
	.type	naive_conv_ab_nonpacked_wrw_ncdhw_ushort_double_ushort_0,@function
naive_conv_ab_nonpacked_wrw_ncdhw_ushort_double_ushort_0: ; @naive_conv_ab_nonpacked_wrw_ncdhw_ushort_double_ushort_0
; %bb.0:
	s_clause 0x2
	s_load_b512 s[4:19], s[0:1], 0xb8
	s_load_b32 s33, s[0:1], 0x108
	s_load_b128 s[28:31], s[0:1], 0xf8
	s_mov_b32 s3, exec_lo
	s_wait_kmcnt 0x0
	s_abs_i32 s73, s8
	s_delay_alu instid0(SALU_CYCLE_1) | instskip(SKIP_1) | instid1(SALU_CYCLE_1)
	s_cvt_f32_u32 s2, s73
	s_mul_i32 s35, s33, s31
	s_mul_i32 s34, s35, s30
	s_delay_alu instid0(SALU_CYCLE_1) | instskip(SKIP_1) | instid1(TRANS32_DEP_1)
	v_rcp_iflag_f32_e32 v1, s2
	s_mul_i32 s72, s34, s9
	v_readfirstlane_b32 s2, v1
	v_cmpx_gt_i32_e64 s72, v0
	s_cbranch_execz .LBB107_23
; %bb.1:
	s_mul_f32 s2, s2, 0x4f7ffffe
	s_sub_co_i32 s3, 0, s73
	s_load_b256 s[20:27], s[0:1], 0x0
	s_delay_alu instid0(SALU_CYCLE_1) | instskip(SKIP_1) | instid1(SALU_CYCLE_2)
	s_cvt_u32_f32 s9, s2
	s_abs_i32 s2, ttmp9
	s_mul_i32 s36, s3, s9
	s_mov_b32 s3, 0
	s_mul_hi_u32 s36, s9, s36
	s_wait_alu 0xfffe
	s_mov_b32 s37, s3
	s_add_co_i32 s36, s9, s36
	s_ashr_i32 s9, ttmp9, 31
	s_mul_u64 s[74:75], s[2:3], s[36:37]
	s_ashr_i32 s74, s8, 31
	s_mul_i32 s76, s75, s73
	s_clause 0x2
	s_load_b512 s[36:51], s[0:1], 0x28
	s_load_b512 s[52:67], s[0:1], 0x68
	s_load_b128 s[68:71], s[0:1], 0xa8
	s_sub_co_i32 s2, s2, s76
	s_xor_b32 s9, s9, s74
	s_add_co_i32 s74, s75, 1
	s_wait_alu 0xfffe
	s_sub_co_i32 s76, s2, s73
	s_cmp_ge_u32 s2, s73
	s_load_b32 s80, s[0:1], 0x11c
	s_cselect_b32 s74, s74, s75
	s_cselect_b32 s2, s76, s2
	s_add_co_i32 s75, s74, 1
	s_wait_alu 0xfffe
	s_cmp_ge_u32 s2, s73
	s_load_b64 s[76:77], s[0:1], 0x20
	s_cselect_b32 s2, s75, s74
	s_wait_alu 0xfffe
	s_xor_b32 s2, s2, s9
	s_wait_alu 0xfffe
	s_sub_co_i32 s0, s2, s9
	s_wait_kmcnt 0x0
	v_cmp_neq_f64_e64 s2, s[24:25], 1.0
	s_mul_i32 s8, s0, s8
	s_ashr_i32 s1, s0, 31
	s_sub_co_i32 s8, ttmp9, s8
	s_mul_u64 s[44:45], s[44:45], s[0:1]
	s_ashr_i32 s9, s8, 31
	s_mul_u64 s[58:59], s[58:59], s[0:1]
	s_mul_u64 s[0:1], s[68:69], s[0:1]
	;; [unrolled: 1-line block ×4, first 2 shown]
	s_lshl_b64 s[44:45], s[44:45], 1
	s_lshl_b64 s[78:79], s[58:59], 1
	;; [unrolled: 1-line block ×5, first 2 shown]
	v_cmp_neq_f64_e64 s58, s[26:27], 0
	s_cmp_lt_i32 s7, 1
	s_add_nc_u64 s[0:1], s[76:77], s[0:1]
	s_cselect_b32 s59, -1, 0
	s_cmp_gt_i32 s10, 0
	s_add_nc_u64 s[8:9], s[20:21], s[44:45]
	s_cselect_b32 s68, -1, 0
	s_cmp_gt_i32 s11, 0
	s_add_nc_u64 s[20:21], s[22:23], s[78:79]
	s_cselect_b32 s69, -1, 0
	s_cmp_gt_i32 s12, 0
	s_add_nc_u64 s[22:23], s[0:1], s[66:67]
	s_cselect_b32 s73, -1, 0
	s_abs_i32 s74, s33
	s_abs_i32 s77, s35
	s_cvt_f32_u32 s75, s74
	s_cvt_f32_u32 s0, s77
	s_abs_i32 s79, s30
	s_and_b32 s76, s80, 0xffff
	v_rcp_iflag_f32_e32 v1, s75
	s_abs_i32 s75, s31
	s_abs_i32 s80, s34
	s_wait_alu 0xfffe
	s_cvt_f32_u32 s31, s75
	s_cvt_f32_u32 s44, s80
	s_sub_co_i32 s30, 0, s74
	s_add_nc_u64 s[20:21], s[20:21], s[56:57]
	v_rcp_iflag_f32_e32 v2, s31
	s_ashr_i32 s78, s33, 31
	s_ashr_i32 s84, s35, 31
	v_readfirstlane_b32 s1, v1
	v_rcp_iflag_f32_e32 v1, s0
	s_ashr_i32 s87, s34, 31
	s_lshl_b64 s[34:35], s[64:65], 1
	s_lshl_b64 s[56:57], s[60:61], 1
	s_mul_f32 s0, s1, 0x4f7ffffe
	s_cvt_f32_u32 s1, s79
	v_readfirstlane_b32 s31, v2
	s_wait_alu 0xfffe
	s_cvt_u32_f32 s0, s0
	v_rcp_iflag_f32_e32 v2, s1
	s_or_b32 s81, s2, s58
	s_mul_f32 s1, s31, 0x4f7ffffe
	v_readfirstlane_b32 s2, v1
	v_rcp_iflag_f32_e32 v1, s44
	s_wait_alu 0xfffe
	s_mul_i32 s30, s30, s0
	s_cvt_u32_f32 s1, s1
	s_sub_co_i32 s31, 0, s75
	s_wait_alu 0xfffe
	s_mul_hi_u32 s30, s0, s30
	s_mul_f32 s2, s2, 0x4f7ffffe
	s_mul_i32 s31, s31, s1
	s_wait_alu 0xfffe
	s_add_co_i32 s82, s0, s30
	s_mul_hi_u32 s0, s1, s31
	v_readfirstlane_b32 s30, v2
	s_wait_alu 0xfffe
	s_add_co_i32 s83, s1, s0
	v_readfirstlane_b32 s1, v1
	s_cvt_u32_f32 s2, s2
	s_sub_co_i32 s0, 0, s77
	s_mul_f32 s30, s30, 0x4f7ffffe
	s_lshl_b64 s[44:45], s[62:63], 1
	s_wait_alu 0xfffe
	s_mul_i32 s0, s0, s2
	s_mul_f32 s1, s1, 0x4f7ffffe
	s_wait_alu 0xfffe
	s_mul_hi_u32 s0, s2, s0
	s_cvt_u32_f32 s30, s30
	s_wait_alu 0xfffe
	s_add_co_i32 s85, s2, s0
	s_sub_co_i32 s0, 0, s79
	s_cvt_u32_f32 s1, s1
	s_wait_alu 0xfffe
	s_mul_i32 s0, s0, s30
	s_sub_co_i32 s2, 0, s80
	s_wait_alu 0xfffe
	s_mul_hi_u32 s0, s30, s0
	s_mul_i32 s2, s2, s1
	s_wait_alu 0xfffe
	s_add_co_i32 s86, s30, s0
	s_mul_hi_u32 s0, s1, s2
	s_lshl_b64 s[30:31], s[70:71], 1
	s_wait_alu 0xfffe
	s_add_co_i32 s88, s1, s0
	s_sub_co_i32 s58, 0, s29
	s_mov_b32 s29, 0
	s_branch .LBB107_3
.LBB107_2:                              ;   in Loop: Header=BB107_3 Depth=1
	v_add_nc_u32_e32 v0, s76, v0
	s_delay_alu instid0(VALU_DEP_1) | instskip(SKIP_1) | instid1(SALU_CYCLE_1)
	v_cmp_le_i32_e32 vcc_lo, s72, v0
	s_or_b32 s29, vcc_lo, s29
	s_and_not1_b32 exec_lo, exec_lo, s29
	s_cbranch_execz .LBB107_23
.LBB107_3:                              ; =>This Loop Header: Depth=1
                                        ;     Child Loop BB107_8 Depth 2
                                        ;       Child Loop BB107_11 Depth 3
                                        ;         Child Loop BB107_14 Depth 4
                                        ;           Child Loop BB107_17 Depth 5
	v_sub_nc_u32_e32 v1, 0, v0
	v_ashrrev_i32_e32 v7, 31, v0
	s_mov_b32 s2, -1
	s_delay_alu instid0(VALU_DEP_2) | instskip(NEXT) | instid1(VALU_DEP_2)
	v_max_i32_e32 v3, v0, v1
	v_xor_b32_e32 v10, s84, v7
	s_delay_alu instid0(VALU_DEP_2) | instskip(SKIP_1) | instid1(VALU_DEP_2)
	v_mul_hi_u32 v2, v3, s85
	v_mul_hi_u32 v1, v3, s82
	v_mul_lo_u32 v5, v2, s77
	s_delay_alu instid0(VALU_DEP_2) | instskip(SKIP_2) | instid1(VALU_DEP_4)
	v_mul_lo_u32 v4, v1, s74
	v_add_nc_u32_e32 v8, 1, v2
	v_add_nc_u32_e32 v6, 1, v1
	v_sub_nc_u32_e32 v5, v3, v5
	s_delay_alu instid0(VALU_DEP_4) | instskip(NEXT) | instid1(VALU_DEP_2)
	v_sub_nc_u32_e32 v4, v3, v4
	v_cmp_le_u32_e64 s0, s77, v5
	s_delay_alu instid0(VALU_DEP_2) | instskip(SKIP_2) | instid1(VALU_DEP_3)
	v_cmp_le_u32_e32 vcc_lo, s74, v4
	v_subrev_nc_u32_e32 v9, s77, v5
	s_wait_alu 0xf1ff
	v_cndmask_b32_e64 v2, v2, v8, s0
	v_xor_b32_e32 v8, s78, v7
	s_delay_alu instid0(VALU_DEP_3) | instskip(SKIP_1) | instid1(VALU_DEP_4)
	v_cndmask_b32_e64 v5, v5, v9, s0
	v_xor_b32_e32 v7, s87, v7
	v_add_nc_u32_e32 v9, 1, v2
	s_wait_alu 0xfffd
	v_cndmask_b32_e32 v1, v1, v6, vcc_lo
	v_subrev_nc_u32_e32 v6, s74, v4
	s_delay_alu instid0(VALU_DEP_1) | instskip(NEXT) | instid1(VALU_DEP_3)
	v_cndmask_b32_e32 v4, v4, v6, vcc_lo
	v_add_nc_u32_e32 v6, 1, v1
	s_delay_alu instid0(VALU_DEP_2) | instskip(SKIP_2) | instid1(VALU_DEP_3)
	v_cmp_le_u32_e32 vcc_lo, s74, v4
	v_mul_hi_u32 v4, v3, s88
	s_wait_alu 0xfffd
	v_cndmask_b32_e32 v1, v1, v6, vcc_lo
	v_cmp_le_u32_e32 vcc_lo, s77, v5
	s_delay_alu instid0(VALU_DEP_2) | instskip(SKIP_2) | instid1(VALU_DEP_2)
	v_xor_b32_e32 v1, v1, v8
	s_wait_alu 0xfffd
	v_cndmask_b32_e32 v2, v2, v9, vcc_lo
	v_sub_nc_u32_e32 v1, v1, v8
	s_delay_alu instid0(VALU_DEP_2) | instskip(SKIP_1) | instid1(VALU_DEP_3)
	v_xor_b32_e32 v2, v2, v10
	v_mul_lo_u32 v8, v4, s80
	v_sub_nc_u32_e32 v5, 0, v1
	s_delay_alu instid0(VALU_DEP_3) | instskip(NEXT) | instid1(VALU_DEP_3)
	v_sub_nc_u32_e32 v2, v2, v10
	v_sub_nc_u32_e32 v3, v3, v8
	s_delay_alu instid0(VALU_DEP_2) | instskip(NEXT) | instid1(VALU_DEP_4)
	v_sub_nc_u32_e32 v6, 0, v2
	v_max_i32_e32 v5, v1, v5
	s_delay_alu instid0(VALU_DEP_3) | instskip(NEXT) | instid1(VALU_DEP_3)
	v_cmp_le_u32_e32 vcc_lo, s80, v3
	v_max_i32_e32 v6, v2, v6
	s_delay_alu instid0(VALU_DEP_3) | instskip(NEXT) | instid1(VALU_DEP_2)
	v_mul_hi_u32 v9, v5, s83
	v_mul_hi_u32 v10, v6, s86
	s_delay_alu instid0(VALU_DEP_2) | instskip(NEXT) | instid1(VALU_DEP_2)
	v_mul_lo_u32 v8, v9, s75
	v_mul_lo_u32 v9, v10, s79
	v_subrev_nc_u32_e32 v10, s80, v3
	s_delay_alu instid0(VALU_DEP_3) | instskip(SKIP_1) | instid1(VALU_DEP_2)
	v_sub_nc_u32_e32 v5, v5, v8
	s_wait_alu 0xfffd
	v_cndmask_b32_e32 v3, v3, v10, vcc_lo
	s_delay_alu instid0(VALU_DEP_4) | instskip(NEXT) | instid1(VALU_DEP_3)
	v_sub_nc_u32_e32 v6, v6, v9
	v_subrev_nc_u32_e32 v9, s75, v5
	s_delay_alu instid0(VALU_DEP_2) | instskip(SKIP_1) | instid1(VALU_DEP_1)
	v_subrev_nc_u32_e32 v10, s79, v6
	v_add_nc_u32_e32 v11, 1, v4
	v_cndmask_b32_e32 v4, v4, v11, vcc_lo
	v_cmp_le_u32_e32 vcc_lo, s80, v3
	s_delay_alu instid0(VALU_DEP_2) | instskip(SKIP_1) | instid1(VALU_DEP_1)
	v_add_nc_u32_e32 v8, 1, v4
	s_wait_alu 0xfffd
	v_cndmask_b32_e32 v8, v4, v8, vcc_lo
	v_cmp_le_u32_e32 vcc_lo, s75, v5
	s_wait_alu 0xfffd
	v_cndmask_b32_e32 v3, v5, v9, vcc_lo
	v_cmp_le_u32_e32 vcc_lo, s79, v6
	v_xor_b32_e32 v5, v8, v7
	s_delay_alu instid0(VALU_DEP_3) | instskip(SKIP_2) | instid1(VALU_DEP_3)
	v_cmp_le_u32_e64 s0, s75, v3
	s_wait_alu 0xfffd
	v_cndmask_b32_e32 v4, v6, v10, vcc_lo
	v_sub_nc_u32_e32 v5, v5, v7
	s_and_not1_b32 vcc_lo, exec_lo, s59
                                        ; implicit-def: $vgpr6
	s_delay_alu instid0(VALU_DEP_2)
	v_cmp_le_u32_e64 s1, s79, v4
	s_wait_alu 0xfffe
	s_cbranch_vccnz .LBB107_5
; %bb.4:                                ;   in Loop: Header=BB107_3 Depth=1
	v_ashrrev_i32_e32 v6, 31, v5
	s_mov_b32 s2, 0
.LBB107_5:                              ;   in Loop: Header=BB107_3 Depth=1
	v_subrev_nc_u32_e32 v7, s75, v3
	v_subrev_nc_u32_e32 v8, s79, v4
	v_ashrrev_i32_e32 v10, 31, v1
	v_ashrrev_i32_e32 v11, 31, v2
	s_wait_alu 0xfffe
	s_and_not1_b32 vcc_lo, exec_lo, s2
	v_cndmask_b32_e64 v2, v3, v7, s0
	v_cndmask_b32_e64 v3, v4, v8, s1
	v_mul_lo_u32 v4, v1, s33
	s_delay_alu instid0(VALU_DEP_3) | instskip(NEXT) | instid1(VALU_DEP_3)
	v_xor_b32_e32 v7, v2, v10
	v_xor_b32_e32 v3, v3, v11
	v_mov_b32_e32 v1, 0
	v_mov_b32_e32 v2, 0
	v_sub_nc_u32_e32 v9, v0, v4
	v_sub_nc_u32_e32 v8, v7, v10
	;; [unrolled: 1-line block ×3, first 2 shown]
	s_wait_alu 0xfffe
	s_cbranch_vccnz .LBB107_19
; %bb.6:                                ;   in Loop: Header=BB107_3 Depth=1
	v_ashrrev_i32_e32 v6, 31, v5
	v_mul_lo_u32 v3, s43, v5
	v_mad_co_u64_u32 v[1:2], null, s42, v5, 0
	v_mul_lo_u32 v10, v7, s16
	s_delay_alu instid0(VALU_DEP_4) | instskip(SKIP_3) | instid1(VALU_DEP_2)
	v_mul_lo_u32 v4, s42, v6
	v_mul_lo_u32 v11, v8, s17
	s_mov_b32 s2, 0
	s_mov_b64 s[60:61], s[22:23]
	v_add3_u32 v2, v2, v4, v3
	v_mad_co_u64_u32 v[3:4], null, v9, s18, s[58:59]
	s_delay_alu instid0(VALU_DEP_2) | instskip(SKIP_2) | instid1(VALU_DEP_3)
	v_lshlrev_b64_e32 v[12:13], 1, v[1:2]
	v_mov_b32_e32 v1, 0
	v_mov_b32_e32 v2, 0
	v_add_co_u32 v4, vcc_lo, s8, v12
	s_wait_alu 0xfffd
	s_delay_alu instid0(VALU_DEP_4)
	v_add_co_ci_u32_e64 v12, null, s9, v13, vcc_lo
	s_branch .LBB107_8
.LBB107_7:                              ;   in Loop: Header=BB107_8 Depth=2
	s_add_co_i32 s2, s2, 1
	s_add_nc_u64 s[60:61], s[60:61], s[30:31]
	s_wait_alu 0xfffe
	s_cmp_eq_u32 s2, s7
	s_cbranch_scc1 .LBB107_19
.LBB107_8:                              ;   Parent Loop BB107_3 Depth=1
                                        ; =>  This Loop Header: Depth=2
                                        ;       Child Loop BB107_11 Depth 3
                                        ;         Child Loop BB107_14 Depth 4
                                        ;           Child Loop BB107_17 Depth 5
	s_and_not1_b32 vcc_lo, exec_lo, s68
	s_wait_alu 0xfffe
	s_cbranch_vccnz .LBB107_7
; %bb.9:                                ;   in Loop: Header=BB107_8 Depth=2
	s_mul_u64 s[0:1], s[46:47], s[2:3]
	s_mov_b32 s70, 0
	s_wait_alu 0xfffe
	s_lshl_b64 s[0:1], s[0:1], 1
	s_mov_b64 s[62:63], s[60:61]
	s_wait_alu 0xfffe
	v_add_co_u32 v13, vcc_lo, v4, s0
	s_wait_alu 0xfffd
	v_add_co_ci_u32_e64 v14, null, s1, v12, vcc_lo
	s_branch .LBB107_11
.LBB107_10:                             ;   in Loop: Header=BB107_11 Depth=3
	s_add_co_i32 s70, s70, 1
	s_add_nc_u64 s[62:63], s[62:63], s[34:35]
	s_cmp_eq_u32 s70, s10
	s_cbranch_scc1 .LBB107_7
.LBB107_11:                             ;   Parent Loop BB107_3 Depth=1
                                        ;     Parent Loop BB107_8 Depth=2
                                        ; =>    This Loop Header: Depth=3
                                        ;         Child Loop BB107_14 Depth 4
                                        ;           Child Loop BB107_17 Depth 5
	s_and_not1_b32 vcc_lo, exec_lo, s69
	s_wait_alu 0xfffe
	s_cbranch_vccnz .LBB107_10
; %bb.12:                               ;   in Loop: Header=BB107_11 Depth=3
	s_mul_i32 s0, s70, s13
	s_mov_b64 s[64:65], s[62:63]
	s_wait_alu 0xfffe
	s_sub_co_i32 s0, s0, s19
	s_wait_alu 0xfffe
	v_add_nc_u32_e32 v18, s0, v10
	s_delay_alu instid0(VALU_DEP_1) | instskip(SKIP_4) | instid1(VALU_DEP_1)
	v_mad_co_u64_u32 v[15:16], null, s40, v18, 0
	v_cmp_gt_i32_e32 vcc_lo, 0, v18
	v_cmp_le_i32_e64 s0, s4, v18
	s_or_b32 s71, vcc_lo, s0
	v_mad_co_u64_u32 v[16:17], null, s41, v18, v[16:17]
	v_lshlrev_b64_e32 v[15:16], 1, v[15:16]
	s_delay_alu instid0(VALU_DEP_1) | instskip(SKIP_1) | instid1(VALU_DEP_2)
	v_add_co_u32 v15, s1, v13, v15
	s_wait_alu 0xf1ff
	v_add_co_ci_u32_e64 v16, null, v14, v16, s1
	s_mov_b32 s1, 0
	s_branch .LBB107_14
.LBB107_13:                             ;   in Loop: Header=BB107_14 Depth=4
	s_add_co_i32 s1, s1, 1
	s_add_nc_u64 s[64:65], s[64:65], s[44:45]
	s_wait_alu 0xfffe
	s_cmp_eq_u32 s1, s11
	s_cbranch_scc1 .LBB107_10
.LBB107_14:                             ;   Parent Loop BB107_3 Depth=1
                                        ;     Parent Loop BB107_8 Depth=2
                                        ;       Parent Loop BB107_11 Depth=3
                                        ; =>      This Loop Header: Depth=4
                                        ;           Child Loop BB107_17 Depth 5
	s_and_not1_b32 vcc_lo, exec_lo, s73
	s_wait_alu 0xfffe
	s_cbranch_vccnz .LBB107_13
; %bb.15:                               ;   in Loop: Header=BB107_14 Depth=4
	s_mul_i32 s0, s1, s14
	s_mov_b64 s[66:67], s[64:65]
	s_wait_alu 0xfffe
	s_sub_co_i32 s0, s0, s28
	s_mov_b32 s90, s12
	s_wait_alu 0xfffe
	v_add_nc_u32_e32 v20, s0, v11
	s_delay_alu instid0(VALU_DEP_1) | instskip(NEXT) | instid1(VALU_DEP_1)
	v_mad_co_u64_u32 v[17:18], null, s38, v20, 0
	v_mad_co_u64_u32 v[18:19], null, s39, v20, v[18:19]
	v_mov_b32_e32 v19, v3
	v_cmp_gt_i32_e32 vcc_lo, 0, v20
	v_cmp_le_i32_e64 s0, s5, v20
	s_delay_alu instid0(VALU_DEP_4) | instskip(SKIP_3) | instid1(VALU_DEP_1)
	v_lshlrev_b64_e32 v[17:18], 1, v[17:18]
	s_or_b32 s0, vcc_lo, s0
	s_wait_alu 0xfffe
	s_or_b32 s89, s71, s0
	v_add_co_u32 v17, vcc_lo, v15, v17
	s_wait_alu 0xfffd
	v_add_co_ci_u32_e64 v18, null, v16, v18, vcc_lo
	s_branch .LBB107_17
.LBB107_16:                             ;   in Loop: Header=BB107_17 Depth=5
	s_wait_alu 0xfffe
	s_or_b32 exec_lo, exec_lo, s0
	v_add_nc_u32_e32 v19, s15, v19
	s_add_co_i32 s90, s90, -1
	s_add_nc_u64 s[66:67], s[66:67], s[56:57]
	s_wait_alu 0xfffe
	s_cmp_eq_u32 s90, 0
	s_cbranch_scc1 .LBB107_13
.LBB107_17:                             ;   Parent Loop BB107_3 Depth=1
                                        ;     Parent Loop BB107_8 Depth=2
                                        ;       Parent Loop BB107_11 Depth=3
                                        ;         Parent Loop BB107_14 Depth=4
                                        ; =>        This Inner Loop Header: Depth=5
	v_cmp_gt_i32_e32 vcc_lo, 0, v19
	v_cmp_le_i32_e64 s0, s6, v19
	s_or_b32 s0, vcc_lo, s0
	s_wait_alu 0xfffe
	s_nor_b32 s91, s89, s0
	s_wait_alu 0xfffe
	s_and_saveexec_b32 s0, s91
	s_cbranch_execz .LBB107_16
; %bb.18:                               ;   in Loop: Header=BB107_17 Depth=5
	v_mad_co_u64_u32 v[20:21], null, s36, v19, 0
	s_load_u16 s91, s[66:67], 0x0
	v_mad_co_u64_u32 v[21:22], null, s37, v19, v[21:22]
	s_delay_alu instid0(VALU_DEP_1) | instskip(SKIP_2) | instid1(VALU_DEP_1)
	v_lshlrev_b64_e32 v[20:21], 1, v[20:21]
	s_wait_kmcnt 0x0
	s_lshl_b32 s91, s91, 16
	v_add_co_u32 v20, vcc_lo, v17, v20
	s_wait_alu 0xfffd
	s_delay_alu instid0(VALU_DEP_2)
	v_add_co_ci_u32_e64 v21, null, v18, v21, vcc_lo
	s_wait_alu 0xfffe
	v_cvt_f64_f32_e32 v[22:23], s91
	global_load_u16 v20, v[20:21], off
	s_wait_loadcnt 0x0
	v_lshlrev_b32_e32 v20, 16, v20
	s_delay_alu instid0(VALU_DEP_1) | instskip(NEXT) | instid1(VALU_DEP_1)
	v_cvt_f64_f32_e32 v[20:21], v20
	v_fma_f64 v[1:2], v[20:21], v[22:23], v[1:2]
	s_branch .LBB107_16
.LBB107_19:                             ;   in Loop: Header=BB107_3 Depth=1
	v_ashrrev_i32_e32 v10, 31, v9
	v_mul_lo_u32 v11, s49, v9
	v_mad_co_u64_u32 v[3:4], null, s48, v9, 0
	v_mul_lo_u32 v6, v6, s54
	s_delay_alu instid0(VALU_DEP_4) | instskip(SKIP_3) | instid1(VALU_DEP_1)
	v_mul_lo_u32 v9, s48, v10
	v_ashrrev_i32_e32 v10, 31, v8
	s_and_b32 vcc_lo, exec_lo, s81
	s_mov_b32 s0, -1
	v_mul_lo_u32 v10, s50, v10
	s_delay_alu instid0(VALU_DEP_3) | instskip(SKIP_1) | instid1(VALU_DEP_2)
	v_add3_u32 v4, v4, v9, v11
	v_mul_lo_u32 v9, s51, v8
	v_mad_co_u64_u32 v[3:4], null, s50, v8, v[3:4]
	v_ashrrev_i32_e32 v8, 31, v7
	s_delay_alu instid0(VALU_DEP_1) | instskip(NEXT) | instid1(VALU_DEP_3)
	v_mul_lo_u32 v8, s52, v8
	v_add3_u32 v4, v9, v4, v10
	v_mul_lo_u32 v9, s53, v7
	s_delay_alu instid0(VALU_DEP_2) | instskip(SKIP_1) | instid1(VALU_DEP_2)
	v_mad_co_u64_u32 v[3:4], null, s52, v7, v[3:4]
	v_mul_lo_u32 v7, v5, s55
	v_add3_u32 v4, v9, v4, v8
	s_delay_alu instid0(VALU_DEP_1) | instskip(NEXT) | instid1(VALU_DEP_1)
	v_mad_co_u64_u32 v[3:4], null, v5, s54, v[3:4]
	v_add3_u32 v4, v6, v4, v7
	s_wait_alu 0xfffe
	s_cbranch_vccz .LBB107_21
; %bb.20:                               ;   in Loop: Header=BB107_3 Depth=1
	s_delay_alu instid0(VALU_DEP_1) | instskip(NEXT) | instid1(VALU_DEP_1)
	v_lshlrev_b64_e32 v[5:6], 1, v[3:4]
	v_add_co_u32 v5, vcc_lo, s20, v5
	s_wait_alu 0xfffd
	s_delay_alu instid0(VALU_DEP_2) | instskip(SKIP_3) | instid1(VALU_DEP_1)
	v_add_co_ci_u32_e64 v6, null, s21, v6, vcc_lo
	global_load_u16 v7, v[5:6], off
	s_wait_loadcnt 0x0
	v_lshlrev_b32_e32 v7, 16, v7
	v_cvt_f64_f32_e32 v[7:8], v7
	s_delay_alu instid0(VALU_DEP_1) | instskip(NEXT) | instid1(VALU_DEP_1)
	v_mul_f64_e32 v[7:8], s[26:27], v[7:8]
	v_fma_f64 v[7:8], s[24:25], v[1:2], v[7:8]
	s_delay_alu instid0(VALU_DEP_1) | instskip(NEXT) | instid1(VALU_DEP_1)
	v_cvt_f32_f64_e32 v7, v[7:8]
	v_and_b32_e32 v8, 0x7f800000, v7
	v_and_b32_e32 v9, 0xffff, v7
	v_lshrrev_b32_e32 v7, 16, v7
	s_delay_alu instid0(VALU_DEP_3) | instskip(NEXT) | instid1(VALU_DEP_3)
	v_cmp_eq_u32_e32 vcc_lo, 0x7f800000, v8
	v_cmp_ne_u32_e64 s0, 0, v9
	s_and_b32 s0, vcc_lo, s0
	s_wait_alu 0xfffe
	v_cndmask_b32_e64 v8, 0, 1, s0
	s_mov_b32 s0, 0
	s_delay_alu instid0(VALU_DEP_1)
	v_or_b32_e32 v7, v7, v8
	global_store_b16 v[5:6], v7, off
.LBB107_21:                             ;   in Loop: Header=BB107_3 Depth=1
	s_wait_alu 0xfffe
	s_and_not1_b32 vcc_lo, exec_lo, s0
	s_wait_alu 0xfffe
	s_cbranch_vccnz .LBB107_2
; %bb.22:                               ;   in Loop: Header=BB107_3 Depth=1
	v_cvt_f32_f64_e32 v1, v[1:2]
	s_delay_alu instid0(VALU_DEP_1) | instskip(SKIP_1) | instid1(VALU_DEP_2)
	v_and_b32_e32 v2, 0x7f800000, v1
	v_and_b32_e32 v5, 0xffff, v1
	v_cmp_eq_u32_e32 vcc_lo, 0x7f800000, v2
	s_delay_alu instid0(VALU_DEP_2)
	v_cmp_ne_u32_e64 s0, 0, v5
	v_lshrrev_b32_e32 v5, 16, v1
	v_lshlrev_b64_e32 v[1:2], 1, v[3:4]
	s_and_b32 s0, vcc_lo, s0
	s_wait_alu 0xfffe
	v_cndmask_b32_e64 v6, 0, 1, s0
	s_delay_alu instid0(VALU_DEP_2) | instskip(SKIP_2) | instid1(VALU_DEP_3)
	v_add_co_u32 v1, vcc_lo, s20, v1
	s_wait_alu 0xfffd
	v_add_co_ci_u32_e64 v2, null, s21, v2, vcc_lo
	v_or_b32_e32 v3, v5, v6
	global_store_b16 v[1:2], v3, off
	s_branch .LBB107_2
.LBB107_23:
	s_endpgm
	.section	.rodata,"a",@progbits
	.p2align	6, 0x0
	.amdhsa_kernel naive_conv_ab_nonpacked_wrw_ncdhw_ushort_double_ushort_0
		.amdhsa_group_segment_fixed_size 0
		.amdhsa_private_segment_fixed_size 0
		.amdhsa_kernarg_size 528
		.amdhsa_user_sgpr_count 2
		.amdhsa_user_sgpr_dispatch_ptr 0
		.amdhsa_user_sgpr_queue_ptr 0
		.amdhsa_user_sgpr_kernarg_segment_ptr 1
		.amdhsa_user_sgpr_dispatch_id 0
		.amdhsa_user_sgpr_private_segment_size 0
		.amdhsa_wavefront_size32 1
		.amdhsa_uses_dynamic_stack 0
		.amdhsa_enable_private_segment 0
		.amdhsa_system_sgpr_workgroup_id_x 1
		.amdhsa_system_sgpr_workgroup_id_y 0
		.amdhsa_system_sgpr_workgroup_id_z 0
		.amdhsa_system_sgpr_workgroup_info 0
		.amdhsa_system_vgpr_workitem_id 0
		.amdhsa_next_free_vgpr 24
		.amdhsa_next_free_sgpr 92
		.amdhsa_reserve_vcc 1
		.amdhsa_float_round_mode_32 0
		.amdhsa_float_round_mode_16_64 0
		.amdhsa_float_denorm_mode_32 3
		.amdhsa_float_denorm_mode_16_64 3
		.amdhsa_fp16_overflow 0
		.amdhsa_workgroup_processor_mode 1
		.amdhsa_memory_ordered 1
		.amdhsa_forward_progress 1
		.amdhsa_inst_pref_size 19
		.amdhsa_round_robin_scheduling 0
		.amdhsa_exception_fp_ieee_invalid_op 0
		.amdhsa_exception_fp_denorm_src 0
		.amdhsa_exception_fp_ieee_div_zero 0
		.amdhsa_exception_fp_ieee_overflow 0
		.amdhsa_exception_fp_ieee_underflow 0
		.amdhsa_exception_fp_ieee_inexact 0
		.amdhsa_exception_int_div_zero 0
	.end_amdhsa_kernel
	.text
.Lfunc_end107:
	.size	naive_conv_ab_nonpacked_wrw_ncdhw_ushort_double_ushort_0, .Lfunc_end107-naive_conv_ab_nonpacked_wrw_ncdhw_ushort_double_ushort_0
                                        ; -- End function
	.set naive_conv_ab_nonpacked_wrw_ncdhw_ushort_double_ushort_0.num_vgpr, 24
	.set naive_conv_ab_nonpacked_wrw_ncdhw_ushort_double_ushort_0.num_agpr, 0
	.set naive_conv_ab_nonpacked_wrw_ncdhw_ushort_double_ushort_0.numbered_sgpr, 92
	.set naive_conv_ab_nonpacked_wrw_ncdhw_ushort_double_ushort_0.num_named_barrier, 0
	.set naive_conv_ab_nonpacked_wrw_ncdhw_ushort_double_ushort_0.private_seg_size, 0
	.set naive_conv_ab_nonpacked_wrw_ncdhw_ushort_double_ushort_0.uses_vcc, 1
	.set naive_conv_ab_nonpacked_wrw_ncdhw_ushort_double_ushort_0.uses_flat_scratch, 0
	.set naive_conv_ab_nonpacked_wrw_ncdhw_ushort_double_ushort_0.has_dyn_sized_stack, 0
	.set naive_conv_ab_nonpacked_wrw_ncdhw_ushort_double_ushort_0.has_recursion, 0
	.set naive_conv_ab_nonpacked_wrw_ncdhw_ushort_double_ushort_0.has_indirect_call, 0
	.section	.AMDGPU.csdata,"",@progbits
; Kernel info:
; codeLenInByte = 2388
; TotalNumSgprs: 94
; NumVgprs: 24
; ScratchSize: 0
; MemoryBound: 0
; FloatMode: 240
; IeeeMode: 1
; LDSByteSize: 0 bytes/workgroup (compile time only)
; SGPRBlocks: 0
; VGPRBlocks: 2
; NumSGPRsForWavesPerEU: 94
; NumVGPRsForWavesPerEU: 24
; Occupancy: 16
; WaveLimiterHint : 0
; COMPUTE_PGM_RSRC2:SCRATCH_EN: 0
; COMPUTE_PGM_RSRC2:USER_SGPR: 2
; COMPUTE_PGM_RSRC2:TRAP_HANDLER: 0
; COMPUTE_PGM_RSRC2:TGID_X_EN: 1
; COMPUTE_PGM_RSRC2:TGID_Y_EN: 0
; COMPUTE_PGM_RSRC2:TGID_Z_EN: 0
; COMPUTE_PGM_RSRC2:TIDIG_COMP_CNT: 0
	.text
	.protected	naive_conv_ab_packed_wrw_ndhwc_float_double_float_0 ; -- Begin function naive_conv_ab_packed_wrw_ndhwc_float_double_float_0
	.globl	naive_conv_ab_packed_wrw_ndhwc_float_double_float_0
	.p2align	8
	.type	naive_conv_ab_packed_wrw_ndhwc_float_double_float_0,@function
naive_conv_ab_packed_wrw_ndhwc_float_double_float_0: ; @naive_conv_ab_packed_wrw_ndhwc_float_double_float_0
; %bb.0:
	s_clause 0x2
	s_load_b512 s[4:19], s[0:1], 0xb8
	s_load_b64 s[2:3], s[0:1], 0x108
	s_load_b128 s[28:31], s[0:1], 0xf8
	s_mov_b32 s21, exec_lo
	s_wait_kmcnt 0x0
	s_abs_i32 s37, s8
	s_mul_i32 s45, s2, s9
	s_cvt_f32_u32 s20, s37
	s_mul_i32 s44, s45, s31
	s_delay_alu instid0(SALU_CYCLE_1) | instskip(NEXT) | instid1(SALU_CYCLE_1)
	s_mul_i32 s33, s44, s30
	v_rcp_iflag_f32_e32 v1, s20
	s_delay_alu instid0(TRANS32_DEP_1)
	v_readfirstlane_b32 s20, v1
	v_cmpx_gt_i32_e64 s33, v0
	s_cbranch_execz .LBB108_21
; %bb.1:
	s_mul_f32 s20, s20, 0x4f7ffffe
	s_sub_co_i32 s35, 0, s37
	s_abs_i32 s34, ttmp9
	s_ashr_i32 s41, s8, 31
	s_wait_alu 0xfffe
	s_cvt_u32_f32 s36, s20
	s_clause 0x1
	s_load_b256 s[20:27], s[0:1], 0x0
	s_load_b64 s[42:43], s[0:1], 0x20
	s_mov_b32 s40, s8
	s_mul_i32 s38, s35, s36
	s_mov_b32 s35, 0
	s_mul_hi_u32 s38, s36, s38
	s_mov_b32 s39, s35
	s_add_co_i32 s38, s36, s38
	s_mov_b32 s36, s9
	s_mul_u64 s[38:39], s[34:35], s[38:39]
	s_ashr_i32 s38, ttmp9, 31
	s_mul_i32 s46, s39, s37
	s_xor_b32 s48, s38, s41
	s_sub_co_i32 s34, s34, s46
	s_add_co_i32 s38, s39, 1
	s_sub_co_i32 s47, s34, s37
	s_cmp_ge_u32 s34, s37
	s_mov_b32 s46, s30
	s_cselect_b32 s39, s38, s39
	s_cselect_b32 s34, s47, s34
	s_add_co_i32 s47, s39, 1
	s_cmp_ge_u32 s34, s37
	s_mov_b32 s38, s31
	s_cselect_b32 s34, s47, s39
	s_ashr_i32 s47, s30, 31
	s_xor_b32 s30, s34, s48
	s_wait_kmcnt 0x0
	v_cmp_neq_f64_e64 s34, s[26:27], 0
	s_sub_co_i32 s48, s30, s48
	s_ashr_i32 s37, s9, 31
	s_mul_i32 s30, s48, s8
	s_ashr_i32 s39, s31, 31
	s_sub_co_i32 s50, ttmp9, s30
	v_cmp_neq_f64_e64 s30, s[24:25], 1.0
	s_mul_u64 s[46:47], s[46:47], s[36:37]
	s_ashr_i32 s49, s48, 31
	s_mul_u64 s[46:47], s[46:47], s[38:39]
	s_mul_u64 s[52:53], s[48:49], s[36:37]
	;; [unrolled: 1-line block ×3, first 2 shown]
	s_ashr_i32 s41, s2, 31
	s_mov_b32 s40, s2
	s_ashr_i32 s51, s50, 31
	s_mul_u64 s[46:47], s[46:47], s[40:41]
	s_add_nc_u64 s[54:55], s[48:49], s[50:51]
	s_lshl_b64 s[52:53], s[52:53], 2
	s_mul_u64 s[46:47], s[46:47], s[54:55]
	s_add_nc_u64 s[20:21], s[20:21], s[52:53]
	s_lshl_b64 s[46:47], s[46:47], 2
	s_mul_i32 s60, s3, s9
	s_add_nc_u64 s[22:23], s[22:23], s[46:47]
	s_lshl_b64 s[46:47], s[48:49], 2
	s_lshl_b64 s[48:49], s[50:51], 2
	s_cmp_lt_i32 s7, 1
	s_load_b32 s50, s[0:1], 0x11c
	s_cselect_b32 s39, -1, 0
	s_cmp_gt_i32 s10, 0
	s_add_nc_u64 s[0:1], s[42:43], s[46:47]
	s_cselect_b32 s51, -1, 0
	s_cmp_gt_i32 s11, 0
	s_add_nc_u64 s[42:43], s[0:1], s[48:49]
	s_cselect_b32 s61, -1, 0
	s_cmp_gt_i32 s12, 0
	s_mul_i32 s0, s3, s8
	s_cselect_b32 s62, -1, 0
	s_abs_i32 s63, s9
	s_abs_i32 s68, s2
	s_cvt_f32_u32 s1, s63
	s_abs_i32 s70, s45
	s_abs_i32 s72, s31
	;; [unrolled: 1-line block ×3, first 2 shown]
	v_rcp_iflag_f32_e32 v1, s1
	s_cvt_f32_u32 s1, s68
	s_or_b32 s71, s30, s34
	s_cvt_f32_u32 s30, s70
	s_cvt_f32_u32 s31, s72
	s_wait_alu 0xfffe
	v_rcp_iflag_f32_e32 v2, s1
	s_wait_kmcnt 0x0
	s_and_b32 s73, s50, 0xffff
	s_ashr_i32 s77, s45, 31
	s_sub_co_i32 s53, 0, s63
	s_ashr_i32 s47, s11, 31
	v_readfirstlane_b32 s52, v1
	v_rcp_iflag_f32_e32 v1, s30
	s_mov_b32 s46, s11
	s_ashr_i32 s49, s12, 31
	s_mov_b32 s48, s12
	v_readfirstlane_b32 s34, v2
	v_rcp_iflag_f32_e32 v2, s31
	s_mul_f32 s52, s52, 0x4f7ffffe
	s_sub_co_i32 s31, 0, s68
	s_ashr_i32 s1, s0, 31
	s_mul_f32 s30, s34, 0x4f7ffffe
	s_cvt_f32_u32 s34, s74
	v_readfirstlane_b32 s50, v1
	s_cvt_u32_f32 s52, s52
	s_wait_alu 0xfffe
	s_cvt_u32_f32 s30, s30
	v_rcp_iflag_f32_e32 v1, s34
	s_ashr_i32 s3, s10, 31
	s_mul_f32 s34, s50, 0x4f7ffffe
	v_readfirstlane_b32 s50, v2
	s_wait_alu 0xfffe
	s_mul_i32 s31, s31, s30
	s_mul_i32 s53, s53, s52
	s_wait_alu 0xfffe
	s_mul_hi_u32 s31, s30, s31
	s_mul_hi_u32 s53, s52, s53
	s_wait_alu 0xfffe
	s_add_co_i32 s76, s30, s31
	s_cvt_u32_f32 s30, s34
	v_readfirstlane_b32 s45, v1
	s_mul_f32 s31, s50, 0x4f7ffffe
	s_sub_co_i32 s34, 0, s70
	s_add_co_i32 s75, s52, s53
	s_wait_alu 0xfffe
	s_mul_i32 s34, s34, s30
	s_mul_f32 s45, s45, 0x4f7ffffe
	s_cvt_u32_f32 s50, s31
	s_wait_alu 0xfffe
	s_mul_hi_u32 s31, s30, s34
	s_sub_co_i32 s34, 0, s72
	s_cvt_u32_f32 s52, s45
	s_wait_alu 0xfffe
	s_mul_i32 s34, s34, s50
	s_sub_co_i32 s45, 0, s74
	s_add_co_i32 s78, s30, s31
	s_wait_alu 0xfffe
	s_mul_hi_u32 s34, s50, s34
	s_mul_u64 s[30:31], s[48:49], s[46:47]
	s_mul_i32 s45, s45, s52
	s_mov_b32 s2, s10
	s_wait_alu 0xfffe
	s_add_co_i32 s79, s50, s34
	s_ashr_i32 s80, s44, 31
	s_mul_hi_u32 s34, s52, s45
	s_mul_u64 s[44:45], s[30:31], s[0:1]
	s_mul_u64 s[46:47], s[48:49], s[0:1]
	;; [unrolled: 1-line block ×3, first 2 shown]
	s_ashr_i32 s9, s4, 31
	s_mov_b32 s8, s4
	s_ashr_i32 s64, s5, 31
	s_mov_b32 s65, s5
	;; [unrolled: 2-line block ×3, first 2 shown]
	s_ashr_i32 s69, s60, 31
	s_wait_alu 0xfffe
	s_add_co_i32 s81, s52, s34
	s_lshl_b64 s[30:31], s[2:3], 2
	s_lshl_b64 s[44:45], s[44:45], 2
	;; [unrolled: 1-line block ×4, first 2 shown]
	s_sub_co_i32 s50, 0, s29
	s_mov_b32 s29, 0
	s_branch .LBB108_3
.LBB108_2:                              ;   in Loop: Header=BB108_3 Depth=1
	s_delay_alu instid0(VALU_DEP_1) | instskip(SKIP_1) | instid1(VALU_DEP_1)
	v_cvt_f32_f64_e32 v3, v[3:4]
	v_add_nc_u32_e32 v0, s73, v0
	v_cmp_le_i32_e32 vcc_lo, s33, v0
	s_or_b32 s29, vcc_lo, s29
	global_store_b32 v[1:2], v3, off
	s_and_not1_b32 exec_lo, exec_lo, s29
	s_cbranch_execz .LBB108_21
.LBB108_3:                              ; =>This Loop Header: Depth=1
                                        ;     Child Loop BB108_8 Depth 2
                                        ;       Child Loop BB108_11 Depth 3
                                        ;         Child Loop BB108_14 Depth 4
                                        ;           Child Loop BB108_17 Depth 5
	v_sub_nc_u32_e32 v1, 0, v0
	s_mov_b32 s34, -1
	s_delay_alu instid0(VALU_DEP_1) | instskip(NEXT) | instid1(VALU_DEP_1)
	v_max_i32_e32 v1, v0, v1
	v_mul_hi_u32 v4, v1, s78
	v_mul_hi_u32 v2, v1, s75
	s_delay_alu instid0(VALU_DEP_2) | instskip(NEXT) | instid1(VALU_DEP_2)
	v_mul_lo_u32 v5, v4, s70
	v_mul_lo_u32 v3, v2, s63
	v_add_nc_u32_e32 v8, 1, v4
	s_delay_alu instid0(VALU_DEP_3) | instskip(NEXT) | instid1(VALU_DEP_3)
	v_sub_nc_u32_e32 v5, v1, v5
	v_sub_nc_u32_e32 v6, v1, v3
	v_ashrrev_i32_e32 v3, 31, v0
	s_delay_alu instid0(VALU_DEP_3) | instskip(SKIP_1) | instid1(VALU_DEP_4)
	v_cmp_le_u32_e64 s0, s70, v5
	v_subrev_nc_u32_e32 v9, s70, v5
	v_cmp_le_u32_e32 vcc_lo, s63, v6
	s_delay_alu instid0(VALU_DEP_4) | instskip(SKIP_4) | instid1(VALU_DEP_3)
	v_xor_b32_e32 v10, s77, v3
	s_wait_alu 0xf1ff
	v_cndmask_b32_e64 v4, v4, v8, s0
	v_cndmask_b32_e64 v5, v5, v9, s0
	v_xor_b32_e32 v8, s37, v3
	v_add_nc_u32_e32 v9, 1, v4
	v_add_nc_u32_e32 v7, 1, v2
	s_wait_alu 0xfffd
	s_delay_alu instid0(VALU_DEP_1) | instskip(SKIP_1) | instid1(VALU_DEP_1)
	v_cndmask_b32_e32 v2, v2, v7, vcc_lo
	v_subrev_nc_u32_e32 v7, s63, v6
	v_dual_cndmask_b32 v6, v6, v7 :: v_dual_add_nc_u32 v7, 1, v2
	s_delay_alu instid0(VALU_DEP_1) | instskip(SKIP_1) | instid1(VALU_DEP_2)
	v_cmp_le_u32_e32 vcc_lo, s63, v6
	s_wait_alu 0xfffd
	v_cndmask_b32_e32 v2, v2, v7, vcc_lo
	v_cmp_le_u32_e32 vcc_lo, s70, v5
	s_delay_alu instid0(VALU_DEP_2) | instskip(SKIP_2) | instid1(VALU_DEP_2)
	v_xor_b32_e32 v2, v2, v8
	s_wait_alu 0xfffd
	v_cndmask_b32_e32 v4, v4, v9, vcc_lo
	v_sub_nc_u32_e32 v5, v2, v8
	s_delay_alu instid0(VALU_DEP_2) | instskip(NEXT) | instid1(VALU_DEP_2)
	v_xor_b32_e32 v4, v4, v10
	v_sub_nc_u32_e32 v2, 0, v5
	s_delay_alu instid0(VALU_DEP_2) | instskip(SKIP_1) | instid1(VALU_DEP_3)
	v_sub_nc_u32_e32 v4, v4, v10
	v_mul_lo_u32 v11, v5, s36
	v_max_i32_e32 v2, v5, v2
	s_delay_alu instid0(VALU_DEP_3) | instskip(NEXT) | instid1(VALU_DEP_2)
	v_sub_nc_u32_e32 v6, 0, v4
	v_mul_hi_u32 v8, v2, s76
	s_delay_alu instid0(VALU_DEP_2) | instskip(SKIP_1) | instid1(VALU_DEP_2)
	v_max_i32_e32 v7, v4, v6
	v_mul_hi_u32 v6, v1, s81
	v_mul_hi_u32 v9, v7, s79
	s_delay_alu instid0(VALU_DEP_4) | instskip(NEXT) | instid1(VALU_DEP_3)
	v_mul_lo_u32 v8, v8, s68
	v_mul_lo_u32 v10, v6, s74
	s_delay_alu instid0(VALU_DEP_3) | instskip(NEXT) | instid1(VALU_DEP_3)
	v_mul_lo_u32 v9, v9, s72
	v_sub_nc_u32_e32 v2, v2, v8
	s_delay_alu instid0(VALU_DEP_3) | instskip(NEXT) | instid1(VALU_DEP_2)
	v_sub_nc_u32_e32 v1, v1, v10
	v_cmp_le_u32_e32 vcc_lo, s68, v2
	s_delay_alu instid0(VALU_DEP_4) | instskip(SKIP_1) | instid1(VALU_DEP_4)
	v_sub_nc_u32_e32 v8, v7, v9
	v_subrev_nc_u32_e32 v7, s68, v2
	v_subrev_nc_u32_e32 v9, s74, v1
	v_cmp_le_u32_e64 s3, s74, v1
	s_delay_alu instid0(VALU_DEP_4)
	v_subrev_nc_u32_e32 v10, s72, v8
	s_wait_alu 0xfffd
	v_cndmask_b32_e32 v7, v2, v7, vcc_lo
	v_cmp_le_u32_e32 vcc_lo, s72, v8
	s_wait_alu 0xf1ff
	v_cndmask_b32_e64 v2, v1, v9, s3
	v_sub_nc_u32_e32 v1, v0, v11
	v_cmp_le_u32_e64 s2, s68, v7
	s_wait_alu 0xfffd
	v_cndmask_b32_e32 v8, v8, v10, vcc_lo
	v_cmp_le_u32_e64 s0, s74, v2
	s_and_not1_b32 vcc_lo, exec_lo, s39
	v_cmp_le_u32_e64 s1, s72, v8
	s_wait_alu 0xfffe
	s_cbranch_vccnz .LBB108_5
; %bb.4:                                ;   in Loop: Header=BB108_3 Depth=1
	v_ashrrev_i32_e32 v2, 31, v1
	s_mov_b32 s34, 0
.LBB108_5:                              ;   in Loop: Header=BB108_3 Depth=1
	v_add_nc_u32_e32 v9, 1, v6
	v_subrev_nc_u32_e32 v10, s72, v8
	v_ashrrev_i32_e32 v5, 31, v5
	v_ashrrev_i32_e32 v4, 31, v4
	s_wait_alu 0xfffe
	s_and_not1_b32 vcc_lo, exec_lo, s34
	v_cndmask_b32_e64 v6, v6, v9, s3
	v_subrev_nc_u32_e32 v9, s68, v7
	v_cndmask_b32_e64 v8, v8, v10, s1
	s_delay_alu instid0(VALU_DEP_3) | instskip(NEXT) | instid1(VALU_DEP_3)
	v_add_nc_u32_e32 v11, 1, v6
	v_cndmask_b32_e64 v7, v7, v9, s2
	v_xor_b32_e32 v9, s80, v3
	s_delay_alu instid0(VALU_DEP_3) | instskip(NEXT) | instid1(VALU_DEP_3)
	v_cndmask_b32_e64 v3, v6, v11, s0
	v_xor_b32_e32 v6, v7, v5
	v_xor_b32_e32 v7, v8, v4
	s_delay_alu instid0(VALU_DEP_3) | instskip(NEXT) | instid1(VALU_DEP_3)
	v_xor_b32_e32 v8, v3, v9
	v_sub_nc_u32_e32 v5, v6, v5
	s_delay_alu instid0(VALU_DEP_3)
	v_sub_nc_u32_e32 v6, v7, v4
	v_mov_b32_e32 v3, 0
	v_mov_b32_e32 v4, 0
	v_sub_nc_u32_e32 v12, v8, v9
	s_wait_alu 0xfffe
	s_cbranch_vccnz .LBB108_19
; %bb.6:                                ;   in Loop: Header=BB108_3 Depth=1
	v_ashrrev_i32_e32 v2, 31, v1
	s_delay_alu instid0(VALU_DEP_2) | instskip(SKIP_2) | instid1(VALU_DEP_4)
	v_mul_lo_u32 v13, v12, s16
	v_mul_lo_u32 v14, v6, s17
	v_mad_co_u64_u32 v[7:8], null, v5, s18, s[50:51]
	v_lshlrev_b64_e32 v[9:10], 2, v[1:2]
	v_mov_b32_e32 v3, 0
	v_mov_b32_e32 v4, 0
	s_mov_b32 s34, 0
	s_mov_b64 s[2:3], s[42:43]
	s_delay_alu instid0(VALU_DEP_3)
	v_add_co_u32 v15, vcc_lo, s20, v9
	s_wait_alu 0xfffd
	v_add_co_ci_u32_e64 v16, null, s21, v10, vcc_lo
	s_branch .LBB108_8
.LBB108_7:                              ;   in Loop: Header=BB108_8 Depth=2
	s_add_co_i32 s34, s34, 1
	s_add_nc_u64 s[2:3], s[2:3], s[30:31]
	s_wait_alu 0xfffe
	s_cmp_eq_u32 s34, s7
	s_cbranch_scc1 .LBB108_19
.LBB108_8:                              ;   Parent Loop BB108_3 Depth=1
                                        ; =>  This Loop Header: Depth=2
                                        ;       Child Loop BB108_11 Depth 3
                                        ;         Child Loop BB108_14 Depth 4
                                        ;           Child Loop BB108_17 Depth 5
	s_and_not1_b32 vcc_lo, exec_lo, s51
	s_wait_alu 0xfffe
	s_cbranch_vccnz .LBB108_7
; %bb.9:                                ;   in Loop: Header=BB108_8 Depth=2
	s_mul_u64 s[52:53], s[34:35], s[8:9]
	s_mov_b32 s1, 0
	s_mov_b64 s[54:55], s[2:3]
	s_branch .LBB108_11
.LBB108_10:                             ;   in Loop: Header=BB108_11 Depth=3
	s_add_co_i32 s1, s1, 1
	s_add_nc_u64 s[54:55], s[54:55], s[44:45]
	s_wait_alu 0xfffe
	s_cmp_eq_u32 s1, s10
	s_cbranch_scc1 .LBB108_7
.LBB108_11:                             ;   Parent Loop BB108_3 Depth=1
                                        ;     Parent Loop BB108_8 Depth=2
                                        ; =>    This Loop Header: Depth=3
                                        ;         Child Loop BB108_14 Depth 4
                                        ;           Child Loop BB108_17 Depth 5
	s_and_not1_b32 vcc_lo, exec_lo, s61
	s_wait_alu 0xfffe
	s_cbranch_vccnz .LBB108_10
; %bb.12:                               ;   in Loop: Header=BB108_11 Depth=3
	s_mul_i32 s0, s1, s13
	s_mov_b32 s82, 0
	s_wait_alu 0xfffe
	s_sub_co_i32 s0, s0, s19
	s_mov_b64 s[56:57], s[54:55]
	s_wait_alu 0xfffe
	v_add_nc_u32_e32 v10, s0, v13
	s_delay_alu instid0(VALU_DEP_1) | instskip(SKIP_3) | instid1(VALU_DEP_3)
	v_add_co_u32 v8, s0, s52, v10
	s_wait_alu 0xf1ff
	v_add_co_ci_u32_e64 v9, null, s53, 0, s0
	v_cmp_gt_i32_e32 vcc_lo, 0, v10
	v_mul_lo_u32 v17, v8, s64
	v_cmp_le_i32_e64 s0, s4, v10
	s_delay_alu instid0(VALU_DEP_4)
	v_mul_lo_u32 v11, v9, s65
	v_mad_co_u64_u32 v[8:9], null, v8, s65, 0
	s_or_b32 s83, vcc_lo, s0
	v_add3_u32 v9, v9, v17, v11
	s_branch .LBB108_14
.LBB108_13:                             ;   in Loop: Header=BB108_14 Depth=4
	s_add_co_i32 s82, s82, 1
	s_add_nc_u64 s[56:57], s[56:57], s[46:47]
	s_cmp_eq_u32 s82, s11
	s_cbranch_scc1 .LBB108_10
.LBB108_14:                             ;   Parent Loop BB108_3 Depth=1
                                        ;     Parent Loop BB108_8 Depth=2
                                        ;       Parent Loop BB108_11 Depth=3
                                        ; =>      This Loop Header: Depth=4
                                        ;           Child Loop BB108_17 Depth 5
	s_and_not1_b32 vcc_lo, exec_lo, s62
	s_wait_alu 0xfffe
	s_cbranch_vccnz .LBB108_13
; %bb.15:                               ;   in Loop: Header=BB108_14 Depth=4
	s_mul_i32 s0, s82, s14
	s_mov_b64 s[58:59], s[56:57]
	s_wait_alu 0xfffe
	s_sub_co_i32 s0, s0, s28
	s_mov_b32 s85, s12
	s_wait_alu 0xfffe
	v_add_nc_u32_e32 v17, s0, v14
	s_delay_alu instid0(VALU_DEP_1) | instskip(SKIP_3) | instid1(VALU_DEP_3)
	v_add_co_u32 v10, vcc_lo, v8, v17
	s_wait_alu 0xfffd
	v_add_co_ci_u32_e64 v11, null, 0, v9, vcc_lo
	v_cmp_gt_i32_e32 vcc_lo, 0, v17
	v_mul_lo_u32 v19, v10, s66
	v_cmp_le_i32_e64 s0, s5, v17
	s_delay_alu instid0(VALU_DEP_4) | instskip(SKIP_2) | instid1(VALU_DEP_4)
	v_mul_lo_u32 v18, v11, s67
	v_mad_co_u64_u32 v[10:11], null, v10, s67, 0
	v_mov_b32_e32 v17, v7
	s_or_b32 s0, vcc_lo, s0
	s_wait_alu 0xfffe
	s_or_b32 s84, s83, s0
	s_delay_alu instid0(VALU_DEP_2)
	v_add3_u32 v11, v11, v19, v18
	s_branch .LBB108_17
.LBB108_16:                             ;   in Loop: Header=BB108_17 Depth=5
	s_wait_alu 0xfffe
	s_or_b32 exec_lo, exec_lo, s0
	v_add_nc_u32_e32 v17, s15, v17
	s_add_co_i32 s85, s85, -1
	s_add_nc_u64 s[58:59], s[58:59], s[48:49]
	s_cmp_eq_u32 s85, 0
	s_cbranch_scc1 .LBB108_13
.LBB108_17:                             ;   Parent Loop BB108_3 Depth=1
                                        ;     Parent Loop BB108_8 Depth=2
                                        ;       Parent Loop BB108_11 Depth=3
                                        ;         Parent Loop BB108_14 Depth=4
                                        ; =>        This Inner Loop Header: Depth=5
	v_cmp_gt_i32_e32 vcc_lo, 0, v17
	v_cmp_le_i32_e64 s0, s6, v17
	s_or_b32 s0, vcc_lo, s0
	s_wait_alu 0xfffe
	s_nor_b32 s86, s84, s0
	s_wait_alu 0xfffe
	s_and_saveexec_b32 s0, s86
	s_cbranch_execz .LBB108_16
; %bb.18:                               ;   in Loop: Header=BB108_17 Depth=5
	v_add_co_u32 v18, vcc_lo, v10, v17
	s_wait_alu 0xfffd
	v_add_co_ci_u32_e64 v19, null, 0, v11, vcc_lo
	s_load_b32 s86, s[58:59], 0x0
	v_mul_lo_u32 v21, v18, s69
	v_mul_lo_u32 v20, v19, s60
	v_mad_co_u64_u32 v[18:19], null, v18, s60, 0
	s_delay_alu instid0(VALU_DEP_1) | instskip(NEXT) | instid1(VALU_DEP_1)
	v_add3_u32 v19, v19, v21, v20
	v_lshlrev_b64_e32 v[18:19], 2, v[18:19]
	s_wait_kmcnt 0x0
	v_cvt_f64_f32_e32 v[20:21], s86
	s_delay_alu instid0(VALU_DEP_2) | instskip(SKIP_1) | instid1(VALU_DEP_3)
	v_add_co_u32 v18, vcc_lo, v15, v18
	s_wait_alu 0xfffd
	v_add_co_ci_u32_e64 v19, null, v16, v19, vcc_lo
	global_load_b32 v18, v[18:19], off
	s_wait_loadcnt 0x0
	v_cvt_f64_f32_e32 v[18:19], v18
	s_delay_alu instid0(VALU_DEP_1)
	v_fma_f64 v[3:4], v[18:19], v[20:21], v[3:4]
	s_branch .LBB108_16
.LBB108_19:                             ;   in Loop: Header=BB108_3 Depth=1
	v_ashrrev_i32_e32 v7, 31, v6
	v_lshlrev_b64_e32 v[1:2], 2, v[1:2]
	s_delay_alu instid0(VALU_DEP_2) | instskip(SKIP_1) | instid1(VALU_DEP_1)
	v_mad_co_i64_i32 v[7:8], null, v12, s38, v[6:7]
	v_ashrrev_i32_e32 v6, 31, v5
	v_mad_co_u64_u32 v[5:6], null, v7, s40, v[5:6]
	v_mul_lo_u32 v7, v7, s41
	s_delay_alu instid0(VALU_DEP_4) | instskip(NEXT) | instid1(VALU_DEP_1)
	v_mul_lo_u32 v8, v8, s40
	v_add3_u32 v7, v8, v6, v7
	s_delay_alu instid0(VALU_DEP_4) | instskip(SKIP_1) | instid1(VALU_DEP_3)
	v_mul_lo_u32 v8, v5, s37
	v_mad_co_u64_u32 v[5:6], null, v5, s36, 0
	v_mul_lo_u32 v7, v7, s36
	s_delay_alu instid0(VALU_DEP_1) | instskip(NEXT) | instid1(VALU_DEP_1)
	v_add3_u32 v6, v6, v8, v7
	v_lshlrev_b64_e32 v[5:6], 2, v[5:6]
	s_delay_alu instid0(VALU_DEP_1) | instskip(SKIP_1) | instid1(VALU_DEP_2)
	v_add_co_u32 v5, vcc_lo, s22, v5
	s_wait_alu 0xfffd
	v_add_co_ci_u32_e64 v6, null, s23, v6, vcc_lo
	s_delay_alu instid0(VALU_DEP_2) | instskip(SKIP_1) | instid1(VALU_DEP_2)
	v_add_co_u32 v1, vcc_lo, v5, v1
	s_wait_alu 0xfffd
	v_add_co_ci_u32_e64 v2, null, v6, v2, vcc_lo
	s_and_not1_b32 vcc_lo, exec_lo, s71
	s_wait_alu 0xfffe
	s_cbranch_vccnz .LBB108_2
; %bb.20:                               ;   in Loop: Header=BB108_3 Depth=1
	global_load_b32 v5, v[1:2], off
	s_wait_loadcnt 0x0
	v_cvt_f64_f32_e32 v[5:6], v5
	s_delay_alu instid0(VALU_DEP_1) | instskip(NEXT) | instid1(VALU_DEP_1)
	v_mul_f64_e32 v[5:6], s[26:27], v[5:6]
	v_fma_f64 v[3:4], s[24:25], v[3:4], v[5:6]
	s_branch .LBB108_2
.LBB108_21:
	s_endpgm
	.section	.rodata,"a",@progbits
	.p2align	6, 0x0
	.amdhsa_kernel naive_conv_ab_packed_wrw_ndhwc_float_double_float_0
		.amdhsa_group_segment_fixed_size 0
		.amdhsa_private_segment_fixed_size 0
		.amdhsa_kernarg_size 528
		.amdhsa_user_sgpr_count 2
		.amdhsa_user_sgpr_dispatch_ptr 0
		.amdhsa_user_sgpr_queue_ptr 0
		.amdhsa_user_sgpr_kernarg_segment_ptr 1
		.amdhsa_user_sgpr_dispatch_id 0
		.amdhsa_user_sgpr_private_segment_size 0
		.amdhsa_wavefront_size32 1
		.amdhsa_uses_dynamic_stack 0
		.amdhsa_enable_private_segment 0
		.amdhsa_system_sgpr_workgroup_id_x 1
		.amdhsa_system_sgpr_workgroup_id_y 0
		.amdhsa_system_sgpr_workgroup_id_z 0
		.amdhsa_system_sgpr_workgroup_info 0
		.amdhsa_system_vgpr_workitem_id 0
		.amdhsa_next_free_vgpr 22
		.amdhsa_next_free_sgpr 87
		.amdhsa_reserve_vcc 1
		.amdhsa_float_round_mode_32 0
		.amdhsa_float_round_mode_16_64 0
		.amdhsa_float_denorm_mode_32 3
		.amdhsa_float_denorm_mode_16_64 3
		.amdhsa_fp16_overflow 0
		.amdhsa_workgroup_processor_mode 1
		.amdhsa_memory_ordered 1
		.amdhsa_forward_progress 1
		.amdhsa_inst_pref_size 18
		.amdhsa_round_robin_scheduling 0
		.amdhsa_exception_fp_ieee_invalid_op 0
		.amdhsa_exception_fp_denorm_src 0
		.amdhsa_exception_fp_ieee_div_zero 0
		.amdhsa_exception_fp_ieee_overflow 0
		.amdhsa_exception_fp_ieee_underflow 0
		.amdhsa_exception_fp_ieee_inexact 0
		.amdhsa_exception_int_div_zero 0
	.end_amdhsa_kernel
	.text
.Lfunc_end108:
	.size	naive_conv_ab_packed_wrw_ndhwc_float_double_float_0, .Lfunc_end108-naive_conv_ab_packed_wrw_ndhwc_float_double_float_0
                                        ; -- End function
	.set naive_conv_ab_packed_wrw_ndhwc_float_double_float_0.num_vgpr, 22
	.set naive_conv_ab_packed_wrw_ndhwc_float_double_float_0.num_agpr, 0
	.set naive_conv_ab_packed_wrw_ndhwc_float_double_float_0.numbered_sgpr, 87
	.set naive_conv_ab_packed_wrw_ndhwc_float_double_float_0.num_named_barrier, 0
	.set naive_conv_ab_packed_wrw_ndhwc_float_double_float_0.private_seg_size, 0
	.set naive_conv_ab_packed_wrw_ndhwc_float_double_float_0.uses_vcc, 1
	.set naive_conv_ab_packed_wrw_ndhwc_float_double_float_0.uses_flat_scratch, 0
	.set naive_conv_ab_packed_wrw_ndhwc_float_double_float_0.has_dyn_sized_stack, 0
	.set naive_conv_ab_packed_wrw_ndhwc_float_double_float_0.has_recursion, 0
	.set naive_conv_ab_packed_wrw_ndhwc_float_double_float_0.has_indirect_call, 0
	.section	.AMDGPU.csdata,"",@progbits
; Kernel info:
; codeLenInByte = 2200
; TotalNumSgprs: 89
; NumVgprs: 22
; ScratchSize: 0
; MemoryBound: 0
; FloatMode: 240
; IeeeMode: 1
; LDSByteSize: 0 bytes/workgroup (compile time only)
; SGPRBlocks: 0
; VGPRBlocks: 2
; NumSGPRsForWavesPerEU: 89
; NumVGPRsForWavesPerEU: 22
; Occupancy: 16
; WaveLimiterHint : 0
; COMPUTE_PGM_RSRC2:SCRATCH_EN: 0
; COMPUTE_PGM_RSRC2:USER_SGPR: 2
; COMPUTE_PGM_RSRC2:TRAP_HANDLER: 0
; COMPUTE_PGM_RSRC2:TGID_X_EN: 1
; COMPUTE_PGM_RSRC2:TGID_Y_EN: 0
; COMPUTE_PGM_RSRC2:TGID_Z_EN: 0
; COMPUTE_PGM_RSRC2:TIDIG_COMP_CNT: 0
	.text
	.protected	naive_conv_ab_nonpacked_wrw_ndhwc_float_double_float_0 ; -- Begin function naive_conv_ab_nonpacked_wrw_ndhwc_float_double_float_0
	.globl	naive_conv_ab_nonpacked_wrw_ndhwc_float_double_float_0
	.p2align	8
	.type	naive_conv_ab_nonpacked_wrw_ndhwc_float_double_float_0,@function
naive_conv_ab_nonpacked_wrw_ndhwc_float_double_float_0: ; @naive_conv_ab_nonpacked_wrw_ndhwc_float_double_float_0
; %bb.0:
	s_clause 0x2
	s_load_b512 s[4:19], s[0:1], 0xb8
	s_load_b32 s73, s[0:1], 0x108
	s_load_b128 s[28:31], s[0:1], 0xf8
	s_mov_b32 s20, exec_lo
	s_wait_kmcnt 0x0
	s_abs_i32 s2, s8
	s_mul_i32 s82, s73, s9
	s_cvt_f32_u32 s3, s2
	s_mul_i32 s85, s82, s31
	s_delay_alu instid0(SALU_CYCLE_1) | instskip(NEXT) | instid1(SALU_CYCLE_1)
	s_mul_i32 s33, s85, s30
	v_rcp_iflag_f32_e32 v1, s3
	s_delay_alu instid0(TRANS32_DEP_1)
	v_readfirstlane_b32 s3, v1
	v_cmpx_gt_i32_e64 s33, v0
	s_cbranch_execz .LBB109_21
; %bb.1:
	s_mul_f32 s3, s3, 0x4f7ffffe
	s_sub_co_i32 s20, 0, s2
	s_mov_b32 s35, 0
	s_abs_i32 s34, ttmp9
	s_wait_alu 0xfffe
	s_cvt_u32_f32 s3, s3
	s_mov_b32 s37, s35
	s_ashr_i32 s30, s8, 31
	s_load_b64 s[74:75], s[0:1], 0x20
	s_mul_i32 s20, s20, s3
	s_delay_alu instid0(SALU_CYCLE_1) | instskip(NEXT) | instid1(SALU_CYCLE_1)
	s_mul_hi_u32 s20, s3, s20
	s_add_co_i32 s36, s3, s20
	s_ashr_i32 s3, ttmp9, 31
	s_mul_u64 s[68:69], s[34:35], s[36:37]
	s_load_b256 s[20:27], s[0:1], 0x0
	s_mul_i32 s68, s69, s2
	s_clause 0x1
	s_load_b512 s[36:51], s[0:1], 0x28
	s_load_b512 s[52:67], s[0:1], 0x68
	s_xor_b32 s3, s3, s30
	s_sub_co_i32 s30, s34, s68
	s_add_co_i32 s34, s69, 1
	s_sub_co_i32 s68, s30, s2
	s_cmp_ge_u32 s30, s2
	s_cselect_b32 s34, s34, s69
	s_cselect_b32 s30, s68, s30
	s_add_co_i32 s68, s34, 1
	s_cmp_ge_u32 s30, s2
	s_cselect_b32 s2, s68, s34
	s_wait_alu 0xfffe
	s_xor_b32 s2, s2, s3
	s_wait_alu 0xfffe
	s_sub_co_i32 s2, s2, s3
	s_wait_alu 0xfffe
	s_mul_i32 s8, s2, s8
	s_ashr_i32 s3, s2, 31
	s_sub_co_i32 s68, ttmp9, s8
	s_wait_kmcnt 0x0
	v_cmp_neq_f64_e64 s30, s[24:25], 1.0
	v_cmp_neq_f64_e64 s34, s[26:27], 0
	s_wait_alu 0xfffe
	s_mul_u64 s[38:39], s[38:39], s[2:3]
	s_mul_u64 s[58:59], s[58:59], s[2:3]
	;; [unrolled: 1-line block ×3, first 2 shown]
	s_ashr_i32 s69, s68, 31
	s_wait_alu 0xfffe
	s_lshl_b64 s[62:63], s[2:3], 2
	s_mul_u64 s[2:3], s[56:57], s[68:69]
	s_mul_u64 s[56:57], s[60:61], s[68:69]
	s_lshl_b64 s[38:39], s[38:39], 2
	s_lshl_b64 s[58:59], s[58:59], 2
	s_wait_alu 0xfffe
	s_lshl_b64 s[60:61], s[2:3], 2
	s_lshl_b64 s[56:57], s[56:57], 2
	s_cmp_lt_i32 s7, 1
	s_load_b32 s8, s[0:1], 0x11c
	s_cselect_b32 s68, -1, 0
	s_cmp_gt_i32 s10, 0
	s_add_nc_u64 s[22:23], s[22:23], s[58:59]
	s_cselect_b32 s69, -1, 0
	s_cmp_gt_i32 s11, 0
	s_add_nc_u64 s[20:21], s[20:21], s[38:39]
	;; [unrolled: 3-line block ×3, first 2 shown]
	s_cselect_b32 s71, -1, 0
	s_abs_i32 s72, s9
	s_abs_i32 s73, s73
	s_cvt_f32_u32 s76, s72
	s_cvt_f32_u32 s58, s73
	s_abs_i32 s75, s82
	s_add_nc_u64 s[38:39], s[38:39], s[56:57]
	v_rcp_iflag_f32_e32 v1, s76
	v_rcp_iflag_f32_e32 v2, s58
	s_abs_i32 s77, s31
	s_wait_kmcnt 0x0
	s_and_b32 s74, s8, 0xffff
	s_cvt_f32_u32 s8, s75
	s_abs_i32 s78, s85
	s_sub_co_i32 s31, 0, s72
	s_cvt_f32_u32 s58, s78
	s_or_b32 s79, s30, s34
	s_load_b128 s[0:3], s[0:1], 0xa8
	v_readfirstlane_b32 s56, v1
	v_rcp_iflag_f32_e32 v1, s8
	v_readfirstlane_b32 s57, v2
	s_add_nc_u64 s[22:23], s[22:23], s[60:61]
	s_ashr_i32 s76, s9, 31
	s_mul_f32 s8, s56, 0x4f7ffffe
	s_cvt_f32_u32 s56, s77
	s_mul_f32 s30, s57, 0x4f7ffffe
	s_ashr_i32 s82, s82, 31
	s_wait_alu 0xfffe
	s_cvt_u32_f32 s8, s8
	v_rcp_iflag_f32_e32 v2, s56
	v_readfirstlane_b32 s34, v1
	v_rcp_iflag_f32_e32 v1, s58
	s_cvt_u32_f32 s30, s30
	s_wait_alu 0xfffe
	s_mul_i32 s31, s31, s8
	s_sub_co_i32 s56, 0, s73
	s_mul_f32 s34, s34, 0x4f7ffffe
	s_mul_hi_u32 s31, s8, s31
	s_wait_alu 0xfffe
	s_mul_i32 s56, s56, s30
	s_add_co_i32 s80, s8, s31
	s_wait_alu 0xfffe
	s_mul_hi_u32 s8, s30, s56
	s_cvt_u32_f32 s31, s34
	v_readfirstlane_b32 s34, v2
	s_wait_alu 0xfffe
	s_add_co_i32 s81, s30, s8
	v_readfirstlane_b32 s30, v1
	s_sub_co_i32 s8, 0, s75
	s_ashr_i32 s85, s85, 31
	s_mul_f32 s34, s34, 0x4f7ffffe
	s_wait_alu 0xfffe
	s_mul_i32 s8, s8, s31
	s_mul_f32 s30, s30, 0x4f7ffffe
	s_wait_alu 0xfffe
	s_mul_hi_u32 s8, s31, s8
	s_cvt_u32_f32 s34, s34
	s_wait_alu 0xfffe
	s_add_co_i32 s83, s31, s8
	s_sub_co_i32 s8, 0, s77
	s_cvt_u32_f32 s30, s30
	s_wait_alu 0xfffe
	s_mul_i32 s8, s8, s34
	s_sub_co_i32 s31, 0, s78
	s_wait_alu 0xfffe
	s_mul_hi_u32 s8, s34, s8
	s_mul_i32 s31, s31, s30
	s_wait_alu 0xfffe
	s_add_co_i32 s84, s34, s8
	s_mul_hi_u32 s8, s30, s31
	s_wait_kmcnt 0x0
	s_lshl_b64 s[56:57], s[0:1], 2
	s_wait_alu 0xfffe
	s_add_co_i32 s86, s30, s8
	s_lshl_b64 s[30:31], s[2:3], 2
	s_lshl_b64 s[58:59], s[66:67], 2
	;; [unrolled: 1-line block ×3, first 2 shown]
	s_sub_co_i32 s8, 0, s29
	s_mov_b32 s29, 0
	s_branch .LBB109_3
.LBB109_2:                              ;   in Loop: Header=BB109_3 Depth=1
	s_delay_alu instid0(VALU_DEP_1) | instskip(SKIP_1) | instid1(VALU_DEP_1)
	v_cvt_f32_f64_e32 v1, v[1:2]
	v_add_nc_u32_e32 v0, s74, v0
	v_cmp_le_i32_e32 vcc_lo, s33, v0
	s_or_b32 s29, vcc_lo, s29
	global_store_b32 v[3:4], v1, off
	s_and_not1_b32 exec_lo, exec_lo, s29
	s_cbranch_execz .LBB109_21
.LBB109_3:                              ; =>This Loop Header: Depth=1
                                        ;     Child Loop BB109_8 Depth 2
                                        ;       Child Loop BB109_11 Depth 3
                                        ;         Child Loop BB109_14 Depth 4
                                        ;           Child Loop BB109_17 Depth 5
	v_sub_nc_u32_e32 v1, 0, v0
	s_mov_b32 s34, -1
	s_delay_alu instid0(VALU_DEP_1) | instskip(NEXT) | instid1(VALU_DEP_1)
	v_max_i32_e32 v5, v0, v1
	v_mul_hi_u32 v2, v5, s80
	v_mul_hi_u32 v3, v5, s83
	s_delay_alu instid0(VALU_DEP_2) | instskip(NEXT) | instid1(VALU_DEP_2)
	v_mul_lo_u32 v1, v2, s72
	v_mul_lo_u32 v4, v3, s75
	v_add_nc_u32_e32 v7, 1, v2
	s_delay_alu instid0(VALU_DEP_3) | instskip(NEXT) | instid1(VALU_DEP_3)
	v_sub_nc_u32_e32 v6, v5, v1
	v_sub_nc_u32_e32 v4, v5, v4
	v_ashrrev_i32_e32 v1, 31, v0
	s_delay_alu instid0(VALU_DEP_3) | instskip(NEXT) | instid1(VALU_DEP_3)
	v_cmp_le_u32_e32 vcc_lo, s72, v6
	v_subrev_nc_u32_e32 v9, s75, v4
	v_cmp_le_u32_e64 s0, s75, v4
	s_delay_alu instid0(VALU_DEP_4)
	v_xor_b32_e32 v10, s82, v1
	s_wait_alu 0xfffd
	v_cndmask_b32_e32 v2, v2, v7, vcc_lo
	v_subrev_nc_u32_e32 v7, s72, v6
	s_wait_alu 0xf1ff
	v_cndmask_b32_e64 v4, v4, v9, s0
	s_delay_alu instid0(VALU_DEP_2) | instskip(NEXT) | instid1(VALU_DEP_1)
	v_dual_cndmask_b32 v6, v6, v7 :: v_dual_add_nc_u32 v7, 1, v2
	v_cmp_le_u32_e32 vcc_lo, s72, v6
	s_wait_alu 0xfffd
	s_delay_alu instid0(VALU_DEP_2) | instskip(SKIP_2) | instid1(VALU_DEP_1)
	v_cndmask_b32_e32 v2, v2, v7, vcc_lo
	v_cmp_le_u32_e32 vcc_lo, s75, v4
	v_add_nc_u32_e32 v8, 1, v3
	v_cndmask_b32_e64 v3, v3, v8, s0
	v_xor_b32_e32 v8, s76, v1
	s_delay_alu instid0(VALU_DEP_2) | instskip(NEXT) | instid1(VALU_DEP_2)
	v_add_nc_u32_e32 v9, 1, v3
	v_xor_b32_e32 v2, v2, v8
	s_wait_alu 0xfffd
	s_delay_alu instid0(VALU_DEP_2) | instskip(NEXT) | instid1(VALU_DEP_1)
	v_cndmask_b32_e32 v3, v3, v9, vcc_lo
	v_xor_b32_e32 v4, v3, v10
	s_delay_alu instid0(VALU_DEP_3) | instskip(NEXT) | instid1(VALU_DEP_2)
	v_sub_nc_u32_e32 v3, v2, v8
	v_sub_nc_u32_e32 v2, v4, v10
	s_delay_alu instid0(VALU_DEP_2) | instskip(SKIP_1) | instid1(VALU_DEP_3)
	v_sub_nc_u32_e32 v4, 0, v3
	v_mul_lo_u32 v11, v3, s9
	v_sub_nc_u32_e32 v6, 0, v2
	s_delay_alu instid0(VALU_DEP_3) | instskip(SKIP_1) | instid1(VALU_DEP_3)
	v_max_i32_e32 v7, v3, v4
	v_mul_hi_u32 v4, v5, s86
	v_max_i32_e32 v6, v2, v6
	s_delay_alu instid0(VALU_DEP_3) | instskip(NEXT) | instid1(VALU_DEP_2)
	v_mul_hi_u32 v8, v7, s81
	v_mul_hi_u32 v9, v6, s84
	s_delay_alu instid0(VALU_DEP_4) | instskip(NEXT) | instid1(VALU_DEP_3)
	v_mul_lo_u32 v10, v4, s78
	v_mul_lo_u32 v8, v8, s73
	s_delay_alu instid0(VALU_DEP_3) | instskip(NEXT) | instid1(VALU_DEP_3)
	v_mul_lo_u32 v9, v9, s77
	v_sub_nc_u32_e32 v5, v5, v10
	s_delay_alu instid0(VALU_DEP_3) | instskip(NEXT) | instid1(VALU_DEP_2)
	v_sub_nc_u32_e32 v7, v7, v8
	v_cmp_le_u32_e64 s3, s78, v5
	s_delay_alu instid0(VALU_DEP_4) | instskip(NEXT) | instid1(VALU_DEP_3)
	v_sub_nc_u32_e32 v6, v6, v9
	v_subrev_nc_u32_e32 v8, s73, v7
	v_cmp_le_u32_e32 vcc_lo, s73, v7
	v_subrev_nc_u32_e32 v9, s78, v5
	s_delay_alu instid0(VALU_DEP_4) | instskip(SKIP_3) | instid1(VALU_DEP_2)
	v_subrev_nc_u32_e32 v10, s77, v6
	s_wait_alu 0xfffd
	v_cndmask_b32_e32 v7, v7, v8, vcc_lo
	v_cmp_le_u32_e32 vcc_lo, s77, v6
	v_cmp_le_u32_e64 s2, s73, v7
	s_wait_alu 0xfffd
	v_cndmask_b32_e32 v8, v6, v10, vcc_lo
	s_wait_alu 0xf1ff
	v_cndmask_b32_e64 v6, v5, v9, s3
	v_sub_nc_u32_e32 v5, v0, v11
	s_and_not1_b32 vcc_lo, exec_lo, s68
	v_cmp_le_u32_e64 s1, s77, v8
	s_delay_alu instid0(VALU_DEP_3)
	v_cmp_le_u32_e64 s0, s78, v6
                                        ; implicit-def: $vgpr6
	s_wait_alu 0xfffe
	s_cbranch_vccnz .LBB109_5
; %bb.4:                                ;   in Loop: Header=BB109_3 Depth=1
	v_ashrrev_i32_e32 v6, 31, v5
	s_mov_b32 s34, 0
.LBB109_5:                              ;   in Loop: Header=BB109_3 Depth=1
	v_add_nc_u32_e32 v9, 1, v4
	v_subrev_nc_u32_e32 v10, s77, v8
	v_ashrrev_i32_e32 v2, 31, v2
	v_ashrrev_i32_e32 v3, 31, v3
	s_and_not1_b32 vcc_lo, exec_lo, s34
	v_cndmask_b32_e64 v4, v4, v9, s3
	v_subrev_nc_u32_e32 v9, s73, v7
	s_wait_alu 0xf1ff
	v_cndmask_b32_e64 v8, v8, v10, s1
	s_delay_alu instid0(VALU_DEP_3) | instskip(NEXT) | instid1(VALU_DEP_3)
	v_add_nc_u32_e32 v11, 1, v4
	v_cndmask_b32_e64 v7, v7, v9, s2
	v_xor_b32_e32 v9, s85, v1
	s_delay_alu instid0(VALU_DEP_4) | instskip(NEXT) | instid1(VALU_DEP_4)
	v_xor_b32_e32 v8, v8, v2
	v_cndmask_b32_e64 v1, v4, v11, s0
	s_delay_alu instid0(VALU_DEP_4) | instskip(NEXT) | instid1(VALU_DEP_3)
	v_xor_b32_e32 v4, v7, v3
	v_sub_nc_u32_e32 v8, v8, v2
	s_delay_alu instid0(VALU_DEP_3) | instskip(SKIP_1) | instid1(VALU_DEP_4)
	v_xor_b32_e32 v10, v1, v9
	v_mov_b32_e32 v1, 0
	v_sub_nc_u32_e32 v7, v4, v3
	v_mov_b32_e32 v2, 0
	s_delay_alu instid0(VALU_DEP_4)
	v_sub_nc_u32_e32 v9, v10, v9
	s_wait_alu 0xfffe
	s_cbranch_vccnz .LBB109_19
; %bb.6:                                ;   in Loop: Header=BB109_3 Depth=1
	v_ashrrev_i32_e32 v6, 31, v5
	v_mul_lo_u32 v3, s37, v5
	v_mad_co_u64_u32 v[1:2], null, s36, v5, 0
	v_mul_lo_u32 v10, v9, s16
	s_delay_alu instid0(VALU_DEP_4) | instskip(SKIP_3) | instid1(VALU_DEP_2)
	v_mul_lo_u32 v4, s36, v6
	v_mul_lo_u32 v11, v8, s17
	s_mov_b32 s34, 0
	s_mov_b64 s[2:3], s[38:39]
	v_add3_u32 v2, v2, v4, v3
	v_mad_co_u64_u32 v[3:4], null, v7, s18, s[8:9]
	s_delay_alu instid0(VALU_DEP_2) | instskip(SKIP_2) | instid1(VALU_DEP_3)
	v_lshlrev_b64_e32 v[12:13], 2, v[1:2]
	v_mov_b32_e32 v1, 0
	v_mov_b32_e32 v2, 0
	v_add_co_u32 v4, vcc_lo, s20, v12
	s_wait_alu 0xfffd
	s_delay_alu instid0(VALU_DEP_4)
	v_add_co_ci_u32_e64 v12, null, s21, v13, vcc_lo
	s_branch .LBB109_8
.LBB109_7:                              ;   in Loop: Header=BB109_8 Depth=2
	s_add_co_i32 s34, s34, 1
	s_add_nc_u64 s[2:3], s[2:3], s[30:31]
	s_cmp_eq_u32 s34, s7
	s_cbranch_scc1 .LBB109_19
.LBB109_8:                              ;   Parent Loop BB109_3 Depth=1
                                        ; =>  This Loop Header: Depth=2
                                        ;       Child Loop BB109_11 Depth 3
                                        ;         Child Loop BB109_14 Depth 4
                                        ;           Child Loop BB109_17 Depth 5
	s_and_not1_b32 vcc_lo, exec_lo, s69
	s_wait_alu 0xfffe
	s_cbranch_vccnz .LBB109_7
; %bb.9:                                ;   in Loop: Header=BB109_8 Depth=2
	s_mul_u64 s[0:1], s[46:47], s[34:35]
	s_mov_b32 s87, 0
	s_wait_alu 0xfffe
	s_lshl_b64 s[0:1], s[0:1], 2
	s_mov_b64 s[62:63], s[2:3]
	s_wait_alu 0xfffe
	v_add_co_u32 v13, vcc_lo, v4, s0
	s_wait_alu 0xfffd
	v_add_co_ci_u32_e64 v14, null, s1, v12, vcc_lo
	s_branch .LBB109_11
.LBB109_10:                             ;   in Loop: Header=BB109_11 Depth=3
	s_add_co_i32 s87, s87, 1
	s_add_nc_u64 s[62:63], s[62:63], s[56:57]
	s_wait_alu 0xfffe
	s_cmp_eq_u32 s87, s10
	s_cbranch_scc1 .LBB109_7
.LBB109_11:                             ;   Parent Loop BB109_3 Depth=1
                                        ;     Parent Loop BB109_8 Depth=2
                                        ; =>    This Loop Header: Depth=3
                                        ;         Child Loop BB109_14 Depth 4
                                        ;           Child Loop BB109_17 Depth 5
	s_and_not1_b32 vcc_lo, exec_lo, s70
	s_wait_alu 0xfffe
	s_cbranch_vccnz .LBB109_10
; %bb.12:                               ;   in Loop: Header=BB109_11 Depth=3
	s_mul_i32 s0, s87, s13
	s_mov_b64 s[64:65], s[62:63]
	s_wait_alu 0xfffe
	s_sub_co_i32 s0, s0, s19
	s_wait_alu 0xfffe
	v_add_nc_u32_e32 v18, s0, v10
	s_delay_alu instid0(VALU_DEP_1) | instskip(SKIP_4) | instid1(VALU_DEP_1)
	v_mad_co_u64_u32 v[15:16], null, s44, v18, 0
	v_cmp_gt_i32_e32 vcc_lo, 0, v18
	v_cmp_le_i32_e64 s0, s4, v18
	s_or_b32 s88, vcc_lo, s0
	v_mad_co_u64_u32 v[16:17], null, s45, v18, v[16:17]
	v_lshlrev_b64_e32 v[15:16], 2, v[15:16]
	s_delay_alu instid0(VALU_DEP_1) | instskip(SKIP_1) | instid1(VALU_DEP_2)
	v_add_co_u32 v15, s1, v13, v15
	s_wait_alu 0xf1ff
	v_add_co_ci_u32_e64 v16, null, v14, v16, s1
	s_mov_b32 s1, 0
	s_branch .LBB109_14
.LBB109_13:                             ;   in Loop: Header=BB109_14 Depth=4
	s_add_co_i32 s1, s1, 1
	s_add_nc_u64 s[64:65], s[64:65], s[58:59]
	s_wait_alu 0xfffe
	s_cmp_eq_u32 s1, s11
	s_cbranch_scc1 .LBB109_10
.LBB109_14:                             ;   Parent Loop BB109_3 Depth=1
                                        ;     Parent Loop BB109_8 Depth=2
                                        ;       Parent Loop BB109_11 Depth=3
                                        ; =>      This Loop Header: Depth=4
                                        ;           Child Loop BB109_17 Depth 5
	s_and_not1_b32 vcc_lo, exec_lo, s71
	s_wait_alu 0xfffe
	s_cbranch_vccnz .LBB109_13
; %bb.15:                               ;   in Loop: Header=BB109_14 Depth=4
	s_mul_i32 s0, s1, s14
	s_mov_b64 s[66:67], s[64:65]
	s_wait_alu 0xfffe
	s_sub_co_i32 s0, s0, s28
	s_mov_b32 s90, s12
	s_wait_alu 0xfffe
	v_add_nc_u32_e32 v20, s0, v11
	s_delay_alu instid0(VALU_DEP_1) | instskip(NEXT) | instid1(VALU_DEP_1)
	v_mad_co_u64_u32 v[17:18], null, s42, v20, 0
	v_mad_co_u64_u32 v[18:19], null, s43, v20, v[18:19]
	v_mov_b32_e32 v19, v3
	v_cmp_gt_i32_e32 vcc_lo, 0, v20
	v_cmp_le_i32_e64 s0, s5, v20
	s_delay_alu instid0(VALU_DEP_4) | instskip(SKIP_3) | instid1(VALU_DEP_1)
	v_lshlrev_b64_e32 v[17:18], 2, v[17:18]
	s_or_b32 s0, vcc_lo, s0
	s_wait_alu 0xfffe
	s_or_b32 s89, s88, s0
	v_add_co_u32 v17, vcc_lo, v15, v17
	s_wait_alu 0xfffd
	v_add_co_ci_u32_e64 v18, null, v16, v18, vcc_lo
	s_branch .LBB109_17
.LBB109_16:                             ;   in Loop: Header=BB109_17 Depth=5
	s_wait_alu 0xfffe
	s_or_b32 exec_lo, exec_lo, s0
	v_add_nc_u32_e32 v19, s15, v19
	s_add_co_i32 s90, s90, -1
	s_add_nc_u64 s[66:67], s[66:67], s[60:61]
	s_wait_alu 0xfffe
	s_cmp_eq_u32 s90, 0
	s_cbranch_scc1 .LBB109_13
.LBB109_17:                             ;   Parent Loop BB109_3 Depth=1
                                        ;     Parent Loop BB109_8 Depth=2
                                        ;       Parent Loop BB109_11 Depth=3
                                        ;         Parent Loop BB109_14 Depth=4
                                        ; =>        This Inner Loop Header: Depth=5
	v_cmp_gt_i32_e32 vcc_lo, 0, v19
	v_cmp_le_i32_e64 s0, s6, v19
	s_or_b32 s0, vcc_lo, s0
	s_wait_alu 0xfffe
	s_nor_b32 s91, s89, s0
	s_wait_alu 0xfffe
	s_and_saveexec_b32 s0, s91
	s_cbranch_execz .LBB109_16
; %bb.18:                               ;   in Loop: Header=BB109_17 Depth=5
	v_mad_co_u64_u32 v[20:21], null, s40, v19, 0
	s_load_b32 s91, s[66:67], 0x0
	v_mad_co_u64_u32 v[21:22], null, s41, v19, v[21:22]
	s_delay_alu instid0(VALU_DEP_1) | instskip(SKIP_2) | instid1(VALU_DEP_2)
	v_lshlrev_b64_e32 v[20:21], 2, v[20:21]
	s_wait_kmcnt 0x0
	v_cvt_f64_f32_e32 v[22:23], s91
	v_add_co_u32 v20, vcc_lo, v17, v20
	s_wait_alu 0xfffd
	s_delay_alu instid0(VALU_DEP_3) | instskip(SKIP_3) | instid1(VALU_DEP_1)
	v_add_co_ci_u32_e64 v21, null, v18, v21, vcc_lo
	global_load_b32 v20, v[20:21], off
	s_wait_loadcnt 0x0
	v_cvt_f64_f32_e32 v[20:21], v20
	v_fma_f64 v[1:2], v[20:21], v[22:23], v[1:2]
	s_branch .LBB109_16
.LBB109_19:                             ;   in Loop: Header=BB109_3 Depth=1
	s_delay_alu instid0(VALU_DEP_1) | instskip(SKIP_3) | instid1(VALU_DEP_4)
	v_ashrrev_i32_e32 v10, 31, v9
	v_mul_lo_u32 v11, s55, v9
	v_mad_co_u64_u32 v[3:4], null, s54, v9, 0
	v_ashrrev_i32_e32 v12, 31, v8
	v_mul_lo_u32 v10, s54, v10
	v_mul_lo_u32 v13, s53, v8
	v_ashrrev_i32_e32 v14, 31, v7
	v_mad_co_u64_u32 v[8:9], null, s52, v8, 0
	v_mul_lo_u32 v12, s52, v12
	v_mul_lo_u32 v15, s51, v7
	s_delay_alu instid0(VALU_DEP_4)
	v_mul_lo_u32 v14, s50, v14
	v_add3_u32 v4, v4, v10, v11
	v_mad_co_u64_u32 v[10:11], null, s50, v7, 0
	v_mul_lo_u32 v7, v6, s48
	v_mul_lo_u32 v16, v5, s49
	v_mad_co_u64_u32 v[5:6], null, v5, s48, 0
	v_add3_u32 v9, v9, v12, v13
	v_lshlrev_b64_e32 v[3:4], 2, v[3:4]
	v_add3_u32 v11, v11, v14, v15
	s_delay_alu instid0(VALU_DEP_4) | instskip(NEXT) | instid1(VALU_DEP_4)
	v_add3_u32 v6, v6, v16, v7
	v_lshlrev_b64_e32 v[7:8], 2, v[8:9]
	s_delay_alu instid0(VALU_DEP_4) | instskip(SKIP_3) | instid1(VALU_DEP_3)
	v_add_co_u32 v9, vcc_lo, s22, v3
	s_wait_alu 0xfffd
	v_add_co_ci_u32_e64 v12, null, s23, v4, vcc_lo
	v_lshlrev_b64_e32 v[3:4], 2, v[10:11]
	v_add_co_u32 v7, vcc_lo, v9, v7
	s_wait_alu 0xfffd
	s_delay_alu instid0(VALU_DEP_3) | instskip(SKIP_1) | instid1(VALU_DEP_3)
	v_add_co_ci_u32_e64 v8, null, v12, v8, vcc_lo
	v_lshlrev_b64_e32 v[5:6], 2, v[5:6]
	v_add_co_u32 v3, vcc_lo, v7, v3
	s_wait_alu 0xfffd
	s_delay_alu instid0(VALU_DEP_3) | instskip(NEXT) | instid1(VALU_DEP_2)
	v_add_co_ci_u32_e64 v4, null, v8, v4, vcc_lo
	v_add_co_u32 v3, vcc_lo, v3, v5
	s_wait_alu 0xfffd
	s_delay_alu instid0(VALU_DEP_2)
	v_add_co_ci_u32_e64 v4, null, v4, v6, vcc_lo
	s_and_not1_b32 vcc_lo, exec_lo, s79
	s_wait_alu 0xfffe
	s_cbranch_vccnz .LBB109_2
; %bb.20:                               ;   in Loop: Header=BB109_3 Depth=1
	global_load_b32 v5, v[3:4], off
	s_wait_loadcnt 0x0
	v_cvt_f64_f32_e32 v[5:6], v5
	s_delay_alu instid0(VALU_DEP_1) | instskip(NEXT) | instid1(VALU_DEP_1)
	v_mul_f64_e32 v[5:6], s[26:27], v[5:6]
	v_fma_f64 v[1:2], s[24:25], v[1:2], v[5:6]
	s_branch .LBB109_2
.LBB109_21:
	s_endpgm
	.section	.rodata,"a",@progbits
	.p2align	6, 0x0
	.amdhsa_kernel naive_conv_ab_nonpacked_wrw_ndhwc_float_double_float_0
		.amdhsa_group_segment_fixed_size 0
		.amdhsa_private_segment_fixed_size 0
		.amdhsa_kernarg_size 528
		.amdhsa_user_sgpr_count 2
		.amdhsa_user_sgpr_dispatch_ptr 0
		.amdhsa_user_sgpr_queue_ptr 0
		.amdhsa_user_sgpr_kernarg_segment_ptr 1
		.amdhsa_user_sgpr_dispatch_id 0
		.amdhsa_user_sgpr_private_segment_size 0
		.amdhsa_wavefront_size32 1
		.amdhsa_uses_dynamic_stack 0
		.amdhsa_enable_private_segment 0
		.amdhsa_system_sgpr_workgroup_id_x 1
		.amdhsa_system_sgpr_workgroup_id_y 0
		.amdhsa_system_sgpr_workgroup_id_z 0
		.amdhsa_system_sgpr_workgroup_info 0
		.amdhsa_system_vgpr_workitem_id 0
		.amdhsa_next_free_vgpr 24
		.amdhsa_next_free_sgpr 92
		.amdhsa_reserve_vcc 1
		.amdhsa_float_round_mode_32 0
		.amdhsa_float_round_mode_16_64 0
		.amdhsa_float_denorm_mode_32 3
		.amdhsa_float_denorm_mode_16_64 3
		.amdhsa_fp16_overflow 0
		.amdhsa_workgroup_processor_mode 1
		.amdhsa_memory_ordered 1
		.amdhsa_forward_progress 1
		.amdhsa_inst_pref_size 18
		.amdhsa_round_robin_scheduling 0
		.amdhsa_exception_fp_ieee_invalid_op 0
		.amdhsa_exception_fp_denorm_src 0
		.amdhsa_exception_fp_ieee_div_zero 0
		.amdhsa_exception_fp_ieee_overflow 0
		.amdhsa_exception_fp_ieee_underflow 0
		.amdhsa_exception_fp_ieee_inexact 0
		.amdhsa_exception_int_div_zero 0
	.end_amdhsa_kernel
	.text
.Lfunc_end109:
	.size	naive_conv_ab_nonpacked_wrw_ndhwc_float_double_float_0, .Lfunc_end109-naive_conv_ab_nonpacked_wrw_ndhwc_float_double_float_0
                                        ; -- End function
	.set naive_conv_ab_nonpacked_wrw_ndhwc_float_double_float_0.num_vgpr, 24
	.set naive_conv_ab_nonpacked_wrw_ndhwc_float_double_float_0.num_agpr, 0
	.set naive_conv_ab_nonpacked_wrw_ndhwc_float_double_float_0.numbered_sgpr, 92
	.set naive_conv_ab_nonpacked_wrw_ndhwc_float_double_float_0.num_named_barrier, 0
	.set naive_conv_ab_nonpacked_wrw_ndhwc_float_double_float_0.private_seg_size, 0
	.set naive_conv_ab_nonpacked_wrw_ndhwc_float_double_float_0.uses_vcc, 1
	.set naive_conv_ab_nonpacked_wrw_ndhwc_float_double_float_0.uses_flat_scratch, 0
	.set naive_conv_ab_nonpacked_wrw_ndhwc_float_double_float_0.has_dyn_sized_stack, 0
	.set naive_conv_ab_nonpacked_wrw_ndhwc_float_double_float_0.has_recursion, 0
	.set naive_conv_ab_nonpacked_wrw_ndhwc_float_double_float_0.has_indirect_call, 0
	.section	.AMDGPU.csdata,"",@progbits
; Kernel info:
; codeLenInByte = 2276
; TotalNumSgprs: 94
; NumVgprs: 24
; ScratchSize: 0
; MemoryBound: 0
; FloatMode: 240
; IeeeMode: 1
; LDSByteSize: 0 bytes/workgroup (compile time only)
; SGPRBlocks: 0
; VGPRBlocks: 2
; NumSGPRsForWavesPerEU: 94
; NumVGPRsForWavesPerEU: 24
; Occupancy: 16
; WaveLimiterHint : 0
; COMPUTE_PGM_RSRC2:SCRATCH_EN: 0
; COMPUTE_PGM_RSRC2:USER_SGPR: 2
; COMPUTE_PGM_RSRC2:TRAP_HANDLER: 0
; COMPUTE_PGM_RSRC2:TGID_X_EN: 1
; COMPUTE_PGM_RSRC2:TGID_Y_EN: 0
; COMPUTE_PGM_RSRC2:TGID_Z_EN: 0
; COMPUTE_PGM_RSRC2:TIDIG_COMP_CNT: 0
	.text
	.protected	naive_conv_ab_packed_wrw_ndhwc_float_double_float_1 ; -- Begin function naive_conv_ab_packed_wrw_ndhwc_float_double_float_1
	.globl	naive_conv_ab_packed_wrw_ndhwc_float_double_float_1
	.p2align	8
	.type	naive_conv_ab_packed_wrw_ndhwc_float_double_float_1,@function
naive_conv_ab_packed_wrw_ndhwc_float_double_float_1: ; @naive_conv_ab_packed_wrw_ndhwc_float_double_float_1
; %bb.0:
	s_clause 0x2
	s_load_b512 s[4:19], s[0:1], 0xb8
	s_load_b64 s[2:3], s[0:1], 0x108
	s_load_b128 s[28:31], s[0:1], 0xf8
	s_mov_b32 s21, exec_lo
	s_wait_kmcnt 0x0
	s_abs_i32 s37, s8
	s_mul_i32 s45, s2, s9
	s_cvt_f32_u32 s20, s37
	s_mul_i32 s44, s45, s31
	s_delay_alu instid0(SALU_CYCLE_1) | instskip(NEXT) | instid1(SALU_CYCLE_1)
	s_mul_i32 s33, s44, s30
	v_rcp_iflag_f32_e32 v1, s20
	s_delay_alu instid0(TRANS32_DEP_1)
	v_readfirstlane_b32 s20, v1
	v_cmpx_gt_i32_e64 s33, v0
	s_cbranch_execz .LBB110_21
; %bb.1:
	s_mul_f32 s20, s20, 0x4f7ffffe
	s_sub_co_i32 s35, 0, s37
	s_abs_i32 s34, ttmp9
	s_ashr_i32 s41, s8, 31
	s_wait_alu 0xfffe
	s_cvt_u32_f32 s36, s20
	s_clause 0x1
	s_load_b256 s[20:27], s[0:1], 0x0
	s_load_b64 s[42:43], s[0:1], 0x20
	s_mov_b32 s40, s8
	s_mul_i32 s38, s35, s36
	s_mov_b32 s35, 0
	s_mul_hi_u32 s38, s36, s38
	s_mov_b32 s39, s35
	s_add_co_i32 s38, s36, s38
	s_mov_b32 s36, s9
	s_mul_u64 s[38:39], s[34:35], s[38:39]
	s_ashr_i32 s38, ttmp9, 31
	s_mul_i32 s46, s39, s37
	s_xor_b32 s48, s38, s41
	s_sub_co_i32 s34, s34, s46
	s_add_co_i32 s38, s39, 1
	s_sub_co_i32 s47, s34, s37
	s_cmp_ge_u32 s34, s37
	s_mov_b32 s46, s30
	s_cselect_b32 s39, s38, s39
	s_cselect_b32 s34, s47, s34
	s_add_co_i32 s47, s39, 1
	s_cmp_ge_u32 s34, s37
	s_mov_b32 s38, s31
	s_cselect_b32 s34, s47, s39
	s_ashr_i32 s47, s30, 31
	s_xor_b32 s30, s34, s48
	s_wait_kmcnt 0x0
	v_cmp_neq_f64_e64 s34, s[26:27], 0
	s_sub_co_i32 s48, s30, s48
	s_ashr_i32 s37, s9, 31
	s_mul_i32 s30, s48, s8
	s_ashr_i32 s39, s31, 31
	s_sub_co_i32 s50, ttmp9, s30
	v_cmp_neq_f64_e64 s30, s[24:25], 1.0
	s_mul_u64 s[46:47], s[46:47], s[36:37]
	s_ashr_i32 s49, s48, 31
	s_mul_u64 s[46:47], s[46:47], s[38:39]
	s_mul_u64 s[52:53], s[48:49], s[36:37]
	;; [unrolled: 1-line block ×3, first 2 shown]
	s_ashr_i32 s41, s2, 31
	s_mov_b32 s40, s2
	s_ashr_i32 s51, s50, 31
	s_mul_u64 s[46:47], s[46:47], s[40:41]
	s_add_nc_u64 s[54:55], s[48:49], s[50:51]
	s_lshl_b64 s[52:53], s[52:53], 2
	s_mul_u64 s[46:47], s[46:47], s[54:55]
	s_add_nc_u64 s[20:21], s[20:21], s[52:53]
	s_lshl_b64 s[46:47], s[46:47], 2
	s_mul_i32 s60, s3, s9
	s_add_nc_u64 s[22:23], s[22:23], s[46:47]
	s_lshl_b64 s[46:47], s[48:49], 2
	s_lshl_b64 s[48:49], s[50:51], 2
	s_cmp_lt_i32 s7, 1
	s_load_b32 s50, s[0:1], 0x11c
	s_cselect_b32 s39, -1, 0
	s_cmp_gt_i32 s10, 0
	s_add_nc_u64 s[0:1], s[42:43], s[46:47]
	s_cselect_b32 s51, -1, 0
	s_cmp_gt_i32 s11, 0
	s_add_nc_u64 s[42:43], s[0:1], s[48:49]
	s_cselect_b32 s61, -1, 0
	s_cmp_gt_i32 s12, 0
	s_mul_i32 s0, s3, s8
	s_cselect_b32 s62, -1, 0
	s_abs_i32 s63, s9
	s_abs_i32 s68, s2
	s_cvt_f32_u32 s1, s63
	s_abs_i32 s70, s45
	s_abs_i32 s72, s31
	;; [unrolled: 1-line block ×3, first 2 shown]
	v_rcp_iflag_f32_e32 v1, s1
	s_cvt_f32_u32 s1, s68
	s_or_b32 s71, s30, s34
	s_cvt_f32_u32 s30, s70
	s_cvt_f32_u32 s31, s72
	s_wait_alu 0xfffe
	v_rcp_iflag_f32_e32 v2, s1
	s_wait_kmcnt 0x0
	s_and_b32 s73, s50, 0xffff
	s_ashr_i32 s77, s45, 31
	s_sub_co_i32 s53, 0, s63
	s_ashr_i32 s47, s11, 31
	v_readfirstlane_b32 s52, v1
	v_rcp_iflag_f32_e32 v1, s30
	s_mov_b32 s46, s11
	s_ashr_i32 s49, s12, 31
	s_mov_b32 s48, s12
	v_readfirstlane_b32 s34, v2
	v_rcp_iflag_f32_e32 v2, s31
	s_mul_f32 s52, s52, 0x4f7ffffe
	s_sub_co_i32 s31, 0, s68
	s_ashr_i32 s1, s0, 31
	s_mul_f32 s30, s34, 0x4f7ffffe
	s_cvt_f32_u32 s34, s74
	v_readfirstlane_b32 s50, v1
	s_cvt_u32_f32 s52, s52
	s_wait_alu 0xfffe
	s_cvt_u32_f32 s30, s30
	v_rcp_iflag_f32_e32 v1, s34
	s_ashr_i32 s3, s10, 31
	s_mul_f32 s34, s50, 0x4f7ffffe
	v_readfirstlane_b32 s50, v2
	s_wait_alu 0xfffe
	s_mul_i32 s31, s31, s30
	s_mul_i32 s53, s53, s52
	s_wait_alu 0xfffe
	s_mul_hi_u32 s31, s30, s31
	s_mul_hi_u32 s53, s52, s53
	s_wait_alu 0xfffe
	s_add_co_i32 s76, s30, s31
	s_cvt_u32_f32 s30, s34
	v_readfirstlane_b32 s45, v1
	s_mul_f32 s31, s50, 0x4f7ffffe
	s_sub_co_i32 s34, 0, s70
	s_add_co_i32 s75, s52, s53
	s_wait_alu 0xfffe
	s_mul_i32 s34, s34, s30
	s_mul_f32 s45, s45, 0x4f7ffffe
	s_cvt_u32_f32 s50, s31
	s_wait_alu 0xfffe
	s_mul_hi_u32 s31, s30, s34
	s_sub_co_i32 s34, 0, s72
	s_cvt_u32_f32 s52, s45
	s_wait_alu 0xfffe
	s_mul_i32 s34, s34, s50
	s_sub_co_i32 s45, 0, s74
	s_add_co_i32 s78, s30, s31
	s_wait_alu 0xfffe
	s_mul_hi_u32 s34, s50, s34
	s_mul_u64 s[30:31], s[48:49], s[46:47]
	s_mul_i32 s45, s45, s52
	s_mov_b32 s2, s10
	s_wait_alu 0xfffe
	s_add_co_i32 s79, s50, s34
	s_ashr_i32 s80, s44, 31
	s_mul_hi_u32 s34, s52, s45
	s_mul_u64 s[44:45], s[30:31], s[0:1]
	s_mul_u64 s[46:47], s[48:49], s[0:1]
	;; [unrolled: 1-line block ×3, first 2 shown]
	s_ashr_i32 s9, s4, 31
	s_mov_b32 s8, s4
	s_ashr_i32 s64, s5, 31
	s_mov_b32 s65, s5
	;; [unrolled: 2-line block ×3, first 2 shown]
	s_ashr_i32 s69, s60, 31
	s_wait_alu 0xfffe
	s_add_co_i32 s81, s52, s34
	s_lshl_b64 s[30:31], s[2:3], 2
	s_lshl_b64 s[44:45], s[44:45], 2
	;; [unrolled: 1-line block ×4, first 2 shown]
	s_sub_co_i32 s50, 0, s29
	s_mov_b32 s29, 0
	s_branch .LBB110_3
.LBB110_2:                              ;   in Loop: Header=BB110_3 Depth=1
	s_delay_alu instid0(VALU_DEP_1) | instskip(SKIP_1) | instid1(VALU_DEP_1)
	v_cvt_f32_f64_e32 v3, v[3:4]
	v_add_nc_u32_e32 v0, s73, v0
	v_cmp_le_i32_e32 vcc_lo, s33, v0
	s_or_b32 s29, vcc_lo, s29
	global_store_b32 v[1:2], v3, off
	s_and_not1_b32 exec_lo, exec_lo, s29
	s_cbranch_execz .LBB110_21
.LBB110_3:                              ; =>This Loop Header: Depth=1
                                        ;     Child Loop BB110_8 Depth 2
                                        ;       Child Loop BB110_11 Depth 3
                                        ;         Child Loop BB110_14 Depth 4
                                        ;           Child Loop BB110_17 Depth 5
	v_sub_nc_u32_e32 v1, 0, v0
	s_mov_b32 s34, -1
	s_delay_alu instid0(VALU_DEP_1) | instskip(NEXT) | instid1(VALU_DEP_1)
	v_max_i32_e32 v1, v0, v1
	v_mul_hi_u32 v4, v1, s78
	v_mul_hi_u32 v2, v1, s75
	s_delay_alu instid0(VALU_DEP_2) | instskip(NEXT) | instid1(VALU_DEP_2)
	v_mul_lo_u32 v5, v4, s70
	v_mul_lo_u32 v3, v2, s63
	v_add_nc_u32_e32 v8, 1, v4
	s_delay_alu instid0(VALU_DEP_3) | instskip(NEXT) | instid1(VALU_DEP_3)
	v_sub_nc_u32_e32 v5, v1, v5
	v_sub_nc_u32_e32 v6, v1, v3
	v_ashrrev_i32_e32 v3, 31, v0
	s_delay_alu instid0(VALU_DEP_3) | instskip(SKIP_1) | instid1(VALU_DEP_4)
	v_cmp_le_u32_e64 s0, s70, v5
	v_subrev_nc_u32_e32 v9, s70, v5
	v_cmp_le_u32_e32 vcc_lo, s63, v6
	s_delay_alu instid0(VALU_DEP_4) | instskip(SKIP_4) | instid1(VALU_DEP_3)
	v_xor_b32_e32 v10, s77, v3
	s_wait_alu 0xf1ff
	v_cndmask_b32_e64 v4, v4, v8, s0
	v_cndmask_b32_e64 v5, v5, v9, s0
	v_xor_b32_e32 v8, s37, v3
	v_add_nc_u32_e32 v9, 1, v4
	v_add_nc_u32_e32 v7, 1, v2
	s_wait_alu 0xfffd
	s_delay_alu instid0(VALU_DEP_1) | instskip(SKIP_1) | instid1(VALU_DEP_1)
	v_cndmask_b32_e32 v2, v2, v7, vcc_lo
	v_subrev_nc_u32_e32 v7, s63, v6
	v_dual_cndmask_b32 v6, v6, v7 :: v_dual_add_nc_u32 v7, 1, v2
	s_delay_alu instid0(VALU_DEP_1) | instskip(SKIP_1) | instid1(VALU_DEP_2)
	v_cmp_le_u32_e32 vcc_lo, s63, v6
	s_wait_alu 0xfffd
	v_cndmask_b32_e32 v2, v2, v7, vcc_lo
	v_cmp_le_u32_e32 vcc_lo, s70, v5
	s_delay_alu instid0(VALU_DEP_2) | instskip(SKIP_2) | instid1(VALU_DEP_2)
	v_xor_b32_e32 v2, v2, v8
	s_wait_alu 0xfffd
	v_cndmask_b32_e32 v4, v4, v9, vcc_lo
	v_sub_nc_u32_e32 v5, v2, v8
	s_delay_alu instid0(VALU_DEP_2) | instskip(NEXT) | instid1(VALU_DEP_2)
	v_xor_b32_e32 v4, v4, v10
	v_sub_nc_u32_e32 v2, 0, v5
	s_delay_alu instid0(VALU_DEP_2) | instskip(SKIP_1) | instid1(VALU_DEP_3)
	v_sub_nc_u32_e32 v4, v4, v10
	v_mul_lo_u32 v11, v5, s36
	v_max_i32_e32 v2, v5, v2
	s_delay_alu instid0(VALU_DEP_3) | instskip(NEXT) | instid1(VALU_DEP_2)
	v_sub_nc_u32_e32 v6, 0, v4
	v_mul_hi_u32 v8, v2, s76
	s_delay_alu instid0(VALU_DEP_2) | instskip(SKIP_1) | instid1(VALU_DEP_2)
	v_max_i32_e32 v7, v4, v6
	v_mul_hi_u32 v6, v1, s81
	v_mul_hi_u32 v9, v7, s79
	s_delay_alu instid0(VALU_DEP_4) | instskip(NEXT) | instid1(VALU_DEP_3)
	v_mul_lo_u32 v8, v8, s68
	v_mul_lo_u32 v10, v6, s74
	s_delay_alu instid0(VALU_DEP_3) | instskip(NEXT) | instid1(VALU_DEP_3)
	v_mul_lo_u32 v9, v9, s72
	v_sub_nc_u32_e32 v2, v2, v8
	s_delay_alu instid0(VALU_DEP_3) | instskip(NEXT) | instid1(VALU_DEP_2)
	v_sub_nc_u32_e32 v1, v1, v10
	v_cmp_le_u32_e32 vcc_lo, s68, v2
	s_delay_alu instid0(VALU_DEP_4) | instskip(SKIP_1) | instid1(VALU_DEP_4)
	v_sub_nc_u32_e32 v8, v7, v9
	v_subrev_nc_u32_e32 v7, s68, v2
	v_subrev_nc_u32_e32 v9, s74, v1
	v_cmp_le_u32_e64 s3, s74, v1
	s_delay_alu instid0(VALU_DEP_4)
	v_subrev_nc_u32_e32 v10, s72, v8
	s_wait_alu 0xfffd
	v_cndmask_b32_e32 v7, v2, v7, vcc_lo
	v_cmp_le_u32_e32 vcc_lo, s72, v8
	s_wait_alu 0xf1ff
	v_cndmask_b32_e64 v2, v1, v9, s3
	v_sub_nc_u32_e32 v1, v0, v11
	v_cmp_le_u32_e64 s2, s68, v7
	s_wait_alu 0xfffd
	v_cndmask_b32_e32 v8, v8, v10, vcc_lo
	v_cmp_le_u32_e64 s0, s74, v2
	s_and_not1_b32 vcc_lo, exec_lo, s39
	v_cmp_le_u32_e64 s1, s72, v8
	s_wait_alu 0xfffe
	s_cbranch_vccnz .LBB110_5
; %bb.4:                                ;   in Loop: Header=BB110_3 Depth=1
	v_ashrrev_i32_e32 v2, 31, v1
	s_mov_b32 s34, 0
.LBB110_5:                              ;   in Loop: Header=BB110_3 Depth=1
	v_add_nc_u32_e32 v9, 1, v6
	v_subrev_nc_u32_e32 v10, s72, v8
	v_ashrrev_i32_e32 v5, 31, v5
	v_ashrrev_i32_e32 v4, 31, v4
	s_wait_alu 0xfffe
	s_and_not1_b32 vcc_lo, exec_lo, s34
	v_cndmask_b32_e64 v6, v6, v9, s3
	v_subrev_nc_u32_e32 v9, s68, v7
	v_cndmask_b32_e64 v8, v8, v10, s1
	s_delay_alu instid0(VALU_DEP_3) | instskip(NEXT) | instid1(VALU_DEP_3)
	v_add_nc_u32_e32 v11, 1, v6
	v_cndmask_b32_e64 v7, v7, v9, s2
	v_xor_b32_e32 v9, s80, v3
	s_delay_alu instid0(VALU_DEP_3) | instskip(NEXT) | instid1(VALU_DEP_3)
	v_cndmask_b32_e64 v3, v6, v11, s0
	v_xor_b32_e32 v6, v7, v5
	v_xor_b32_e32 v7, v8, v4
	s_delay_alu instid0(VALU_DEP_3) | instskip(NEXT) | instid1(VALU_DEP_3)
	v_xor_b32_e32 v8, v3, v9
	v_sub_nc_u32_e32 v5, v6, v5
	s_delay_alu instid0(VALU_DEP_3)
	v_sub_nc_u32_e32 v6, v7, v4
	v_mov_b32_e32 v3, 0
	v_mov_b32_e32 v4, 0
	v_sub_nc_u32_e32 v12, v8, v9
	s_wait_alu 0xfffe
	s_cbranch_vccnz .LBB110_19
; %bb.6:                                ;   in Loop: Header=BB110_3 Depth=1
	v_ashrrev_i32_e32 v2, 31, v1
	s_delay_alu instid0(VALU_DEP_2) | instskip(SKIP_2) | instid1(VALU_DEP_4)
	v_mul_lo_u32 v13, v12, s16
	v_mul_lo_u32 v14, v6, s17
	v_mad_co_u64_u32 v[7:8], null, v5, s18, s[50:51]
	v_lshlrev_b64_e32 v[9:10], 2, v[1:2]
	v_mov_b32_e32 v3, 0
	v_mov_b32_e32 v4, 0
	s_mov_b32 s34, 0
	s_mov_b64 s[2:3], s[42:43]
	s_delay_alu instid0(VALU_DEP_3)
	v_add_co_u32 v15, vcc_lo, s20, v9
	s_wait_alu 0xfffd
	v_add_co_ci_u32_e64 v16, null, s21, v10, vcc_lo
	s_branch .LBB110_8
.LBB110_7:                              ;   in Loop: Header=BB110_8 Depth=2
	s_add_co_i32 s34, s34, 1
	s_add_nc_u64 s[2:3], s[2:3], s[30:31]
	s_wait_alu 0xfffe
	s_cmp_eq_u32 s34, s7
	s_cbranch_scc1 .LBB110_19
.LBB110_8:                              ;   Parent Loop BB110_3 Depth=1
                                        ; =>  This Loop Header: Depth=2
                                        ;       Child Loop BB110_11 Depth 3
                                        ;         Child Loop BB110_14 Depth 4
                                        ;           Child Loop BB110_17 Depth 5
	s_and_not1_b32 vcc_lo, exec_lo, s51
	s_wait_alu 0xfffe
	s_cbranch_vccnz .LBB110_7
; %bb.9:                                ;   in Loop: Header=BB110_8 Depth=2
	s_mul_u64 s[52:53], s[34:35], s[8:9]
	s_mov_b32 s1, 0
	s_mov_b64 s[54:55], s[2:3]
	s_branch .LBB110_11
.LBB110_10:                             ;   in Loop: Header=BB110_11 Depth=3
	s_add_co_i32 s1, s1, 1
	s_add_nc_u64 s[54:55], s[54:55], s[44:45]
	s_wait_alu 0xfffe
	s_cmp_eq_u32 s1, s10
	s_cbranch_scc1 .LBB110_7
.LBB110_11:                             ;   Parent Loop BB110_3 Depth=1
                                        ;     Parent Loop BB110_8 Depth=2
                                        ; =>    This Loop Header: Depth=3
                                        ;         Child Loop BB110_14 Depth 4
                                        ;           Child Loop BB110_17 Depth 5
	s_and_not1_b32 vcc_lo, exec_lo, s61
	s_wait_alu 0xfffe
	s_cbranch_vccnz .LBB110_10
; %bb.12:                               ;   in Loop: Header=BB110_11 Depth=3
	s_mul_i32 s0, s1, s13
	s_mov_b32 s82, 0
	s_wait_alu 0xfffe
	s_sub_co_i32 s0, s0, s19
	s_mov_b64 s[56:57], s[54:55]
	s_wait_alu 0xfffe
	v_add_nc_u32_e32 v10, s0, v13
	s_delay_alu instid0(VALU_DEP_1) | instskip(SKIP_3) | instid1(VALU_DEP_3)
	v_add_co_u32 v8, s0, s52, v10
	s_wait_alu 0xf1ff
	v_add_co_ci_u32_e64 v9, null, s53, 0, s0
	v_cmp_gt_i32_e32 vcc_lo, 0, v10
	v_mul_lo_u32 v17, v8, s64
	v_cmp_le_i32_e64 s0, s4, v10
	s_delay_alu instid0(VALU_DEP_4)
	v_mul_lo_u32 v11, v9, s65
	v_mad_co_u64_u32 v[8:9], null, v8, s65, 0
	s_or_b32 s83, vcc_lo, s0
	v_add3_u32 v9, v9, v17, v11
	s_branch .LBB110_14
.LBB110_13:                             ;   in Loop: Header=BB110_14 Depth=4
	s_add_co_i32 s82, s82, 1
	s_add_nc_u64 s[56:57], s[56:57], s[46:47]
	s_cmp_eq_u32 s82, s11
	s_cbranch_scc1 .LBB110_10
.LBB110_14:                             ;   Parent Loop BB110_3 Depth=1
                                        ;     Parent Loop BB110_8 Depth=2
                                        ;       Parent Loop BB110_11 Depth=3
                                        ; =>      This Loop Header: Depth=4
                                        ;           Child Loop BB110_17 Depth 5
	s_and_not1_b32 vcc_lo, exec_lo, s62
	s_wait_alu 0xfffe
	s_cbranch_vccnz .LBB110_13
; %bb.15:                               ;   in Loop: Header=BB110_14 Depth=4
	s_mul_i32 s0, s82, s14
	s_mov_b64 s[58:59], s[56:57]
	s_wait_alu 0xfffe
	s_sub_co_i32 s0, s0, s28
	s_mov_b32 s85, s12
	s_wait_alu 0xfffe
	v_add_nc_u32_e32 v17, s0, v14
	s_delay_alu instid0(VALU_DEP_1) | instskip(SKIP_3) | instid1(VALU_DEP_3)
	v_add_co_u32 v10, vcc_lo, v8, v17
	s_wait_alu 0xfffd
	v_add_co_ci_u32_e64 v11, null, 0, v9, vcc_lo
	v_cmp_gt_i32_e32 vcc_lo, 0, v17
	v_mul_lo_u32 v19, v10, s66
	v_cmp_le_i32_e64 s0, s5, v17
	s_delay_alu instid0(VALU_DEP_4) | instskip(SKIP_2) | instid1(VALU_DEP_4)
	v_mul_lo_u32 v18, v11, s67
	v_mad_co_u64_u32 v[10:11], null, v10, s67, 0
	v_mov_b32_e32 v17, v7
	s_or_b32 s0, vcc_lo, s0
	s_wait_alu 0xfffe
	s_or_b32 s84, s83, s0
	s_delay_alu instid0(VALU_DEP_2)
	v_add3_u32 v11, v11, v19, v18
	s_branch .LBB110_17
.LBB110_16:                             ;   in Loop: Header=BB110_17 Depth=5
	s_wait_alu 0xfffe
	s_or_b32 exec_lo, exec_lo, s0
	v_add_nc_u32_e32 v17, s15, v17
	s_add_co_i32 s85, s85, -1
	s_add_nc_u64 s[58:59], s[58:59], s[48:49]
	s_cmp_eq_u32 s85, 0
	s_cbranch_scc1 .LBB110_13
.LBB110_17:                             ;   Parent Loop BB110_3 Depth=1
                                        ;     Parent Loop BB110_8 Depth=2
                                        ;       Parent Loop BB110_11 Depth=3
                                        ;         Parent Loop BB110_14 Depth=4
                                        ; =>        This Inner Loop Header: Depth=5
	v_cmp_gt_i32_e32 vcc_lo, 0, v17
	v_cmp_le_i32_e64 s0, s6, v17
	s_or_b32 s0, vcc_lo, s0
	s_wait_alu 0xfffe
	s_nor_b32 s86, s84, s0
	s_wait_alu 0xfffe
	s_and_saveexec_b32 s0, s86
	s_cbranch_execz .LBB110_16
; %bb.18:                               ;   in Loop: Header=BB110_17 Depth=5
	v_add_co_u32 v18, vcc_lo, v10, v17
	s_wait_alu 0xfffd
	v_add_co_ci_u32_e64 v19, null, 0, v11, vcc_lo
	s_load_b32 s86, s[58:59], 0x0
	v_mul_lo_u32 v21, v18, s69
	v_mul_lo_u32 v20, v19, s60
	v_mad_co_u64_u32 v[18:19], null, v18, s60, 0
	s_delay_alu instid0(VALU_DEP_1) | instskip(NEXT) | instid1(VALU_DEP_1)
	v_add3_u32 v19, v19, v21, v20
	v_lshlrev_b64_e32 v[18:19], 2, v[18:19]
	s_wait_kmcnt 0x0
	s_and_b32 s86, s86, 0xffffe000
	s_wait_alu 0xfffe
	v_cvt_f64_f32_e32 v[20:21], s86
	s_delay_alu instid0(VALU_DEP_2)
	v_add_co_u32 v18, vcc_lo, v15, v18
	s_wait_alu 0xfffd
	v_add_co_ci_u32_e64 v19, null, v16, v19, vcc_lo
	global_load_b32 v18, v[18:19], off
	s_wait_loadcnt 0x0
	v_and_b32_e32 v18, 0xffffe000, v18
	s_delay_alu instid0(VALU_DEP_1) | instskip(NEXT) | instid1(VALU_DEP_1)
	v_cvt_f64_f32_e32 v[18:19], v18
	v_fma_f64 v[3:4], v[18:19], v[20:21], v[3:4]
	s_branch .LBB110_16
.LBB110_19:                             ;   in Loop: Header=BB110_3 Depth=1
	v_ashrrev_i32_e32 v7, 31, v6
	v_lshlrev_b64_e32 v[1:2], 2, v[1:2]
	s_delay_alu instid0(VALU_DEP_2) | instskip(SKIP_1) | instid1(VALU_DEP_1)
	v_mad_co_i64_i32 v[7:8], null, v12, s38, v[6:7]
	v_ashrrev_i32_e32 v6, 31, v5
	v_mad_co_u64_u32 v[5:6], null, v7, s40, v[5:6]
	v_mul_lo_u32 v7, v7, s41
	s_delay_alu instid0(VALU_DEP_4) | instskip(NEXT) | instid1(VALU_DEP_1)
	v_mul_lo_u32 v8, v8, s40
	v_add3_u32 v7, v8, v6, v7
	s_delay_alu instid0(VALU_DEP_4) | instskip(SKIP_1) | instid1(VALU_DEP_3)
	v_mul_lo_u32 v8, v5, s37
	v_mad_co_u64_u32 v[5:6], null, v5, s36, 0
	v_mul_lo_u32 v7, v7, s36
	s_delay_alu instid0(VALU_DEP_1) | instskip(NEXT) | instid1(VALU_DEP_1)
	v_add3_u32 v6, v6, v8, v7
	v_lshlrev_b64_e32 v[5:6], 2, v[5:6]
	s_delay_alu instid0(VALU_DEP_1) | instskip(SKIP_1) | instid1(VALU_DEP_2)
	v_add_co_u32 v5, vcc_lo, s22, v5
	s_wait_alu 0xfffd
	v_add_co_ci_u32_e64 v6, null, s23, v6, vcc_lo
	s_delay_alu instid0(VALU_DEP_2) | instskip(SKIP_1) | instid1(VALU_DEP_2)
	v_add_co_u32 v1, vcc_lo, v5, v1
	s_wait_alu 0xfffd
	v_add_co_ci_u32_e64 v2, null, v6, v2, vcc_lo
	s_and_not1_b32 vcc_lo, exec_lo, s71
	s_wait_alu 0xfffe
	s_cbranch_vccnz .LBB110_2
; %bb.20:                               ;   in Loop: Header=BB110_3 Depth=1
	global_load_b32 v5, v[1:2], off
	s_wait_loadcnt 0x0
	v_cvt_f64_f32_e32 v[5:6], v5
	s_delay_alu instid0(VALU_DEP_1) | instskip(NEXT) | instid1(VALU_DEP_1)
	v_mul_f64_e32 v[5:6], s[26:27], v[5:6]
	v_fma_f64 v[3:4], s[24:25], v[3:4], v[5:6]
	s_branch .LBB110_2
.LBB110_21:
	s_endpgm
	.section	.rodata,"a",@progbits
	.p2align	6, 0x0
	.amdhsa_kernel naive_conv_ab_packed_wrw_ndhwc_float_double_float_1
		.amdhsa_group_segment_fixed_size 0
		.amdhsa_private_segment_fixed_size 0
		.amdhsa_kernarg_size 528
		.amdhsa_user_sgpr_count 2
		.amdhsa_user_sgpr_dispatch_ptr 0
		.amdhsa_user_sgpr_queue_ptr 0
		.amdhsa_user_sgpr_kernarg_segment_ptr 1
		.amdhsa_user_sgpr_dispatch_id 0
		.amdhsa_user_sgpr_private_segment_size 0
		.amdhsa_wavefront_size32 1
		.amdhsa_uses_dynamic_stack 0
		.amdhsa_enable_private_segment 0
		.amdhsa_system_sgpr_workgroup_id_x 1
		.amdhsa_system_sgpr_workgroup_id_y 0
		.amdhsa_system_sgpr_workgroup_id_z 0
		.amdhsa_system_sgpr_workgroup_info 0
		.amdhsa_system_vgpr_workitem_id 0
		.amdhsa_next_free_vgpr 22
		.amdhsa_next_free_sgpr 87
		.amdhsa_reserve_vcc 1
		.amdhsa_float_round_mode_32 0
		.amdhsa_float_round_mode_16_64 0
		.amdhsa_float_denorm_mode_32 3
		.amdhsa_float_denorm_mode_16_64 3
		.amdhsa_fp16_overflow 0
		.amdhsa_workgroup_processor_mode 1
		.amdhsa_memory_ordered 1
		.amdhsa_forward_progress 1
		.amdhsa_inst_pref_size 18
		.amdhsa_round_robin_scheduling 0
		.amdhsa_exception_fp_ieee_invalid_op 0
		.amdhsa_exception_fp_denorm_src 0
		.amdhsa_exception_fp_ieee_div_zero 0
		.amdhsa_exception_fp_ieee_overflow 0
		.amdhsa_exception_fp_ieee_underflow 0
		.amdhsa_exception_fp_ieee_inexact 0
		.amdhsa_exception_int_div_zero 0
	.end_amdhsa_kernel
	.text
.Lfunc_end110:
	.size	naive_conv_ab_packed_wrw_ndhwc_float_double_float_1, .Lfunc_end110-naive_conv_ab_packed_wrw_ndhwc_float_double_float_1
                                        ; -- End function
	.set naive_conv_ab_packed_wrw_ndhwc_float_double_float_1.num_vgpr, 22
	.set naive_conv_ab_packed_wrw_ndhwc_float_double_float_1.num_agpr, 0
	.set naive_conv_ab_packed_wrw_ndhwc_float_double_float_1.numbered_sgpr, 87
	.set naive_conv_ab_packed_wrw_ndhwc_float_double_float_1.num_named_barrier, 0
	.set naive_conv_ab_packed_wrw_ndhwc_float_double_float_1.private_seg_size, 0
	.set naive_conv_ab_packed_wrw_ndhwc_float_double_float_1.uses_vcc, 1
	.set naive_conv_ab_packed_wrw_ndhwc_float_double_float_1.uses_flat_scratch, 0
	.set naive_conv_ab_packed_wrw_ndhwc_float_double_float_1.has_dyn_sized_stack, 0
	.set naive_conv_ab_packed_wrw_ndhwc_float_double_float_1.has_recursion, 0
	.set naive_conv_ab_packed_wrw_ndhwc_float_double_float_1.has_indirect_call, 0
	.section	.AMDGPU.csdata,"",@progbits
; Kernel info:
; codeLenInByte = 2220
; TotalNumSgprs: 89
; NumVgprs: 22
; ScratchSize: 0
; MemoryBound: 0
; FloatMode: 240
; IeeeMode: 1
; LDSByteSize: 0 bytes/workgroup (compile time only)
; SGPRBlocks: 0
; VGPRBlocks: 2
; NumSGPRsForWavesPerEU: 89
; NumVGPRsForWavesPerEU: 22
; Occupancy: 16
; WaveLimiterHint : 0
; COMPUTE_PGM_RSRC2:SCRATCH_EN: 0
; COMPUTE_PGM_RSRC2:USER_SGPR: 2
; COMPUTE_PGM_RSRC2:TRAP_HANDLER: 0
; COMPUTE_PGM_RSRC2:TGID_X_EN: 1
; COMPUTE_PGM_RSRC2:TGID_Y_EN: 0
; COMPUTE_PGM_RSRC2:TGID_Z_EN: 0
; COMPUTE_PGM_RSRC2:TIDIG_COMP_CNT: 0
	.text
	.protected	naive_conv_ab_nonpacked_wrw_ndhwc_float_double_float_1 ; -- Begin function naive_conv_ab_nonpacked_wrw_ndhwc_float_double_float_1
	.globl	naive_conv_ab_nonpacked_wrw_ndhwc_float_double_float_1
	.p2align	8
	.type	naive_conv_ab_nonpacked_wrw_ndhwc_float_double_float_1,@function
naive_conv_ab_nonpacked_wrw_ndhwc_float_double_float_1: ; @naive_conv_ab_nonpacked_wrw_ndhwc_float_double_float_1
; %bb.0:
	s_clause 0x2
	s_load_b512 s[4:19], s[0:1], 0xb8
	s_load_b32 s73, s[0:1], 0x108
	s_load_b128 s[28:31], s[0:1], 0xf8
	s_mov_b32 s20, exec_lo
	s_wait_kmcnt 0x0
	s_abs_i32 s2, s8
	s_mul_i32 s82, s73, s9
	s_cvt_f32_u32 s3, s2
	s_mul_i32 s85, s82, s31
	s_delay_alu instid0(SALU_CYCLE_1) | instskip(NEXT) | instid1(SALU_CYCLE_1)
	s_mul_i32 s33, s85, s30
	v_rcp_iflag_f32_e32 v1, s3
	s_delay_alu instid0(TRANS32_DEP_1)
	v_readfirstlane_b32 s3, v1
	v_cmpx_gt_i32_e64 s33, v0
	s_cbranch_execz .LBB111_21
; %bb.1:
	s_mul_f32 s3, s3, 0x4f7ffffe
	s_sub_co_i32 s20, 0, s2
	s_mov_b32 s35, 0
	s_abs_i32 s34, ttmp9
	s_wait_alu 0xfffe
	s_cvt_u32_f32 s3, s3
	s_mov_b32 s37, s35
	s_ashr_i32 s30, s8, 31
	s_load_b64 s[74:75], s[0:1], 0x20
	s_mul_i32 s20, s20, s3
	s_delay_alu instid0(SALU_CYCLE_1) | instskip(NEXT) | instid1(SALU_CYCLE_1)
	s_mul_hi_u32 s20, s3, s20
	s_add_co_i32 s36, s3, s20
	s_ashr_i32 s3, ttmp9, 31
	s_mul_u64 s[68:69], s[34:35], s[36:37]
	s_load_b256 s[20:27], s[0:1], 0x0
	s_mul_i32 s68, s69, s2
	s_clause 0x1
	s_load_b512 s[36:51], s[0:1], 0x28
	s_load_b512 s[52:67], s[0:1], 0x68
	s_xor_b32 s3, s3, s30
	s_sub_co_i32 s30, s34, s68
	s_add_co_i32 s34, s69, 1
	s_sub_co_i32 s68, s30, s2
	s_cmp_ge_u32 s30, s2
	s_cselect_b32 s34, s34, s69
	s_cselect_b32 s30, s68, s30
	s_add_co_i32 s68, s34, 1
	s_cmp_ge_u32 s30, s2
	s_cselect_b32 s2, s68, s34
	s_wait_alu 0xfffe
	s_xor_b32 s2, s2, s3
	s_wait_alu 0xfffe
	s_sub_co_i32 s2, s2, s3
	s_wait_alu 0xfffe
	s_mul_i32 s8, s2, s8
	s_ashr_i32 s3, s2, 31
	s_sub_co_i32 s68, ttmp9, s8
	s_wait_kmcnt 0x0
	v_cmp_neq_f64_e64 s30, s[24:25], 1.0
	v_cmp_neq_f64_e64 s34, s[26:27], 0
	s_wait_alu 0xfffe
	s_mul_u64 s[38:39], s[38:39], s[2:3]
	s_mul_u64 s[58:59], s[58:59], s[2:3]
	;; [unrolled: 1-line block ×3, first 2 shown]
	s_ashr_i32 s69, s68, 31
	s_wait_alu 0xfffe
	s_lshl_b64 s[62:63], s[2:3], 2
	s_mul_u64 s[2:3], s[56:57], s[68:69]
	s_mul_u64 s[56:57], s[60:61], s[68:69]
	s_lshl_b64 s[38:39], s[38:39], 2
	s_lshl_b64 s[58:59], s[58:59], 2
	s_wait_alu 0xfffe
	s_lshl_b64 s[60:61], s[2:3], 2
	s_lshl_b64 s[56:57], s[56:57], 2
	s_cmp_lt_i32 s7, 1
	s_load_b32 s8, s[0:1], 0x11c
	s_cselect_b32 s68, -1, 0
	s_cmp_gt_i32 s10, 0
	s_add_nc_u64 s[22:23], s[22:23], s[58:59]
	s_cselect_b32 s69, -1, 0
	s_cmp_gt_i32 s11, 0
	s_add_nc_u64 s[20:21], s[20:21], s[38:39]
	;; [unrolled: 3-line block ×3, first 2 shown]
	s_cselect_b32 s71, -1, 0
	s_abs_i32 s72, s9
	s_abs_i32 s73, s73
	s_cvt_f32_u32 s76, s72
	s_cvt_f32_u32 s58, s73
	s_abs_i32 s75, s82
	s_add_nc_u64 s[38:39], s[38:39], s[56:57]
	v_rcp_iflag_f32_e32 v1, s76
	v_rcp_iflag_f32_e32 v2, s58
	s_abs_i32 s77, s31
	s_wait_kmcnt 0x0
	s_and_b32 s74, s8, 0xffff
	s_cvt_f32_u32 s8, s75
	s_abs_i32 s78, s85
	s_sub_co_i32 s31, 0, s72
	s_cvt_f32_u32 s58, s78
	s_or_b32 s79, s30, s34
	s_load_b128 s[0:3], s[0:1], 0xa8
	v_readfirstlane_b32 s56, v1
	v_rcp_iflag_f32_e32 v1, s8
	v_readfirstlane_b32 s57, v2
	s_add_nc_u64 s[22:23], s[22:23], s[60:61]
	s_ashr_i32 s76, s9, 31
	s_mul_f32 s8, s56, 0x4f7ffffe
	s_cvt_f32_u32 s56, s77
	s_mul_f32 s30, s57, 0x4f7ffffe
	s_ashr_i32 s82, s82, 31
	s_wait_alu 0xfffe
	s_cvt_u32_f32 s8, s8
	v_rcp_iflag_f32_e32 v2, s56
	v_readfirstlane_b32 s34, v1
	v_rcp_iflag_f32_e32 v1, s58
	s_cvt_u32_f32 s30, s30
	s_wait_alu 0xfffe
	s_mul_i32 s31, s31, s8
	s_sub_co_i32 s56, 0, s73
	s_mul_f32 s34, s34, 0x4f7ffffe
	s_mul_hi_u32 s31, s8, s31
	s_wait_alu 0xfffe
	s_mul_i32 s56, s56, s30
	s_add_co_i32 s80, s8, s31
	s_wait_alu 0xfffe
	s_mul_hi_u32 s8, s30, s56
	s_cvt_u32_f32 s31, s34
	v_readfirstlane_b32 s34, v2
	s_wait_alu 0xfffe
	s_add_co_i32 s81, s30, s8
	v_readfirstlane_b32 s30, v1
	s_sub_co_i32 s8, 0, s75
	s_ashr_i32 s85, s85, 31
	s_mul_f32 s34, s34, 0x4f7ffffe
	s_wait_alu 0xfffe
	s_mul_i32 s8, s8, s31
	s_mul_f32 s30, s30, 0x4f7ffffe
	s_wait_alu 0xfffe
	s_mul_hi_u32 s8, s31, s8
	s_cvt_u32_f32 s34, s34
	s_wait_alu 0xfffe
	s_add_co_i32 s83, s31, s8
	s_sub_co_i32 s8, 0, s77
	s_cvt_u32_f32 s30, s30
	s_wait_alu 0xfffe
	s_mul_i32 s8, s8, s34
	s_sub_co_i32 s31, 0, s78
	s_wait_alu 0xfffe
	s_mul_hi_u32 s8, s34, s8
	s_mul_i32 s31, s31, s30
	s_wait_alu 0xfffe
	s_add_co_i32 s84, s34, s8
	s_mul_hi_u32 s8, s30, s31
	s_wait_kmcnt 0x0
	s_lshl_b64 s[56:57], s[0:1], 2
	s_wait_alu 0xfffe
	s_add_co_i32 s86, s30, s8
	s_lshl_b64 s[30:31], s[2:3], 2
	s_lshl_b64 s[58:59], s[66:67], 2
	;; [unrolled: 1-line block ×3, first 2 shown]
	s_sub_co_i32 s8, 0, s29
	s_mov_b32 s29, 0
	s_branch .LBB111_3
.LBB111_2:                              ;   in Loop: Header=BB111_3 Depth=1
	s_delay_alu instid0(VALU_DEP_1) | instskip(SKIP_1) | instid1(VALU_DEP_1)
	v_cvt_f32_f64_e32 v1, v[1:2]
	v_add_nc_u32_e32 v0, s74, v0
	v_cmp_le_i32_e32 vcc_lo, s33, v0
	s_or_b32 s29, vcc_lo, s29
	global_store_b32 v[3:4], v1, off
	s_and_not1_b32 exec_lo, exec_lo, s29
	s_cbranch_execz .LBB111_21
.LBB111_3:                              ; =>This Loop Header: Depth=1
                                        ;     Child Loop BB111_8 Depth 2
                                        ;       Child Loop BB111_11 Depth 3
                                        ;         Child Loop BB111_14 Depth 4
                                        ;           Child Loop BB111_17 Depth 5
	v_sub_nc_u32_e32 v1, 0, v0
	s_mov_b32 s34, -1
	s_delay_alu instid0(VALU_DEP_1) | instskip(NEXT) | instid1(VALU_DEP_1)
	v_max_i32_e32 v5, v0, v1
	v_mul_hi_u32 v2, v5, s80
	v_mul_hi_u32 v3, v5, s83
	s_delay_alu instid0(VALU_DEP_2) | instskip(NEXT) | instid1(VALU_DEP_2)
	v_mul_lo_u32 v1, v2, s72
	v_mul_lo_u32 v4, v3, s75
	v_add_nc_u32_e32 v7, 1, v2
	s_delay_alu instid0(VALU_DEP_3) | instskip(NEXT) | instid1(VALU_DEP_3)
	v_sub_nc_u32_e32 v6, v5, v1
	v_sub_nc_u32_e32 v4, v5, v4
	v_ashrrev_i32_e32 v1, 31, v0
	s_delay_alu instid0(VALU_DEP_3) | instskip(NEXT) | instid1(VALU_DEP_3)
	v_cmp_le_u32_e32 vcc_lo, s72, v6
	v_subrev_nc_u32_e32 v9, s75, v4
	v_cmp_le_u32_e64 s0, s75, v4
	s_delay_alu instid0(VALU_DEP_4)
	v_xor_b32_e32 v10, s82, v1
	s_wait_alu 0xfffd
	v_cndmask_b32_e32 v2, v2, v7, vcc_lo
	v_subrev_nc_u32_e32 v7, s72, v6
	s_wait_alu 0xf1ff
	v_cndmask_b32_e64 v4, v4, v9, s0
	s_delay_alu instid0(VALU_DEP_2) | instskip(NEXT) | instid1(VALU_DEP_1)
	v_dual_cndmask_b32 v6, v6, v7 :: v_dual_add_nc_u32 v7, 1, v2
	v_cmp_le_u32_e32 vcc_lo, s72, v6
	s_wait_alu 0xfffd
	s_delay_alu instid0(VALU_DEP_2) | instskip(SKIP_2) | instid1(VALU_DEP_1)
	v_cndmask_b32_e32 v2, v2, v7, vcc_lo
	v_cmp_le_u32_e32 vcc_lo, s75, v4
	v_add_nc_u32_e32 v8, 1, v3
	v_cndmask_b32_e64 v3, v3, v8, s0
	v_xor_b32_e32 v8, s76, v1
	s_delay_alu instid0(VALU_DEP_2) | instskip(NEXT) | instid1(VALU_DEP_2)
	v_add_nc_u32_e32 v9, 1, v3
	v_xor_b32_e32 v2, v2, v8
	s_wait_alu 0xfffd
	s_delay_alu instid0(VALU_DEP_2) | instskip(NEXT) | instid1(VALU_DEP_1)
	v_cndmask_b32_e32 v3, v3, v9, vcc_lo
	v_xor_b32_e32 v4, v3, v10
	s_delay_alu instid0(VALU_DEP_3) | instskip(NEXT) | instid1(VALU_DEP_2)
	v_sub_nc_u32_e32 v3, v2, v8
	v_sub_nc_u32_e32 v2, v4, v10
	s_delay_alu instid0(VALU_DEP_2) | instskip(SKIP_1) | instid1(VALU_DEP_3)
	v_sub_nc_u32_e32 v4, 0, v3
	v_mul_lo_u32 v11, v3, s9
	v_sub_nc_u32_e32 v6, 0, v2
	s_delay_alu instid0(VALU_DEP_3) | instskip(SKIP_1) | instid1(VALU_DEP_3)
	v_max_i32_e32 v7, v3, v4
	v_mul_hi_u32 v4, v5, s86
	v_max_i32_e32 v6, v2, v6
	s_delay_alu instid0(VALU_DEP_3) | instskip(NEXT) | instid1(VALU_DEP_2)
	v_mul_hi_u32 v8, v7, s81
	v_mul_hi_u32 v9, v6, s84
	s_delay_alu instid0(VALU_DEP_4) | instskip(NEXT) | instid1(VALU_DEP_3)
	v_mul_lo_u32 v10, v4, s78
	v_mul_lo_u32 v8, v8, s73
	s_delay_alu instid0(VALU_DEP_3) | instskip(NEXT) | instid1(VALU_DEP_3)
	v_mul_lo_u32 v9, v9, s77
	v_sub_nc_u32_e32 v5, v5, v10
	s_delay_alu instid0(VALU_DEP_3) | instskip(NEXT) | instid1(VALU_DEP_2)
	v_sub_nc_u32_e32 v7, v7, v8
	v_cmp_le_u32_e64 s3, s78, v5
	s_delay_alu instid0(VALU_DEP_4) | instskip(NEXT) | instid1(VALU_DEP_3)
	v_sub_nc_u32_e32 v6, v6, v9
	v_subrev_nc_u32_e32 v8, s73, v7
	v_cmp_le_u32_e32 vcc_lo, s73, v7
	v_subrev_nc_u32_e32 v9, s78, v5
	s_delay_alu instid0(VALU_DEP_4) | instskip(SKIP_3) | instid1(VALU_DEP_2)
	v_subrev_nc_u32_e32 v10, s77, v6
	s_wait_alu 0xfffd
	v_cndmask_b32_e32 v7, v7, v8, vcc_lo
	v_cmp_le_u32_e32 vcc_lo, s77, v6
	v_cmp_le_u32_e64 s2, s73, v7
	s_wait_alu 0xfffd
	v_cndmask_b32_e32 v8, v6, v10, vcc_lo
	s_wait_alu 0xf1ff
	v_cndmask_b32_e64 v6, v5, v9, s3
	v_sub_nc_u32_e32 v5, v0, v11
	s_and_not1_b32 vcc_lo, exec_lo, s68
	v_cmp_le_u32_e64 s1, s77, v8
	s_delay_alu instid0(VALU_DEP_3)
	v_cmp_le_u32_e64 s0, s78, v6
                                        ; implicit-def: $vgpr6
	s_wait_alu 0xfffe
	s_cbranch_vccnz .LBB111_5
; %bb.4:                                ;   in Loop: Header=BB111_3 Depth=1
	v_ashrrev_i32_e32 v6, 31, v5
	s_mov_b32 s34, 0
.LBB111_5:                              ;   in Loop: Header=BB111_3 Depth=1
	v_add_nc_u32_e32 v9, 1, v4
	v_subrev_nc_u32_e32 v10, s77, v8
	v_ashrrev_i32_e32 v2, 31, v2
	v_ashrrev_i32_e32 v3, 31, v3
	s_and_not1_b32 vcc_lo, exec_lo, s34
	v_cndmask_b32_e64 v4, v4, v9, s3
	v_subrev_nc_u32_e32 v9, s73, v7
	s_wait_alu 0xf1ff
	v_cndmask_b32_e64 v8, v8, v10, s1
	s_delay_alu instid0(VALU_DEP_3) | instskip(NEXT) | instid1(VALU_DEP_3)
	v_add_nc_u32_e32 v11, 1, v4
	v_cndmask_b32_e64 v7, v7, v9, s2
	v_xor_b32_e32 v9, s85, v1
	s_delay_alu instid0(VALU_DEP_4) | instskip(NEXT) | instid1(VALU_DEP_4)
	v_xor_b32_e32 v8, v8, v2
	v_cndmask_b32_e64 v1, v4, v11, s0
	s_delay_alu instid0(VALU_DEP_4) | instskip(NEXT) | instid1(VALU_DEP_3)
	v_xor_b32_e32 v4, v7, v3
	v_sub_nc_u32_e32 v8, v8, v2
	s_delay_alu instid0(VALU_DEP_3) | instskip(SKIP_1) | instid1(VALU_DEP_4)
	v_xor_b32_e32 v10, v1, v9
	v_mov_b32_e32 v1, 0
	v_sub_nc_u32_e32 v7, v4, v3
	v_mov_b32_e32 v2, 0
	s_delay_alu instid0(VALU_DEP_4)
	v_sub_nc_u32_e32 v9, v10, v9
	s_wait_alu 0xfffe
	s_cbranch_vccnz .LBB111_19
; %bb.6:                                ;   in Loop: Header=BB111_3 Depth=1
	v_ashrrev_i32_e32 v6, 31, v5
	v_mul_lo_u32 v3, s37, v5
	v_mad_co_u64_u32 v[1:2], null, s36, v5, 0
	v_mul_lo_u32 v10, v9, s16
	s_delay_alu instid0(VALU_DEP_4) | instskip(SKIP_3) | instid1(VALU_DEP_2)
	v_mul_lo_u32 v4, s36, v6
	v_mul_lo_u32 v11, v8, s17
	s_mov_b32 s34, 0
	s_mov_b64 s[2:3], s[38:39]
	v_add3_u32 v2, v2, v4, v3
	v_mad_co_u64_u32 v[3:4], null, v7, s18, s[8:9]
	s_delay_alu instid0(VALU_DEP_2) | instskip(SKIP_2) | instid1(VALU_DEP_3)
	v_lshlrev_b64_e32 v[12:13], 2, v[1:2]
	v_mov_b32_e32 v1, 0
	v_mov_b32_e32 v2, 0
	v_add_co_u32 v4, vcc_lo, s20, v12
	s_wait_alu 0xfffd
	s_delay_alu instid0(VALU_DEP_4)
	v_add_co_ci_u32_e64 v12, null, s21, v13, vcc_lo
	s_branch .LBB111_8
.LBB111_7:                              ;   in Loop: Header=BB111_8 Depth=2
	s_add_co_i32 s34, s34, 1
	s_add_nc_u64 s[2:3], s[2:3], s[30:31]
	s_cmp_eq_u32 s34, s7
	s_cbranch_scc1 .LBB111_19
.LBB111_8:                              ;   Parent Loop BB111_3 Depth=1
                                        ; =>  This Loop Header: Depth=2
                                        ;       Child Loop BB111_11 Depth 3
                                        ;         Child Loop BB111_14 Depth 4
                                        ;           Child Loop BB111_17 Depth 5
	s_and_not1_b32 vcc_lo, exec_lo, s69
	s_wait_alu 0xfffe
	s_cbranch_vccnz .LBB111_7
; %bb.9:                                ;   in Loop: Header=BB111_8 Depth=2
	s_mul_u64 s[0:1], s[46:47], s[34:35]
	s_mov_b32 s87, 0
	s_wait_alu 0xfffe
	s_lshl_b64 s[0:1], s[0:1], 2
	s_mov_b64 s[62:63], s[2:3]
	s_wait_alu 0xfffe
	v_add_co_u32 v13, vcc_lo, v4, s0
	s_wait_alu 0xfffd
	v_add_co_ci_u32_e64 v14, null, s1, v12, vcc_lo
	s_branch .LBB111_11
.LBB111_10:                             ;   in Loop: Header=BB111_11 Depth=3
	s_add_co_i32 s87, s87, 1
	s_add_nc_u64 s[62:63], s[62:63], s[56:57]
	s_wait_alu 0xfffe
	s_cmp_eq_u32 s87, s10
	s_cbranch_scc1 .LBB111_7
.LBB111_11:                             ;   Parent Loop BB111_3 Depth=1
                                        ;     Parent Loop BB111_8 Depth=2
                                        ; =>    This Loop Header: Depth=3
                                        ;         Child Loop BB111_14 Depth 4
                                        ;           Child Loop BB111_17 Depth 5
	s_and_not1_b32 vcc_lo, exec_lo, s70
	s_wait_alu 0xfffe
	s_cbranch_vccnz .LBB111_10
; %bb.12:                               ;   in Loop: Header=BB111_11 Depth=3
	s_mul_i32 s0, s87, s13
	s_mov_b64 s[64:65], s[62:63]
	s_wait_alu 0xfffe
	s_sub_co_i32 s0, s0, s19
	s_wait_alu 0xfffe
	v_add_nc_u32_e32 v18, s0, v10
	s_delay_alu instid0(VALU_DEP_1) | instskip(SKIP_4) | instid1(VALU_DEP_1)
	v_mad_co_u64_u32 v[15:16], null, s44, v18, 0
	v_cmp_gt_i32_e32 vcc_lo, 0, v18
	v_cmp_le_i32_e64 s0, s4, v18
	s_or_b32 s88, vcc_lo, s0
	v_mad_co_u64_u32 v[16:17], null, s45, v18, v[16:17]
	v_lshlrev_b64_e32 v[15:16], 2, v[15:16]
	s_delay_alu instid0(VALU_DEP_1) | instskip(SKIP_1) | instid1(VALU_DEP_2)
	v_add_co_u32 v15, s1, v13, v15
	s_wait_alu 0xf1ff
	v_add_co_ci_u32_e64 v16, null, v14, v16, s1
	s_mov_b32 s1, 0
	s_branch .LBB111_14
.LBB111_13:                             ;   in Loop: Header=BB111_14 Depth=4
	s_add_co_i32 s1, s1, 1
	s_add_nc_u64 s[64:65], s[64:65], s[58:59]
	s_wait_alu 0xfffe
	s_cmp_eq_u32 s1, s11
	s_cbranch_scc1 .LBB111_10
.LBB111_14:                             ;   Parent Loop BB111_3 Depth=1
                                        ;     Parent Loop BB111_8 Depth=2
                                        ;       Parent Loop BB111_11 Depth=3
                                        ; =>      This Loop Header: Depth=4
                                        ;           Child Loop BB111_17 Depth 5
	s_and_not1_b32 vcc_lo, exec_lo, s71
	s_wait_alu 0xfffe
	s_cbranch_vccnz .LBB111_13
; %bb.15:                               ;   in Loop: Header=BB111_14 Depth=4
	s_mul_i32 s0, s1, s14
	s_mov_b64 s[66:67], s[64:65]
	s_wait_alu 0xfffe
	s_sub_co_i32 s0, s0, s28
	s_mov_b32 s90, s12
	s_wait_alu 0xfffe
	v_add_nc_u32_e32 v20, s0, v11
	s_delay_alu instid0(VALU_DEP_1) | instskip(NEXT) | instid1(VALU_DEP_1)
	v_mad_co_u64_u32 v[17:18], null, s42, v20, 0
	v_mad_co_u64_u32 v[18:19], null, s43, v20, v[18:19]
	v_mov_b32_e32 v19, v3
	v_cmp_gt_i32_e32 vcc_lo, 0, v20
	v_cmp_le_i32_e64 s0, s5, v20
	s_delay_alu instid0(VALU_DEP_4) | instskip(SKIP_3) | instid1(VALU_DEP_1)
	v_lshlrev_b64_e32 v[17:18], 2, v[17:18]
	s_or_b32 s0, vcc_lo, s0
	s_wait_alu 0xfffe
	s_or_b32 s89, s88, s0
	v_add_co_u32 v17, vcc_lo, v15, v17
	s_wait_alu 0xfffd
	v_add_co_ci_u32_e64 v18, null, v16, v18, vcc_lo
	s_branch .LBB111_17
.LBB111_16:                             ;   in Loop: Header=BB111_17 Depth=5
	s_wait_alu 0xfffe
	s_or_b32 exec_lo, exec_lo, s0
	v_add_nc_u32_e32 v19, s15, v19
	s_add_co_i32 s90, s90, -1
	s_add_nc_u64 s[66:67], s[66:67], s[60:61]
	s_wait_alu 0xfffe
	s_cmp_eq_u32 s90, 0
	s_cbranch_scc1 .LBB111_13
.LBB111_17:                             ;   Parent Loop BB111_3 Depth=1
                                        ;     Parent Loop BB111_8 Depth=2
                                        ;       Parent Loop BB111_11 Depth=3
                                        ;         Parent Loop BB111_14 Depth=4
                                        ; =>        This Inner Loop Header: Depth=5
	v_cmp_gt_i32_e32 vcc_lo, 0, v19
	v_cmp_le_i32_e64 s0, s6, v19
	s_or_b32 s0, vcc_lo, s0
	s_wait_alu 0xfffe
	s_nor_b32 s91, s89, s0
	s_wait_alu 0xfffe
	s_and_saveexec_b32 s0, s91
	s_cbranch_execz .LBB111_16
; %bb.18:                               ;   in Loop: Header=BB111_17 Depth=5
	v_mad_co_u64_u32 v[20:21], null, s40, v19, 0
	s_load_b32 s91, s[66:67], 0x0
	v_mad_co_u64_u32 v[21:22], null, s41, v19, v[21:22]
	s_delay_alu instid0(VALU_DEP_1) | instskip(SKIP_2) | instid1(VALU_DEP_1)
	v_lshlrev_b64_e32 v[20:21], 2, v[20:21]
	s_wait_kmcnt 0x0
	s_and_b32 s91, s91, 0xffffe000
	v_add_co_u32 v20, vcc_lo, v17, v20
	s_wait_alu 0xfffd
	s_delay_alu instid0(VALU_DEP_2)
	v_add_co_ci_u32_e64 v21, null, v18, v21, vcc_lo
	s_wait_alu 0xfffe
	v_cvt_f64_f32_e32 v[22:23], s91
	global_load_b32 v20, v[20:21], off
	s_wait_loadcnt 0x0
	v_and_b32_e32 v20, 0xffffe000, v20
	s_delay_alu instid0(VALU_DEP_1) | instskip(NEXT) | instid1(VALU_DEP_1)
	v_cvt_f64_f32_e32 v[20:21], v20
	v_fma_f64 v[1:2], v[20:21], v[22:23], v[1:2]
	s_branch .LBB111_16
.LBB111_19:                             ;   in Loop: Header=BB111_3 Depth=1
	s_delay_alu instid0(VALU_DEP_1) | instskip(SKIP_3) | instid1(VALU_DEP_4)
	v_ashrrev_i32_e32 v10, 31, v9
	v_mul_lo_u32 v11, s55, v9
	v_mad_co_u64_u32 v[3:4], null, s54, v9, 0
	v_ashrrev_i32_e32 v12, 31, v8
	v_mul_lo_u32 v10, s54, v10
	v_mul_lo_u32 v13, s53, v8
	v_ashrrev_i32_e32 v14, 31, v7
	v_mad_co_u64_u32 v[8:9], null, s52, v8, 0
	v_mul_lo_u32 v12, s52, v12
	v_mul_lo_u32 v15, s51, v7
	s_delay_alu instid0(VALU_DEP_4)
	v_mul_lo_u32 v14, s50, v14
	v_add3_u32 v4, v4, v10, v11
	v_mad_co_u64_u32 v[10:11], null, s50, v7, 0
	v_mul_lo_u32 v7, v6, s48
	v_mul_lo_u32 v16, v5, s49
	v_mad_co_u64_u32 v[5:6], null, v5, s48, 0
	v_add3_u32 v9, v9, v12, v13
	v_lshlrev_b64_e32 v[3:4], 2, v[3:4]
	v_add3_u32 v11, v11, v14, v15
	s_delay_alu instid0(VALU_DEP_4) | instskip(NEXT) | instid1(VALU_DEP_4)
	v_add3_u32 v6, v6, v16, v7
	v_lshlrev_b64_e32 v[7:8], 2, v[8:9]
	s_delay_alu instid0(VALU_DEP_4) | instskip(SKIP_3) | instid1(VALU_DEP_3)
	v_add_co_u32 v9, vcc_lo, s22, v3
	s_wait_alu 0xfffd
	v_add_co_ci_u32_e64 v12, null, s23, v4, vcc_lo
	v_lshlrev_b64_e32 v[3:4], 2, v[10:11]
	v_add_co_u32 v7, vcc_lo, v9, v7
	s_wait_alu 0xfffd
	s_delay_alu instid0(VALU_DEP_3) | instskip(SKIP_1) | instid1(VALU_DEP_3)
	v_add_co_ci_u32_e64 v8, null, v12, v8, vcc_lo
	v_lshlrev_b64_e32 v[5:6], 2, v[5:6]
	v_add_co_u32 v3, vcc_lo, v7, v3
	s_wait_alu 0xfffd
	s_delay_alu instid0(VALU_DEP_3) | instskip(NEXT) | instid1(VALU_DEP_2)
	v_add_co_ci_u32_e64 v4, null, v8, v4, vcc_lo
	v_add_co_u32 v3, vcc_lo, v3, v5
	s_wait_alu 0xfffd
	s_delay_alu instid0(VALU_DEP_2)
	v_add_co_ci_u32_e64 v4, null, v4, v6, vcc_lo
	s_and_not1_b32 vcc_lo, exec_lo, s79
	s_wait_alu 0xfffe
	s_cbranch_vccnz .LBB111_2
; %bb.20:                               ;   in Loop: Header=BB111_3 Depth=1
	global_load_b32 v5, v[3:4], off
	s_wait_loadcnt 0x0
	v_cvt_f64_f32_e32 v[5:6], v5
	s_delay_alu instid0(VALU_DEP_1) | instskip(NEXT) | instid1(VALU_DEP_1)
	v_mul_f64_e32 v[5:6], s[26:27], v[5:6]
	v_fma_f64 v[1:2], s[24:25], v[1:2], v[5:6]
	s_branch .LBB111_2
.LBB111_21:
	s_endpgm
	.section	.rodata,"a",@progbits
	.p2align	6, 0x0
	.amdhsa_kernel naive_conv_ab_nonpacked_wrw_ndhwc_float_double_float_1
		.amdhsa_group_segment_fixed_size 0
		.amdhsa_private_segment_fixed_size 0
		.amdhsa_kernarg_size 528
		.amdhsa_user_sgpr_count 2
		.amdhsa_user_sgpr_dispatch_ptr 0
		.amdhsa_user_sgpr_queue_ptr 0
		.amdhsa_user_sgpr_kernarg_segment_ptr 1
		.amdhsa_user_sgpr_dispatch_id 0
		.amdhsa_user_sgpr_private_segment_size 0
		.amdhsa_wavefront_size32 1
		.amdhsa_uses_dynamic_stack 0
		.amdhsa_enable_private_segment 0
		.amdhsa_system_sgpr_workgroup_id_x 1
		.amdhsa_system_sgpr_workgroup_id_y 0
		.amdhsa_system_sgpr_workgroup_id_z 0
		.amdhsa_system_sgpr_workgroup_info 0
		.amdhsa_system_vgpr_workitem_id 0
		.amdhsa_next_free_vgpr 24
		.amdhsa_next_free_sgpr 92
		.amdhsa_reserve_vcc 1
		.amdhsa_float_round_mode_32 0
		.amdhsa_float_round_mode_16_64 0
		.amdhsa_float_denorm_mode_32 3
		.amdhsa_float_denorm_mode_16_64 3
		.amdhsa_fp16_overflow 0
		.amdhsa_workgroup_processor_mode 1
		.amdhsa_memory_ordered 1
		.amdhsa_forward_progress 1
		.amdhsa_inst_pref_size 18
		.amdhsa_round_robin_scheduling 0
		.amdhsa_exception_fp_ieee_invalid_op 0
		.amdhsa_exception_fp_denorm_src 0
		.amdhsa_exception_fp_ieee_div_zero 0
		.amdhsa_exception_fp_ieee_overflow 0
		.amdhsa_exception_fp_ieee_underflow 0
		.amdhsa_exception_fp_ieee_inexact 0
		.amdhsa_exception_int_div_zero 0
	.end_amdhsa_kernel
	.text
.Lfunc_end111:
	.size	naive_conv_ab_nonpacked_wrw_ndhwc_float_double_float_1, .Lfunc_end111-naive_conv_ab_nonpacked_wrw_ndhwc_float_double_float_1
                                        ; -- End function
	.set naive_conv_ab_nonpacked_wrw_ndhwc_float_double_float_1.num_vgpr, 24
	.set naive_conv_ab_nonpacked_wrw_ndhwc_float_double_float_1.num_agpr, 0
	.set naive_conv_ab_nonpacked_wrw_ndhwc_float_double_float_1.numbered_sgpr, 92
	.set naive_conv_ab_nonpacked_wrw_ndhwc_float_double_float_1.num_named_barrier, 0
	.set naive_conv_ab_nonpacked_wrw_ndhwc_float_double_float_1.private_seg_size, 0
	.set naive_conv_ab_nonpacked_wrw_ndhwc_float_double_float_1.uses_vcc, 1
	.set naive_conv_ab_nonpacked_wrw_ndhwc_float_double_float_1.uses_flat_scratch, 0
	.set naive_conv_ab_nonpacked_wrw_ndhwc_float_double_float_1.has_dyn_sized_stack, 0
	.set naive_conv_ab_nonpacked_wrw_ndhwc_float_double_float_1.has_recursion, 0
	.set naive_conv_ab_nonpacked_wrw_ndhwc_float_double_float_1.has_indirect_call, 0
	.section	.AMDGPU.csdata,"",@progbits
; Kernel info:
; codeLenInByte = 2300
; TotalNumSgprs: 94
; NumVgprs: 24
; ScratchSize: 0
; MemoryBound: 0
; FloatMode: 240
; IeeeMode: 1
; LDSByteSize: 0 bytes/workgroup (compile time only)
; SGPRBlocks: 0
; VGPRBlocks: 2
; NumSGPRsForWavesPerEU: 94
; NumVGPRsForWavesPerEU: 24
; Occupancy: 16
; WaveLimiterHint : 0
; COMPUTE_PGM_RSRC2:SCRATCH_EN: 0
; COMPUTE_PGM_RSRC2:USER_SGPR: 2
; COMPUTE_PGM_RSRC2:TRAP_HANDLER: 0
; COMPUTE_PGM_RSRC2:TGID_X_EN: 1
; COMPUTE_PGM_RSRC2:TGID_Y_EN: 0
; COMPUTE_PGM_RSRC2:TGID_Z_EN: 0
; COMPUTE_PGM_RSRC2:TIDIG_COMP_CNT: 0
	.text
	.protected	naive_conv_ab_packed_wrw_ndhwc_half_double_half_0 ; -- Begin function naive_conv_ab_packed_wrw_ndhwc_half_double_half_0
	.globl	naive_conv_ab_packed_wrw_ndhwc_half_double_half_0
	.p2align	8
	.type	naive_conv_ab_packed_wrw_ndhwc_half_double_half_0,@function
naive_conv_ab_packed_wrw_ndhwc_half_double_half_0: ; @naive_conv_ab_packed_wrw_ndhwc_half_double_half_0
; %bb.0:
	s_clause 0x2
	s_load_b512 s[4:19], s[0:1], 0xb8
	s_load_b64 s[2:3], s[0:1], 0x108
	s_load_b128 s[28:31], s[0:1], 0xf8
	s_mov_b32 s21, exec_lo
	s_wait_kmcnt 0x0
	s_abs_i32 s37, s8
	s_mul_i32 s45, s2, s9
	s_cvt_f32_u32 s20, s37
	s_mul_i32 s44, s45, s31
	s_delay_alu instid0(SALU_CYCLE_1) | instskip(NEXT) | instid1(SALU_CYCLE_1)
	s_mul_i32 s33, s44, s30
	v_rcp_iflag_f32_e32 v1, s20
	s_delay_alu instid0(TRANS32_DEP_1)
	v_readfirstlane_b32 s20, v1
	v_cmpx_gt_i32_e64 s33, v0
	s_cbranch_execz .LBB112_23
; %bb.1:
	s_mul_f32 s20, s20, 0x4f7ffffe
	s_sub_co_i32 s35, 0, s37
	s_abs_i32 s34, ttmp9
	s_ashr_i32 s41, s8, 31
	s_wait_alu 0xfffe
	s_cvt_u32_f32 s36, s20
	s_clause 0x1
	s_load_b256 s[20:27], s[0:1], 0x0
	s_load_b64 s[42:43], s[0:1], 0x20
	s_mov_b32 s40, s8
	s_mul_i32 s38, s35, s36
	s_mov_b32 s35, 0
	s_mul_hi_u32 s38, s36, s38
	s_mov_b32 s39, s35
	s_add_co_i32 s38, s36, s38
	s_mov_b32 s36, s9
	s_mul_u64 s[38:39], s[34:35], s[38:39]
	s_ashr_i32 s38, ttmp9, 31
	s_mul_i32 s46, s39, s37
	s_xor_b32 s48, s38, s41
	s_sub_co_i32 s34, s34, s46
	s_add_co_i32 s38, s39, 1
	s_sub_co_i32 s47, s34, s37
	s_cmp_ge_u32 s34, s37
	s_mov_b32 s46, s30
	s_cselect_b32 s39, s38, s39
	s_cselect_b32 s34, s47, s34
	s_add_co_i32 s47, s39, 1
	s_cmp_ge_u32 s34, s37
	s_mov_b32 s38, s31
	s_cselect_b32 s34, s47, s39
	s_ashr_i32 s47, s30, 31
	s_xor_b32 s30, s34, s48
	s_wait_kmcnt 0x0
	v_cmp_neq_f64_e64 s34, s[26:27], 0
	s_sub_co_i32 s48, s30, s48
	s_ashr_i32 s37, s9, 31
	s_mul_i32 s30, s48, s8
	s_ashr_i32 s39, s31, 31
	s_sub_co_i32 s50, ttmp9, s30
	v_cmp_neq_f64_e64 s30, s[24:25], 1.0
	s_mul_u64 s[46:47], s[46:47], s[36:37]
	s_ashr_i32 s49, s48, 31
	s_mul_u64 s[46:47], s[46:47], s[38:39]
	s_mul_u64 s[52:53], s[48:49], s[36:37]
	;; [unrolled: 1-line block ×3, first 2 shown]
	s_ashr_i32 s41, s2, 31
	s_mov_b32 s40, s2
	s_ashr_i32 s51, s50, 31
	s_mul_u64 s[46:47], s[46:47], s[40:41]
	s_add_nc_u64 s[54:55], s[48:49], s[50:51]
	s_lshl_b64 s[52:53], s[52:53], 1
	s_mul_u64 s[46:47], s[46:47], s[54:55]
	s_add_nc_u64 s[20:21], s[20:21], s[52:53]
	s_lshl_b64 s[46:47], s[46:47], 1
	s_mul_i32 s60, s3, s9
	s_add_nc_u64 s[22:23], s[22:23], s[46:47]
	s_lshl_b64 s[46:47], s[48:49], 1
	s_lshl_b64 s[48:49], s[50:51], 1
	s_cmp_lt_i32 s7, 1
	s_load_b32 s50, s[0:1], 0x11c
	s_cselect_b32 s39, -1, 0
	s_cmp_gt_i32 s10, 0
	s_add_nc_u64 s[0:1], s[42:43], s[46:47]
	s_cselect_b32 s51, -1, 0
	s_cmp_gt_i32 s11, 0
	s_add_nc_u64 s[42:43], s[0:1], s[48:49]
	s_cselect_b32 s61, -1, 0
	s_cmp_gt_i32 s12, 0
	s_mul_i32 s0, s3, s8
	s_cselect_b32 s62, -1, 0
	s_abs_i32 s63, s9
	s_abs_i32 s68, s2
	s_cvt_f32_u32 s1, s63
	s_abs_i32 s70, s45
	s_abs_i32 s72, s31
	;; [unrolled: 1-line block ×3, first 2 shown]
	v_rcp_iflag_f32_e32 v1, s1
	s_cvt_f32_u32 s1, s68
	s_or_b32 s71, s30, s34
	s_cvt_f32_u32 s30, s70
	s_cvt_f32_u32 s31, s72
	s_wait_alu 0xfffe
	v_rcp_iflag_f32_e32 v2, s1
	s_wait_kmcnt 0x0
	s_and_b32 s73, s50, 0xffff
	s_ashr_i32 s77, s45, 31
	s_sub_co_i32 s53, 0, s63
	s_ashr_i32 s47, s11, 31
	v_readfirstlane_b32 s52, v1
	v_rcp_iflag_f32_e32 v1, s30
	s_mov_b32 s46, s11
	s_ashr_i32 s49, s12, 31
	s_mov_b32 s48, s12
	v_readfirstlane_b32 s34, v2
	v_rcp_iflag_f32_e32 v2, s31
	s_mul_f32 s52, s52, 0x4f7ffffe
	s_sub_co_i32 s31, 0, s68
	s_ashr_i32 s1, s0, 31
	s_mul_f32 s30, s34, 0x4f7ffffe
	s_cvt_f32_u32 s34, s74
	v_readfirstlane_b32 s50, v1
	s_cvt_u32_f32 s52, s52
	s_wait_alu 0xfffe
	s_cvt_u32_f32 s30, s30
	v_rcp_iflag_f32_e32 v1, s34
	s_ashr_i32 s3, s10, 31
	s_mul_f32 s34, s50, 0x4f7ffffe
	v_readfirstlane_b32 s50, v2
	s_wait_alu 0xfffe
	s_mul_i32 s31, s31, s30
	s_mul_i32 s53, s53, s52
	s_wait_alu 0xfffe
	s_mul_hi_u32 s31, s30, s31
	s_mul_hi_u32 s53, s52, s53
	s_wait_alu 0xfffe
	s_add_co_i32 s76, s30, s31
	s_cvt_u32_f32 s30, s34
	v_readfirstlane_b32 s45, v1
	s_mul_f32 s31, s50, 0x4f7ffffe
	s_sub_co_i32 s34, 0, s70
	s_add_co_i32 s75, s52, s53
	s_wait_alu 0xfffe
	s_mul_i32 s34, s34, s30
	s_mul_f32 s45, s45, 0x4f7ffffe
	s_cvt_u32_f32 s50, s31
	s_wait_alu 0xfffe
	s_mul_hi_u32 s31, s30, s34
	s_sub_co_i32 s34, 0, s72
	s_cvt_u32_f32 s52, s45
	s_wait_alu 0xfffe
	s_mul_i32 s34, s34, s50
	s_sub_co_i32 s45, 0, s74
	s_add_co_i32 s78, s30, s31
	s_wait_alu 0xfffe
	s_mul_hi_u32 s34, s50, s34
	s_mul_u64 s[30:31], s[48:49], s[46:47]
	s_mul_i32 s45, s45, s52
	s_mov_b32 s2, s10
	s_wait_alu 0xfffe
	s_add_co_i32 s79, s50, s34
	s_ashr_i32 s80, s44, 31
	s_mul_hi_u32 s34, s52, s45
	s_mul_u64 s[44:45], s[30:31], s[0:1]
	v_dual_mov_b32 v12, 0 :: v_dual_mov_b32 v13, 0x7e00
	s_mul_u64 s[46:47], s[48:49], s[0:1]
	s_mul_u64 s[2:3], s[44:45], s[2:3]
	s_ashr_i32 s9, s4, 31
	s_mov_b32 s8, s4
	s_ashr_i32 s64, s5, 31
	s_mov_b32 s65, s5
	;; [unrolled: 2-line block ×3, first 2 shown]
	s_ashr_i32 s69, s60, 31
	s_wait_alu 0xfffe
	s_add_co_i32 s81, s52, s34
	s_lshl_b64 s[30:31], s[2:3], 1
	s_lshl_b64 s[44:45], s[44:45], 1
	;; [unrolled: 1-line block ×4, first 2 shown]
	s_sub_co_i32 s50, 0, s29
	s_mov_b32 s29, 0
	s_branch .LBB112_3
.LBB112_2:                              ;   in Loop: Header=BB112_3 Depth=1
	v_add_nc_u32_e32 v0, s73, v0
	s_delay_alu instid0(VALU_DEP_1) | instskip(SKIP_1) | instid1(SALU_CYCLE_1)
	v_cmp_le_i32_e32 vcc_lo, s33, v0
	s_or_b32 s29, vcc_lo, s29
	s_and_not1_b32 exec_lo, exec_lo, s29
	s_cbranch_execz .LBB112_23
.LBB112_3:                              ; =>This Loop Header: Depth=1
                                        ;     Child Loop BB112_8 Depth 2
                                        ;       Child Loop BB112_11 Depth 3
                                        ;         Child Loop BB112_14 Depth 4
                                        ;           Child Loop BB112_17 Depth 5
	v_sub_nc_u32_e32 v1, 0, v0
	s_mov_b32 s34, -1
	s_delay_alu instid0(VALU_DEP_1) | instskip(NEXT) | instid1(VALU_DEP_1)
	v_max_i32_e32 v3, v0, v1
	v_mul_hi_u32 v4, v3, s78
	v_mul_hi_u32 v2, v3, s75
	s_delay_alu instid0(VALU_DEP_2) | instskip(NEXT) | instid1(VALU_DEP_2)
	v_mul_lo_u32 v5, v4, s70
	v_mul_lo_u32 v1, v2, s63
	v_add_nc_u32_e32 v8, 1, v4
	s_delay_alu instid0(VALU_DEP_3) | instskip(NEXT) | instid1(VALU_DEP_3)
	v_sub_nc_u32_e32 v5, v3, v5
	v_sub_nc_u32_e32 v6, v3, v1
	v_ashrrev_i32_e32 v1, 31, v0
	s_delay_alu instid0(VALU_DEP_3) | instskip(SKIP_1) | instid1(VALU_DEP_4)
	v_cmp_le_u32_e64 s0, s70, v5
	v_subrev_nc_u32_e32 v9, s70, v5
	v_cmp_le_u32_e32 vcc_lo, s63, v6
	s_delay_alu instid0(VALU_DEP_4) | instskip(SKIP_4) | instid1(VALU_DEP_3)
	v_xor_b32_e32 v10, s77, v1
	s_wait_alu 0xf1ff
	v_cndmask_b32_e64 v4, v4, v8, s0
	v_cndmask_b32_e64 v5, v5, v9, s0
	v_xor_b32_e32 v8, s37, v1
	v_add_nc_u32_e32 v9, 1, v4
	v_add_nc_u32_e32 v7, 1, v2
	s_wait_alu 0xfffd
	s_delay_alu instid0(VALU_DEP_1) | instskip(SKIP_1) | instid1(VALU_DEP_1)
	v_cndmask_b32_e32 v2, v2, v7, vcc_lo
	v_subrev_nc_u32_e32 v7, s63, v6
	v_dual_cndmask_b32 v6, v6, v7 :: v_dual_add_nc_u32 v7, 1, v2
	s_delay_alu instid0(VALU_DEP_1) | instskip(SKIP_1) | instid1(VALU_DEP_2)
	v_cmp_le_u32_e32 vcc_lo, s63, v6
	s_wait_alu 0xfffd
	v_cndmask_b32_e32 v2, v2, v7, vcc_lo
	v_cmp_le_u32_e32 vcc_lo, s70, v5
	s_delay_alu instid0(VALU_DEP_2) | instskip(SKIP_2) | instid1(VALU_DEP_2)
	v_xor_b32_e32 v2, v2, v8
	s_wait_alu 0xfffd
	v_cndmask_b32_e32 v4, v4, v9, vcc_lo
	v_sub_nc_u32_e32 v5, v2, v8
	s_delay_alu instid0(VALU_DEP_2) | instskip(NEXT) | instid1(VALU_DEP_2)
	v_xor_b32_e32 v4, v4, v10
	v_mul_lo_u32 v11, v5, s36
	s_delay_alu instid0(VALU_DEP_2) | instskip(SKIP_1) | instid1(VALU_DEP_2)
	v_sub_nc_u32_e32 v2, v4, v10
	v_sub_nc_u32_e32 v4, 0, v5
	;; [unrolled: 1-line block ×3, first 2 shown]
	s_delay_alu instid0(VALU_DEP_2) | instskip(NEXT) | instid1(VALU_DEP_2)
	v_max_i32_e32 v4, v5, v4
	v_max_i32_e32 v7, v2, v6
	s_delay_alu instid0(VALU_DEP_2) | instskip(SKIP_1) | instid1(VALU_DEP_3)
	v_mul_hi_u32 v8, v4, s76
	v_mul_hi_u32 v6, v3, s81
	;; [unrolled: 1-line block ×3, first 2 shown]
	s_delay_alu instid0(VALU_DEP_3) | instskip(NEXT) | instid1(VALU_DEP_3)
	v_mul_lo_u32 v8, v8, s68
	v_mul_lo_u32 v10, v6, s74
	s_delay_alu instid0(VALU_DEP_3) | instskip(NEXT) | instid1(VALU_DEP_3)
	v_mul_lo_u32 v9, v9, s72
	v_sub_nc_u32_e32 v4, v4, v8
	s_delay_alu instid0(VALU_DEP_3) | instskip(NEXT) | instid1(VALU_DEP_3)
	v_sub_nc_u32_e32 v3, v3, v10
	v_sub_nc_u32_e32 v8, v7, v9
	s_delay_alu instid0(VALU_DEP_3) | instskip(SKIP_1) | instid1(VALU_DEP_4)
	v_subrev_nc_u32_e32 v7, s68, v4
	v_cmp_le_u32_e32 vcc_lo, s68, v4
	v_subrev_nc_u32_e32 v9, s74, v3
	v_cmp_le_u32_e64 s3, s74, v3
	v_subrev_nc_u32_e32 v10, s72, v8
	s_wait_alu 0xfffd
	v_cndmask_b32_e32 v7, v4, v7, vcc_lo
	v_cmp_le_u32_e32 vcc_lo, s72, v8
	s_wait_alu 0xf1ff
	v_cndmask_b32_e64 v4, v3, v9, s3
	v_sub_nc_u32_e32 v3, v0, v11
	v_cmp_le_u32_e64 s2, s68, v7
	s_wait_alu 0xfffd
	v_cndmask_b32_e32 v8, v8, v10, vcc_lo
	v_cmp_le_u32_e64 s0, s74, v4
	s_and_not1_b32 vcc_lo, exec_lo, s39
	v_cmp_le_u32_e64 s1, s72, v8
	s_wait_alu 0xfffe
	s_cbranch_vccnz .LBB112_5
; %bb.4:                                ;   in Loop: Header=BB112_3 Depth=1
	v_ashrrev_i32_e32 v4, 31, v3
	s_mov_b32 s34, 0
.LBB112_5:                              ;   in Loop: Header=BB112_3 Depth=1
	v_add_nc_u32_e32 v9, 1, v6
	v_subrev_nc_u32_e32 v10, s72, v8
	v_ashrrev_i32_e32 v5, 31, v5
	v_ashrrev_i32_e32 v2, 31, v2
	s_wait_alu 0xfffe
	s_and_not1_b32 vcc_lo, exec_lo, s34
	v_cndmask_b32_e64 v6, v6, v9, s3
	v_subrev_nc_u32_e32 v9, s68, v7
	v_cndmask_b32_e64 v8, v8, v10, s1
	s_delay_alu instid0(VALU_DEP_3) | instskip(NEXT) | instid1(VALU_DEP_3)
	v_add_nc_u32_e32 v11, 1, v6
	v_cndmask_b32_e64 v7, v7, v9, s2
	v_xor_b32_e32 v9, s80, v1
	s_delay_alu instid0(VALU_DEP_3) | instskip(NEXT) | instid1(VALU_DEP_3)
	v_cndmask_b32_e64 v1, v6, v11, s0
	v_xor_b32_e32 v6, v7, v5
	v_xor_b32_e32 v7, v8, v2
	s_delay_alu instid0(VALU_DEP_3) | instskip(NEXT) | instid1(VALU_DEP_3)
	v_xor_b32_e32 v8, v1, v9
	v_sub_nc_u32_e32 v5, v6, v5
	s_delay_alu instid0(VALU_DEP_3)
	v_sub_nc_u32_e32 v6, v7, v2
	v_mov_b32_e32 v1, 0
	v_mov_b32_e32 v2, 0
	v_sub_nc_u32_e32 v14, v8, v9
	s_wait_alu 0xfffe
	s_cbranch_vccnz .LBB112_19
; %bb.6:                                ;   in Loop: Header=BB112_3 Depth=1
	v_ashrrev_i32_e32 v4, 31, v3
	s_delay_alu instid0(VALU_DEP_2) | instskip(SKIP_2) | instid1(VALU_DEP_4)
	v_mul_lo_u32 v15, v14, s16
	v_mul_lo_u32 v16, v6, s17
	v_mad_co_u64_u32 v[7:8], null, v5, s18, s[50:51]
	v_lshlrev_b64_e32 v[9:10], 1, v[3:4]
	v_mov_b32_e32 v1, 0
	v_mov_b32_e32 v2, 0
	s_mov_b32 s34, 0
	s_mov_b64 s[2:3], s[42:43]
	s_delay_alu instid0(VALU_DEP_3)
	v_add_co_u32 v17, vcc_lo, s20, v9
	s_wait_alu 0xfffd
	v_add_co_ci_u32_e64 v18, null, s21, v10, vcc_lo
	s_branch .LBB112_8
.LBB112_7:                              ;   in Loop: Header=BB112_8 Depth=2
	s_add_co_i32 s34, s34, 1
	s_add_nc_u64 s[2:3], s[2:3], s[30:31]
	s_wait_alu 0xfffe
	s_cmp_eq_u32 s34, s7
	s_cbranch_scc1 .LBB112_19
.LBB112_8:                              ;   Parent Loop BB112_3 Depth=1
                                        ; =>  This Loop Header: Depth=2
                                        ;       Child Loop BB112_11 Depth 3
                                        ;         Child Loop BB112_14 Depth 4
                                        ;           Child Loop BB112_17 Depth 5
	s_and_not1_b32 vcc_lo, exec_lo, s51
	s_wait_alu 0xfffe
	s_cbranch_vccnz .LBB112_7
; %bb.9:                                ;   in Loop: Header=BB112_8 Depth=2
	s_mul_u64 s[52:53], s[34:35], s[8:9]
	s_mov_b32 s1, 0
	s_mov_b64 s[54:55], s[2:3]
	s_branch .LBB112_11
.LBB112_10:                             ;   in Loop: Header=BB112_11 Depth=3
	s_add_co_i32 s1, s1, 1
	s_add_nc_u64 s[54:55], s[54:55], s[44:45]
	s_wait_alu 0xfffe
	s_cmp_eq_u32 s1, s10
	s_cbranch_scc1 .LBB112_7
.LBB112_11:                             ;   Parent Loop BB112_3 Depth=1
                                        ;     Parent Loop BB112_8 Depth=2
                                        ; =>    This Loop Header: Depth=3
                                        ;         Child Loop BB112_14 Depth 4
                                        ;           Child Loop BB112_17 Depth 5
	s_and_not1_b32 vcc_lo, exec_lo, s61
	s_wait_alu 0xfffe
	s_cbranch_vccnz .LBB112_10
; %bb.12:                               ;   in Loop: Header=BB112_11 Depth=3
	s_mul_i32 s0, s1, s13
	s_mov_b32 s82, 0
	s_wait_alu 0xfffe
	s_sub_co_i32 s0, s0, s19
	s_mov_b64 s[56:57], s[54:55]
	s_wait_alu 0xfffe
	v_add_nc_u32_e32 v10, s0, v15
	s_delay_alu instid0(VALU_DEP_1) | instskip(SKIP_3) | instid1(VALU_DEP_3)
	v_add_co_u32 v8, s0, s52, v10
	s_wait_alu 0xf1ff
	v_add_co_ci_u32_e64 v9, null, s53, 0, s0
	v_cmp_gt_i32_e32 vcc_lo, 0, v10
	v_mul_lo_u32 v19, v8, s64
	v_cmp_le_i32_e64 s0, s4, v10
	s_delay_alu instid0(VALU_DEP_4)
	v_mul_lo_u32 v11, v9, s65
	v_mad_co_u64_u32 v[8:9], null, v8, s65, 0
	s_or_b32 s83, vcc_lo, s0
	v_add3_u32 v9, v9, v19, v11
	s_branch .LBB112_14
.LBB112_13:                             ;   in Loop: Header=BB112_14 Depth=4
	s_add_co_i32 s82, s82, 1
	s_add_nc_u64 s[56:57], s[56:57], s[46:47]
	s_cmp_eq_u32 s82, s11
	s_cbranch_scc1 .LBB112_10
.LBB112_14:                             ;   Parent Loop BB112_3 Depth=1
                                        ;     Parent Loop BB112_8 Depth=2
                                        ;       Parent Loop BB112_11 Depth=3
                                        ; =>      This Loop Header: Depth=4
                                        ;           Child Loop BB112_17 Depth 5
	s_and_not1_b32 vcc_lo, exec_lo, s62
	s_wait_alu 0xfffe
	s_cbranch_vccnz .LBB112_13
; %bb.15:                               ;   in Loop: Header=BB112_14 Depth=4
	s_mul_i32 s0, s82, s14
	s_mov_b64 s[58:59], s[56:57]
	s_wait_alu 0xfffe
	s_sub_co_i32 s0, s0, s28
	s_mov_b32 s85, s12
	s_wait_alu 0xfffe
	v_add_nc_u32_e32 v19, s0, v16
	s_delay_alu instid0(VALU_DEP_1) | instskip(SKIP_3) | instid1(VALU_DEP_3)
	v_add_co_u32 v10, vcc_lo, v8, v19
	s_wait_alu 0xfffd
	v_add_co_ci_u32_e64 v11, null, 0, v9, vcc_lo
	v_cmp_gt_i32_e32 vcc_lo, 0, v19
	v_mul_lo_u32 v21, v10, s66
	v_cmp_le_i32_e64 s0, s5, v19
	s_delay_alu instid0(VALU_DEP_4) | instskip(SKIP_2) | instid1(VALU_DEP_4)
	v_mul_lo_u32 v20, v11, s67
	v_mad_co_u64_u32 v[10:11], null, v10, s67, 0
	v_mov_b32_e32 v19, v7
	s_or_b32 s0, vcc_lo, s0
	s_wait_alu 0xfffe
	s_or_b32 s84, s83, s0
	s_delay_alu instid0(VALU_DEP_2)
	v_add3_u32 v11, v11, v21, v20
	s_branch .LBB112_17
.LBB112_16:                             ;   in Loop: Header=BB112_17 Depth=5
	s_wait_alu 0xfffe
	s_or_b32 exec_lo, exec_lo, s0
	v_add_nc_u32_e32 v19, s15, v19
	s_add_co_i32 s85, s85, -1
	s_add_nc_u64 s[58:59], s[58:59], s[48:49]
	s_cmp_eq_u32 s85, 0
	s_cbranch_scc1 .LBB112_13
.LBB112_17:                             ;   Parent Loop BB112_3 Depth=1
                                        ;     Parent Loop BB112_8 Depth=2
                                        ;       Parent Loop BB112_11 Depth=3
                                        ;         Parent Loop BB112_14 Depth=4
                                        ; =>        This Inner Loop Header: Depth=5
	v_cmp_gt_i32_e32 vcc_lo, 0, v19
	v_cmp_le_i32_e64 s0, s6, v19
	s_or_b32 s0, vcc_lo, s0
	s_wait_alu 0xfffe
	s_nor_b32 s86, s84, s0
	s_delay_alu instid0(SALU_CYCLE_1)
	s_and_saveexec_b32 s0, s86
	s_cbranch_execz .LBB112_16
; %bb.18:                               ;   in Loop: Header=BB112_17 Depth=5
	v_add_co_u32 v20, vcc_lo, v10, v19
	s_wait_alu 0xfffd
	v_add_co_ci_u32_e64 v21, null, 0, v11, vcc_lo
	s_delay_alu instid0(VALU_DEP_2) | instskip(NEXT) | instid1(VALU_DEP_2)
	v_mul_lo_u32 v23, v20, s69
	v_mul_lo_u32 v22, v21, s60
	v_mad_co_u64_u32 v[20:21], null, v20, s60, 0
	s_delay_alu instid0(VALU_DEP_1) | instskip(NEXT) | instid1(VALU_DEP_1)
	v_add3_u32 v21, v21, v23, v22
	v_lshlrev_b64_e32 v[20:21], 1, v[20:21]
	s_delay_alu instid0(VALU_DEP_1) | instskip(SKIP_1) | instid1(VALU_DEP_2)
	v_add_co_u32 v20, vcc_lo, v17, v20
	s_wait_alu 0xfffd
	v_add_co_ci_u32_e64 v21, null, v18, v21, vcc_lo
	global_load_u16 v20, v[20:21], off
	global_load_u16 v21, v12, s[58:59]
	s_wait_loadcnt 0x1
	v_cvt_f32_f16_e32 v20, v20
	s_wait_loadcnt 0x0
	v_cvt_f32_f16_e32 v22, v21
	s_delay_alu instid0(VALU_DEP_2) | instskip(NEXT) | instid1(VALU_DEP_2)
	v_cvt_f64_f32_e32 v[20:21], v20
	v_cvt_f64_f32_e32 v[22:23], v22
	s_delay_alu instid0(VALU_DEP_1)
	v_fma_f64 v[1:2], v[20:21], v[22:23], v[1:2]
	s_branch .LBB112_16
.LBB112_19:                             ;   in Loop: Header=BB112_3 Depth=1
	v_ashrrev_i32_e32 v7, 31, v6
	s_and_b32 vcc_lo, exec_lo, s71
	s_mov_b32 s0, -1
	s_delay_alu instid0(VALU_DEP_1) | instskip(SKIP_1) | instid1(VALU_DEP_1)
	v_mad_co_i64_i32 v[7:8], null, v14, s38, v[6:7]
	v_ashrrev_i32_e32 v6, 31, v5
	v_mad_co_u64_u32 v[5:6], null, v7, s40, v[5:6]
	v_mul_lo_u32 v7, v7, s41
	s_delay_alu instid0(VALU_DEP_4) | instskip(NEXT) | instid1(VALU_DEP_3)
	v_mul_lo_u32 v8, v8, s40
	v_mad_co_u64_u32 v[3:4], null, v5, s36, v[3:4]
	s_delay_alu instid0(VALU_DEP_2) | instskip(SKIP_1) | instid1(VALU_DEP_2)
	v_add3_u32 v6, v8, v6, v7
	v_mul_lo_u32 v7, v5, s37
	v_mul_lo_u32 v5, v6, s36
	s_delay_alu instid0(VALU_DEP_1)
	v_add3_u32 v4, v5, v4, v7
	s_wait_alu 0xfffe
	s_cbranch_vccz .LBB112_21
; %bb.20:                               ;   in Loop: Header=BB112_3 Depth=1
	s_delay_alu instid0(VALU_DEP_1) | instskip(SKIP_1) | instid1(VALU_DEP_1)
	v_lshlrev_b64_e32 v[5:6], 1, v[3:4]
	s_mov_b32 s0, 0
	v_add_co_u32 v5, vcc_lo, s22, v5
	s_wait_alu 0xfffd
	s_delay_alu instid0(VALU_DEP_2) | instskip(SKIP_3) | instid1(VALU_DEP_1)
	v_add_co_ci_u32_e64 v6, null, s23, v6, vcc_lo
	global_load_u16 v7, v[5:6], off
	s_wait_loadcnt 0x0
	v_cvt_f32_f16_e32 v7, v7
	v_cvt_f64_f32_e32 v[7:8], v7
	s_delay_alu instid0(VALU_DEP_1) | instskip(NEXT) | instid1(VALU_DEP_1)
	v_mul_f64_e32 v[7:8], s[26:27], v[7:8]
	v_fma_f64 v[7:8], s[24:25], v[1:2], v[7:8]
	s_delay_alu instid0(VALU_DEP_1) | instskip(SKIP_3) | instid1(VALU_DEP_4)
	v_and_or_b32 v7, 0x1ff, v8, v7
	v_lshrrev_b32_e32 v9, 8, v8
	v_bfe_u32 v10, v8, 20, 11
	v_lshrrev_b32_e32 v8, 16, v8
	v_cmp_ne_u32_e32 vcc_lo, 0, v7
	s_delay_alu instid0(VALU_DEP_3) | instskip(SKIP_2) | instid1(VALU_DEP_1)
	v_sub_nc_u32_e32 v11, 0x3f1, v10
	s_wait_alu 0xfffd
	v_cndmask_b32_e64 v7, 0, 1, vcc_lo
	v_and_or_b32 v7, 0xffe, v9, v7
	s_delay_alu instid0(VALU_DEP_3) | instskip(NEXT) | instid1(VALU_DEP_2)
	v_med3_i32 v9, v11, 0, 13
	v_or_b32_e32 v11, 0x1000, v7
	s_delay_alu instid0(VALU_DEP_1) | instskip(NEXT) | instid1(VALU_DEP_1)
	v_lshrrev_b32_e32 v14, v9, v11
	v_lshlrev_b32_e32 v9, v9, v14
	s_delay_alu instid0(VALU_DEP_1) | instskip(SKIP_2) | instid1(VALU_DEP_1)
	v_cmp_ne_u32_e32 vcc_lo, v9, v11
	s_wait_alu 0xfffd
	v_cndmask_b32_e64 v9, 0, 1, vcc_lo
	v_or_b32_e32 v9, v14, v9
	v_add_nc_u32_e32 v10, 0xfffffc10, v10
	s_delay_alu instid0(VALU_DEP_1) | instskip(SKIP_2) | instid1(VALU_DEP_2)
	v_lshl_or_b32 v11, v10, 12, v7
	v_cmp_gt_i32_e32 vcc_lo, 1, v10
	s_wait_alu 0xfffd
	v_cndmask_b32_e32 v9, v11, v9, vcc_lo
	s_delay_alu instid0(VALU_DEP_1) | instskip(SKIP_1) | instid1(VALU_DEP_2)
	v_and_b32_e32 v11, 7, v9
	v_lshrrev_b32_e32 v9, 2, v9
	v_cmp_lt_i32_e32 vcc_lo, 5, v11
	s_wait_alu 0xfffd
	v_cndmask_b32_e64 v14, 0, 1, vcc_lo
	v_cmp_eq_u32_e32 vcc_lo, 3, v11
	s_wait_alu 0xfffd
	v_cndmask_b32_e64 v11, 0, 1, vcc_lo
	v_cmp_ne_u32_e32 vcc_lo, 0, v7
	s_delay_alu instid0(VALU_DEP_2) | instskip(SKIP_3) | instid1(VALU_DEP_3)
	v_or_b32_e32 v11, v11, v14
	s_wait_alu 0xfffd
	v_cndmask_b32_e32 v7, 0x7c00, v13, vcc_lo
	v_cmp_gt_i32_e32 vcc_lo, 31, v10
	v_add_nc_u32_e32 v9, v9, v11
	s_wait_alu 0xfffd
	s_delay_alu instid0(VALU_DEP_1) | instskip(SKIP_2) | instid1(VALU_DEP_2)
	v_cndmask_b32_e32 v9, 0x7c00, v9, vcc_lo
	v_cmp_eq_u32_e32 vcc_lo, 0x40f, v10
	s_wait_alu 0xfffd
	v_cndmask_b32_e32 v7, v9, v7, vcc_lo
	s_delay_alu instid0(VALU_DEP_1)
	v_and_or_b32 v7, 0x8000, v8, v7
	global_store_b16 v[5:6], v7, off
.LBB112_21:                             ;   in Loop: Header=BB112_3 Depth=1
	s_wait_alu 0xfffe
	s_and_not1_b32 vcc_lo, exec_lo, s0
	s_wait_alu 0xfffe
	s_cbranch_vccnz .LBB112_2
; %bb.22:                               ;   in Loop: Header=BB112_3 Depth=1
	v_and_or_b32 v1, 0x1ff, v2, v1
	v_lshrrev_b32_e32 v5, 8, v2
	v_bfe_u32 v6, v2, 20, 11
	s_delay_alu instid0(VALU_DEP_3) | instskip(NEXT) | instid1(VALU_DEP_2)
	v_cmp_ne_u32_e32 vcc_lo, 0, v1
	v_sub_nc_u32_e32 v7, 0x3f1, v6
	s_wait_alu 0xfffd
	v_cndmask_b32_e64 v1, 0, 1, vcc_lo
	s_delay_alu instid0(VALU_DEP_1) | instskip(NEXT) | instid1(VALU_DEP_3)
	v_and_or_b32 v1, 0xffe, v5, v1
	v_med3_i32 v5, v7, 0, 13
	s_delay_alu instid0(VALU_DEP_2) | instskip(NEXT) | instid1(VALU_DEP_1)
	v_or_b32_e32 v7, 0x1000, v1
	v_lshrrev_b32_e32 v8, v5, v7
	s_delay_alu instid0(VALU_DEP_1) | instskip(NEXT) | instid1(VALU_DEP_1)
	v_lshlrev_b32_e32 v5, v5, v8
	v_cmp_ne_u32_e32 vcc_lo, v5, v7
	s_wait_alu 0xfffd
	v_cndmask_b32_e64 v5, 0, 1, vcc_lo
	s_delay_alu instid0(VALU_DEP_1) | instskip(SKIP_1) | instid1(VALU_DEP_1)
	v_or_b32_e32 v5, v8, v5
	v_add_nc_u32_e32 v6, 0xfffffc10, v6
	v_lshl_or_b32 v7, v6, 12, v1
	v_cmp_gt_i32_e32 vcc_lo, 1, v6
	s_wait_alu 0xfffd
	s_delay_alu instid0(VALU_DEP_2) | instskip(NEXT) | instid1(VALU_DEP_1)
	v_cndmask_b32_e32 v5, v7, v5, vcc_lo
	v_and_b32_e32 v7, 7, v5
	v_lshrrev_b32_e32 v5, 2, v5
	s_delay_alu instid0(VALU_DEP_2)
	v_cmp_lt_i32_e32 vcc_lo, 5, v7
	s_wait_alu 0xfffd
	v_cndmask_b32_e64 v8, 0, 1, vcc_lo
	v_cmp_eq_u32_e32 vcc_lo, 3, v7
	s_wait_alu 0xfffd
	v_cndmask_b32_e64 v7, 0, 1, vcc_lo
	v_cmp_ne_u32_e32 vcc_lo, 0, v1
	s_delay_alu instid0(VALU_DEP_2) | instskip(SKIP_3) | instid1(VALU_DEP_3)
	v_or_b32_e32 v7, v7, v8
	s_wait_alu 0xfffd
	v_cndmask_b32_e32 v1, 0x7c00, v13, vcc_lo
	v_cmp_gt_i32_e32 vcc_lo, 31, v6
	v_add_nc_u32_e32 v5, v5, v7
	v_lshrrev_b32_e32 v7, 16, v2
	s_wait_alu 0xfffd
	s_delay_alu instid0(VALU_DEP_2) | instskip(SKIP_2) | instid1(VALU_DEP_2)
	v_cndmask_b32_e32 v5, 0x7c00, v5, vcc_lo
	v_cmp_eq_u32_e32 vcc_lo, 0x40f, v6
	s_wait_alu 0xfffd
	v_cndmask_b32_e32 v5, v5, v1, vcc_lo
	v_lshlrev_b64_e32 v[1:2], 1, v[3:4]
	s_delay_alu instid0(VALU_DEP_2) | instskip(NEXT) | instid1(VALU_DEP_2)
	v_and_or_b32 v3, 0x8000, v7, v5
	v_add_co_u32 v1, vcc_lo, s22, v1
	s_wait_alu 0xfffd
	s_delay_alu instid0(VALU_DEP_3)
	v_add_co_ci_u32_e64 v2, null, s23, v2, vcc_lo
	global_store_b16 v[1:2], v3, off
	s_branch .LBB112_2
.LBB112_23:
	s_endpgm
	.section	.rodata,"a",@progbits
	.p2align	6, 0x0
	.amdhsa_kernel naive_conv_ab_packed_wrw_ndhwc_half_double_half_0
		.amdhsa_group_segment_fixed_size 0
		.amdhsa_private_segment_fixed_size 0
		.amdhsa_kernarg_size 528
		.amdhsa_user_sgpr_count 2
		.amdhsa_user_sgpr_dispatch_ptr 0
		.amdhsa_user_sgpr_queue_ptr 0
		.amdhsa_user_sgpr_kernarg_segment_ptr 1
		.amdhsa_user_sgpr_dispatch_id 0
		.amdhsa_user_sgpr_private_segment_size 0
		.amdhsa_wavefront_size32 1
		.amdhsa_uses_dynamic_stack 0
		.amdhsa_enable_private_segment 0
		.amdhsa_system_sgpr_workgroup_id_x 1
		.amdhsa_system_sgpr_workgroup_id_y 0
		.amdhsa_system_sgpr_workgroup_id_z 0
		.amdhsa_system_sgpr_workgroup_info 0
		.amdhsa_system_vgpr_workitem_id 0
		.amdhsa_next_free_vgpr 24
		.amdhsa_next_free_sgpr 87
		.amdhsa_reserve_vcc 1
		.amdhsa_float_round_mode_32 0
		.amdhsa_float_round_mode_16_64 0
		.amdhsa_float_denorm_mode_32 3
		.amdhsa_float_denorm_mode_16_64 3
		.amdhsa_fp16_overflow 0
		.amdhsa_workgroup_processor_mode 1
		.amdhsa_memory_ordered 1
		.amdhsa_forward_progress 1
		.amdhsa_inst_pref_size 23
		.amdhsa_round_robin_scheduling 0
		.amdhsa_exception_fp_ieee_invalid_op 0
		.amdhsa_exception_fp_denorm_src 0
		.amdhsa_exception_fp_ieee_div_zero 0
		.amdhsa_exception_fp_ieee_overflow 0
		.amdhsa_exception_fp_ieee_underflow 0
		.amdhsa_exception_fp_ieee_inexact 0
		.amdhsa_exception_int_div_zero 0
	.end_amdhsa_kernel
	.text
.Lfunc_end112:
	.size	naive_conv_ab_packed_wrw_ndhwc_half_double_half_0, .Lfunc_end112-naive_conv_ab_packed_wrw_ndhwc_half_double_half_0
                                        ; -- End function
	.set naive_conv_ab_packed_wrw_ndhwc_half_double_half_0.num_vgpr, 24
	.set naive_conv_ab_packed_wrw_ndhwc_half_double_half_0.num_agpr, 0
	.set naive_conv_ab_packed_wrw_ndhwc_half_double_half_0.numbered_sgpr, 87
	.set naive_conv_ab_packed_wrw_ndhwc_half_double_half_0.num_named_barrier, 0
	.set naive_conv_ab_packed_wrw_ndhwc_half_double_half_0.private_seg_size, 0
	.set naive_conv_ab_packed_wrw_ndhwc_half_double_half_0.uses_vcc, 1
	.set naive_conv_ab_packed_wrw_ndhwc_half_double_half_0.uses_flat_scratch, 0
	.set naive_conv_ab_packed_wrw_ndhwc_half_double_half_0.has_dyn_sized_stack, 0
	.set naive_conv_ab_packed_wrw_ndhwc_half_double_half_0.has_recursion, 0
	.set naive_conv_ab_packed_wrw_ndhwc_half_double_half_0.has_indirect_call, 0
	.section	.AMDGPU.csdata,"",@progbits
; Kernel info:
; codeLenInByte = 2836
; TotalNumSgprs: 89
; NumVgprs: 24
; ScratchSize: 0
; MemoryBound: 0
; FloatMode: 240
; IeeeMode: 1
; LDSByteSize: 0 bytes/workgroup (compile time only)
; SGPRBlocks: 0
; VGPRBlocks: 2
; NumSGPRsForWavesPerEU: 89
; NumVGPRsForWavesPerEU: 24
; Occupancy: 16
; WaveLimiterHint : 0
; COMPUTE_PGM_RSRC2:SCRATCH_EN: 0
; COMPUTE_PGM_RSRC2:USER_SGPR: 2
; COMPUTE_PGM_RSRC2:TRAP_HANDLER: 0
; COMPUTE_PGM_RSRC2:TGID_X_EN: 1
; COMPUTE_PGM_RSRC2:TGID_Y_EN: 0
; COMPUTE_PGM_RSRC2:TGID_Z_EN: 0
; COMPUTE_PGM_RSRC2:TIDIG_COMP_CNT: 0
	.text
	.protected	naive_conv_ab_nonpacked_wrw_ndhwc_half_double_half_0 ; -- Begin function naive_conv_ab_nonpacked_wrw_ndhwc_half_double_half_0
	.globl	naive_conv_ab_nonpacked_wrw_ndhwc_half_double_half_0
	.p2align	8
	.type	naive_conv_ab_nonpacked_wrw_ndhwc_half_double_half_0,@function
naive_conv_ab_nonpacked_wrw_ndhwc_half_double_half_0: ; @naive_conv_ab_nonpacked_wrw_ndhwc_half_double_half_0
; %bb.0:
	s_clause 0x2
	s_load_b512 s[4:19], s[0:1], 0xb8
	s_load_b32 s73, s[0:1], 0x108
	s_load_b128 s[28:31], s[0:1], 0xf8
	s_mov_b32 s20, exec_lo
	s_wait_kmcnt 0x0
	s_abs_i32 s2, s8
	s_mul_i32 s82, s73, s9
	s_cvt_f32_u32 s3, s2
	s_mul_i32 s85, s82, s31
	s_delay_alu instid0(SALU_CYCLE_1) | instskip(NEXT) | instid1(SALU_CYCLE_1)
	s_mul_i32 s33, s85, s30
	v_rcp_iflag_f32_e32 v1, s3
	s_delay_alu instid0(TRANS32_DEP_1)
	v_readfirstlane_b32 s3, v1
	v_cmpx_gt_i32_e64 s33, v0
	s_cbranch_execz .LBB113_23
; %bb.1:
	s_mul_f32 s3, s3, 0x4f7ffffe
	s_sub_co_i32 s20, 0, s2
	s_mov_b32 s35, 0
	s_abs_i32 s34, ttmp9
	s_wait_alu 0xfffe
	s_cvt_u32_f32 s3, s3
	s_mov_b32 s37, s35
	s_ashr_i32 s30, s8, 31
	s_load_b64 s[74:75], s[0:1], 0x20
	s_mul_i32 s20, s20, s3
	v_dual_mov_b32 v5, 0 :: v_dual_mov_b32 v6, 0x7e00
	s_mul_hi_u32 s20, s3, s20
	s_delay_alu instid0(SALU_CYCLE_1)
	s_add_co_i32 s36, s3, s20
	s_ashr_i32 s3, ttmp9, 31
	s_mul_u64 s[68:69], s[34:35], s[36:37]
	s_load_b256 s[20:27], s[0:1], 0x0
	s_mul_i32 s68, s69, s2
	s_clause 0x1
	s_load_b512 s[36:51], s[0:1], 0x28
	s_load_b512 s[52:67], s[0:1], 0x68
	s_xor_b32 s3, s3, s30
	s_sub_co_i32 s30, s34, s68
	s_add_co_i32 s34, s69, 1
	s_sub_co_i32 s68, s30, s2
	s_cmp_ge_u32 s30, s2
	s_cselect_b32 s34, s34, s69
	s_cselect_b32 s30, s68, s30
	s_add_co_i32 s68, s34, 1
	s_cmp_ge_u32 s30, s2
	s_cselect_b32 s2, s68, s34
	s_wait_alu 0xfffe
	s_xor_b32 s2, s2, s3
	s_wait_alu 0xfffe
	s_sub_co_i32 s2, s2, s3
	s_wait_alu 0xfffe
	s_mul_i32 s8, s2, s8
	s_ashr_i32 s3, s2, 31
	s_sub_co_i32 s68, ttmp9, s8
	s_wait_kmcnt 0x0
	v_cmp_neq_f64_e64 s30, s[24:25], 1.0
	v_cmp_neq_f64_e64 s34, s[26:27], 0
	s_wait_alu 0xfffe
	s_mul_u64 s[38:39], s[38:39], s[2:3]
	s_mul_u64 s[58:59], s[58:59], s[2:3]
	;; [unrolled: 1-line block ×3, first 2 shown]
	s_ashr_i32 s69, s68, 31
	s_wait_alu 0xfffe
	s_lshl_b64 s[62:63], s[2:3], 1
	s_mul_u64 s[2:3], s[56:57], s[68:69]
	s_mul_u64 s[56:57], s[60:61], s[68:69]
	s_lshl_b64 s[38:39], s[38:39], 1
	s_lshl_b64 s[58:59], s[58:59], 1
	s_wait_alu 0xfffe
	s_lshl_b64 s[60:61], s[2:3], 1
	s_lshl_b64 s[56:57], s[56:57], 1
	s_cmp_lt_i32 s7, 1
	s_load_b32 s8, s[0:1], 0x11c
	s_cselect_b32 s68, -1, 0
	s_cmp_gt_i32 s10, 0
	s_add_nc_u64 s[22:23], s[22:23], s[58:59]
	s_cselect_b32 s69, -1, 0
	s_cmp_gt_i32 s11, 0
	s_add_nc_u64 s[20:21], s[20:21], s[38:39]
	;; [unrolled: 3-line block ×3, first 2 shown]
	s_cselect_b32 s71, -1, 0
	s_abs_i32 s72, s9
	s_abs_i32 s73, s73
	s_cvt_f32_u32 s76, s72
	s_cvt_f32_u32 s58, s73
	s_abs_i32 s75, s82
	s_add_nc_u64 s[38:39], s[38:39], s[56:57]
	v_rcp_iflag_f32_e32 v1, s76
	v_rcp_iflag_f32_e32 v2, s58
	s_abs_i32 s77, s31
	s_wait_kmcnt 0x0
	s_and_b32 s74, s8, 0xffff
	s_cvt_f32_u32 s8, s75
	s_abs_i32 s78, s85
	s_sub_co_i32 s31, 0, s72
	s_cvt_f32_u32 s58, s78
	s_or_b32 s79, s30, s34
	s_load_b128 s[0:3], s[0:1], 0xa8
	v_readfirstlane_b32 s56, v1
	v_rcp_iflag_f32_e32 v1, s8
	v_readfirstlane_b32 s57, v2
	s_add_nc_u64 s[22:23], s[22:23], s[60:61]
	s_ashr_i32 s76, s9, 31
	s_mul_f32 s8, s56, 0x4f7ffffe
	s_cvt_f32_u32 s56, s77
	s_mul_f32 s30, s57, 0x4f7ffffe
	s_ashr_i32 s82, s82, 31
	s_wait_alu 0xfffe
	s_cvt_u32_f32 s8, s8
	v_rcp_iflag_f32_e32 v2, s56
	v_readfirstlane_b32 s34, v1
	v_rcp_iflag_f32_e32 v1, s58
	s_cvt_u32_f32 s30, s30
	s_wait_alu 0xfffe
	s_mul_i32 s31, s31, s8
	s_sub_co_i32 s56, 0, s73
	s_mul_f32 s34, s34, 0x4f7ffffe
	s_mul_hi_u32 s31, s8, s31
	s_wait_alu 0xfffe
	s_mul_i32 s56, s56, s30
	s_add_co_i32 s80, s8, s31
	s_wait_alu 0xfffe
	s_mul_hi_u32 s8, s30, s56
	s_cvt_u32_f32 s31, s34
	v_readfirstlane_b32 s34, v2
	s_wait_alu 0xfffe
	s_add_co_i32 s81, s30, s8
	v_readfirstlane_b32 s30, v1
	s_sub_co_i32 s8, 0, s75
	s_ashr_i32 s85, s85, 31
	s_mul_f32 s34, s34, 0x4f7ffffe
	s_wait_alu 0xfffe
	s_mul_i32 s8, s8, s31
	s_mul_f32 s30, s30, 0x4f7ffffe
	s_wait_alu 0xfffe
	s_mul_hi_u32 s8, s31, s8
	s_cvt_u32_f32 s34, s34
	s_wait_alu 0xfffe
	s_add_co_i32 s83, s31, s8
	s_sub_co_i32 s8, 0, s77
	s_cvt_u32_f32 s30, s30
	s_wait_alu 0xfffe
	s_mul_i32 s8, s8, s34
	s_sub_co_i32 s31, 0, s78
	s_wait_alu 0xfffe
	s_mul_hi_u32 s8, s34, s8
	s_mul_i32 s31, s31, s30
	s_wait_alu 0xfffe
	s_add_co_i32 s84, s34, s8
	s_mul_hi_u32 s8, s30, s31
	s_wait_kmcnt 0x0
	s_lshl_b64 s[56:57], s[0:1], 1
	s_wait_alu 0xfffe
	s_add_co_i32 s86, s30, s8
	s_lshl_b64 s[30:31], s[2:3], 1
	s_lshl_b64 s[58:59], s[66:67], 1
	;; [unrolled: 1-line block ×3, first 2 shown]
	s_sub_co_i32 s8, 0, s29
	s_mov_b32 s29, 0
	s_branch .LBB113_3
.LBB113_2:                              ;   in Loop: Header=BB113_3 Depth=1
	v_add_nc_u32_e32 v0, s74, v0
	s_delay_alu instid0(VALU_DEP_1) | instskip(SKIP_1) | instid1(SALU_CYCLE_1)
	v_cmp_le_i32_e32 vcc_lo, s33, v0
	s_or_b32 s29, vcc_lo, s29
	s_and_not1_b32 exec_lo, exec_lo, s29
	s_cbranch_execz .LBB113_23
.LBB113_3:                              ; =>This Loop Header: Depth=1
                                        ;     Child Loop BB113_8 Depth 2
                                        ;       Child Loop BB113_11 Depth 3
                                        ;         Child Loop BB113_14 Depth 4
                                        ;           Child Loop BB113_17 Depth 5
	v_sub_nc_u32_e32 v1, 0, v0
	s_mov_b32 s34, -1
	s_delay_alu instid0(VALU_DEP_1) | instskip(NEXT) | instid1(VALU_DEP_1)
	v_max_i32_e32 v7, v0, v1
	v_mul_hi_u32 v2, v7, s80
	v_mul_hi_u32 v3, v7, s83
	s_delay_alu instid0(VALU_DEP_2) | instskip(NEXT) | instid1(VALU_DEP_2)
	v_mul_lo_u32 v1, v2, s72
	v_mul_lo_u32 v4, v3, s75
	v_add_nc_u32_e32 v9, 1, v2
	v_add_nc_u32_e32 v10, 1, v3
	s_delay_alu instid0(VALU_DEP_4) | instskip(NEXT) | instid1(VALU_DEP_4)
	v_sub_nc_u32_e32 v8, v7, v1
	v_sub_nc_u32_e32 v4, v7, v4
	v_ashrrev_i32_e32 v1, 31, v0
	s_delay_alu instid0(VALU_DEP_3) | instskip(NEXT) | instid1(VALU_DEP_3)
	v_cmp_le_u32_e32 vcc_lo, s72, v8
	v_cmp_le_u32_e64 s0, s75, v4
	v_subrev_nc_u32_e32 v11, s75, v4
	s_delay_alu instid0(VALU_DEP_4) | instskip(SKIP_1) | instid1(VALU_DEP_3)
	v_xor_b32_e32 v12, s82, v1
	s_wait_alu 0xf1ff
	v_cndmask_b32_e64 v3, v3, v10, s0
	s_wait_alu 0xfffd
	v_cndmask_b32_e32 v2, v2, v9, vcc_lo
	v_subrev_nc_u32_e32 v9, s72, v8
	v_cndmask_b32_e64 v4, v4, v11, s0
	v_xor_b32_e32 v10, s76, v1
	s_delay_alu instid0(VALU_DEP_3) | instskip(SKIP_1) | instid1(VALU_DEP_2)
	v_dual_cndmask_b32 v8, v8, v9 :: v_dual_add_nc_u32 v11, 1, v3
	v_add_nc_u32_e32 v9, 1, v2
	v_cmp_le_u32_e32 vcc_lo, s72, v8
	s_wait_alu 0xfffd
	s_delay_alu instid0(VALU_DEP_2) | instskip(SKIP_3) | instid1(VALU_DEP_3)
	v_cndmask_b32_e32 v2, v2, v9, vcc_lo
	v_cmp_le_u32_e32 vcc_lo, s75, v4
	s_wait_alu 0xfffd
	v_cndmask_b32_e32 v3, v3, v11, vcc_lo
	v_xor_b32_e32 v2, v2, v10
	s_delay_alu instid0(VALU_DEP_2) | instskip(NEXT) | instid1(VALU_DEP_2)
	v_xor_b32_e32 v4, v3, v12
	v_sub_nc_u32_e32 v3, v2, v10
	s_delay_alu instid0(VALU_DEP_2) | instskip(NEXT) | instid1(VALU_DEP_2)
	v_sub_nc_u32_e32 v2, v4, v12
	v_sub_nc_u32_e32 v4, 0, v3
	v_mul_lo_u32 v13, v3, s9
	s_delay_alu instid0(VALU_DEP_3) | instskip(NEXT) | instid1(VALU_DEP_3)
	v_sub_nc_u32_e32 v8, 0, v2
	v_max_i32_e32 v9, v3, v4
	v_mul_hi_u32 v4, v7, s86
	s_delay_alu instid0(VALU_DEP_3) | instskip(NEXT) | instid1(VALU_DEP_3)
	v_max_i32_e32 v8, v2, v8
	v_mul_hi_u32 v10, v9, s81
	s_delay_alu instid0(VALU_DEP_2) | instskip(NEXT) | instid1(VALU_DEP_4)
	v_mul_hi_u32 v11, v8, s84
	v_mul_lo_u32 v12, v4, s78
	s_delay_alu instid0(VALU_DEP_3) | instskip(NEXT) | instid1(VALU_DEP_3)
	v_mul_lo_u32 v10, v10, s73
	v_mul_lo_u32 v11, v11, s77
	s_delay_alu instid0(VALU_DEP_3) | instskip(NEXT) | instid1(VALU_DEP_3)
	v_sub_nc_u32_e32 v7, v7, v12
	v_sub_nc_u32_e32 v9, v9, v10
	s_delay_alu instid0(VALU_DEP_2) | instskip(NEXT) | instid1(VALU_DEP_4)
	v_cmp_le_u32_e64 s3, s78, v7
	v_sub_nc_u32_e32 v8, v8, v11
	s_delay_alu instid0(VALU_DEP_3) | instskip(SKIP_2) | instid1(VALU_DEP_4)
	v_subrev_nc_u32_e32 v10, s73, v9
	v_cmp_le_u32_e32 vcc_lo, s73, v9
	v_subrev_nc_u32_e32 v11, s78, v7
	v_subrev_nc_u32_e32 v12, s77, v8
	s_wait_alu 0xfffd
	v_cndmask_b32_e32 v9, v9, v10, vcc_lo
	v_cmp_le_u32_e32 vcc_lo, s77, v8
	s_delay_alu instid0(VALU_DEP_2)
	v_cmp_le_u32_e64 s2, s73, v9
	s_wait_alu 0xfffd
	v_cndmask_b32_e32 v10, v8, v12, vcc_lo
	s_wait_alu 0xf1ff
	v_cndmask_b32_e64 v8, v7, v11, s3
	v_sub_nc_u32_e32 v7, v0, v13
	s_and_not1_b32 vcc_lo, exec_lo, s68
	v_cmp_le_u32_e64 s1, s77, v10
	s_delay_alu instid0(VALU_DEP_3)
	v_cmp_le_u32_e64 s0, s78, v8
                                        ; implicit-def: $vgpr8
	s_wait_alu 0xfffe
	s_cbranch_vccnz .LBB113_5
; %bb.4:                                ;   in Loop: Header=BB113_3 Depth=1
	v_ashrrev_i32_e32 v8, 31, v7
	s_mov_b32 s34, 0
.LBB113_5:                              ;   in Loop: Header=BB113_3 Depth=1
	v_add_nc_u32_e32 v11, 1, v4
	v_subrev_nc_u32_e32 v12, s77, v10
	v_ashrrev_i32_e32 v3, 31, v3
	v_ashrrev_i32_e32 v2, 31, v2
	s_and_not1_b32 vcc_lo, exec_lo, s34
	v_cndmask_b32_e64 v4, v4, v11, s3
	v_subrev_nc_u32_e32 v11, s73, v9
	s_wait_alu 0xf1ff
	v_cndmask_b32_e64 v10, v10, v12, s1
	v_xor_b32_e32 v12, s85, v1
	v_add_nc_u32_e32 v13, 1, v4
	v_cndmask_b32_e64 v9, v9, v11, s2
	s_delay_alu instid0(VALU_DEP_2) | instskip(NEXT) | instid1(VALU_DEP_2)
	v_cndmask_b32_e64 v1, v4, v13, s0
	v_xor_b32_e32 v4, v9, v3
	v_xor_b32_e32 v9, v10, v2
	s_delay_alu instid0(VALU_DEP_3) | instskip(NEXT) | instid1(VALU_DEP_3)
	v_xor_b32_e32 v13, v1, v12
	v_sub_nc_u32_e32 v11, v4, v3
	s_delay_alu instid0(VALU_DEP_3)
	v_sub_nc_u32_e32 v10, v9, v2
	v_mov_b32_e32 v1, 0
	v_mov_b32_e32 v2, 0
	v_sub_nc_u32_e32 v9, v13, v12
	s_wait_alu 0xfffe
	s_cbranch_vccnz .LBB113_19
; %bb.6:                                ;   in Loop: Header=BB113_3 Depth=1
	v_ashrrev_i32_e32 v8, 31, v7
	v_mul_lo_u32 v3, s37, v7
	v_mad_co_u64_u32 v[1:2], null, s36, v7, 0
	v_mul_lo_u32 v12, v9, s16
	s_delay_alu instid0(VALU_DEP_4) | instskip(SKIP_3) | instid1(VALU_DEP_2)
	v_mul_lo_u32 v4, s36, v8
	v_mul_lo_u32 v13, v10, s17
	s_mov_b32 s34, 0
	s_mov_b64 s[2:3], s[38:39]
	v_add3_u32 v2, v2, v4, v3
	v_mad_co_u64_u32 v[3:4], null, v11, s18, s[8:9]
	s_delay_alu instid0(VALU_DEP_2) | instskip(SKIP_2) | instid1(VALU_DEP_3)
	v_lshlrev_b64_e32 v[14:15], 1, v[1:2]
	v_mov_b32_e32 v1, 0
	v_mov_b32_e32 v2, 0
	v_add_co_u32 v4, vcc_lo, s20, v14
	s_wait_alu 0xfffd
	s_delay_alu instid0(VALU_DEP_4)
	v_add_co_ci_u32_e64 v14, null, s21, v15, vcc_lo
	s_branch .LBB113_8
.LBB113_7:                              ;   in Loop: Header=BB113_8 Depth=2
	s_add_co_i32 s34, s34, 1
	s_add_nc_u64 s[2:3], s[2:3], s[30:31]
	s_cmp_eq_u32 s34, s7
	s_cbranch_scc1 .LBB113_19
.LBB113_8:                              ;   Parent Loop BB113_3 Depth=1
                                        ; =>  This Loop Header: Depth=2
                                        ;       Child Loop BB113_11 Depth 3
                                        ;         Child Loop BB113_14 Depth 4
                                        ;           Child Loop BB113_17 Depth 5
	s_and_not1_b32 vcc_lo, exec_lo, s69
	s_wait_alu 0xfffe
	s_cbranch_vccnz .LBB113_7
; %bb.9:                                ;   in Loop: Header=BB113_8 Depth=2
	s_mul_u64 s[0:1], s[46:47], s[34:35]
	s_mov_b32 s87, 0
	s_wait_alu 0xfffe
	s_lshl_b64 s[0:1], s[0:1], 1
	s_mov_b64 s[62:63], s[2:3]
	s_wait_alu 0xfffe
	v_add_co_u32 v15, vcc_lo, v4, s0
	s_wait_alu 0xfffd
	v_add_co_ci_u32_e64 v16, null, s1, v14, vcc_lo
	s_branch .LBB113_11
.LBB113_10:                             ;   in Loop: Header=BB113_11 Depth=3
	s_add_co_i32 s87, s87, 1
	s_add_nc_u64 s[62:63], s[62:63], s[56:57]
	s_wait_alu 0xfffe
	s_cmp_eq_u32 s87, s10
	s_cbranch_scc1 .LBB113_7
.LBB113_11:                             ;   Parent Loop BB113_3 Depth=1
                                        ;     Parent Loop BB113_8 Depth=2
                                        ; =>    This Loop Header: Depth=3
                                        ;         Child Loop BB113_14 Depth 4
                                        ;           Child Loop BB113_17 Depth 5
	s_and_not1_b32 vcc_lo, exec_lo, s70
	s_wait_alu 0xfffe
	s_cbranch_vccnz .LBB113_10
; %bb.12:                               ;   in Loop: Header=BB113_11 Depth=3
	s_mul_i32 s0, s87, s13
	s_mov_b64 s[64:65], s[62:63]
	s_wait_alu 0xfffe
	s_sub_co_i32 s0, s0, s19
	s_wait_alu 0xfffe
	v_add_nc_u32_e32 v20, s0, v12
	s_delay_alu instid0(VALU_DEP_1) | instskip(SKIP_4) | instid1(VALU_DEP_1)
	v_mad_co_u64_u32 v[17:18], null, s44, v20, 0
	v_cmp_gt_i32_e32 vcc_lo, 0, v20
	v_cmp_le_i32_e64 s0, s4, v20
	s_or_b32 s88, vcc_lo, s0
	v_mad_co_u64_u32 v[18:19], null, s45, v20, v[18:19]
	v_lshlrev_b64_e32 v[17:18], 1, v[17:18]
	s_delay_alu instid0(VALU_DEP_1) | instskip(SKIP_1) | instid1(VALU_DEP_2)
	v_add_co_u32 v17, s1, v15, v17
	s_wait_alu 0xf1ff
	v_add_co_ci_u32_e64 v18, null, v16, v18, s1
	s_mov_b32 s1, 0
	s_branch .LBB113_14
.LBB113_13:                             ;   in Loop: Header=BB113_14 Depth=4
	s_add_co_i32 s1, s1, 1
	s_add_nc_u64 s[64:65], s[64:65], s[58:59]
	s_wait_alu 0xfffe
	s_cmp_eq_u32 s1, s11
	s_cbranch_scc1 .LBB113_10
.LBB113_14:                             ;   Parent Loop BB113_3 Depth=1
                                        ;     Parent Loop BB113_8 Depth=2
                                        ;       Parent Loop BB113_11 Depth=3
                                        ; =>      This Loop Header: Depth=4
                                        ;           Child Loop BB113_17 Depth 5
	s_and_not1_b32 vcc_lo, exec_lo, s71
	s_wait_alu 0xfffe
	s_cbranch_vccnz .LBB113_13
; %bb.15:                               ;   in Loop: Header=BB113_14 Depth=4
	s_mul_i32 s0, s1, s14
	s_mov_b64 s[66:67], s[64:65]
	s_wait_alu 0xfffe
	s_sub_co_i32 s0, s0, s28
	s_mov_b32 s90, s12
	s_wait_alu 0xfffe
	v_add_nc_u32_e32 v22, s0, v13
	s_delay_alu instid0(VALU_DEP_1) | instskip(NEXT) | instid1(VALU_DEP_1)
	v_mad_co_u64_u32 v[19:20], null, s42, v22, 0
	v_mad_co_u64_u32 v[20:21], null, s43, v22, v[20:21]
	v_mov_b32_e32 v21, v3
	v_cmp_gt_i32_e32 vcc_lo, 0, v22
	v_cmp_le_i32_e64 s0, s5, v22
	s_delay_alu instid0(VALU_DEP_4) | instskip(SKIP_3) | instid1(VALU_DEP_1)
	v_lshlrev_b64_e32 v[19:20], 1, v[19:20]
	s_or_b32 s0, vcc_lo, s0
	s_wait_alu 0xfffe
	s_or_b32 s89, s88, s0
	v_add_co_u32 v19, vcc_lo, v17, v19
	s_wait_alu 0xfffd
	v_add_co_ci_u32_e64 v20, null, v18, v20, vcc_lo
	s_branch .LBB113_17
.LBB113_16:                             ;   in Loop: Header=BB113_17 Depth=5
	s_wait_alu 0xfffe
	s_or_b32 exec_lo, exec_lo, s0
	v_add_nc_u32_e32 v21, s15, v21
	s_add_co_i32 s90, s90, -1
	s_add_nc_u64 s[66:67], s[66:67], s[60:61]
	s_cmp_eq_u32 s90, 0
	s_cbranch_scc1 .LBB113_13
.LBB113_17:                             ;   Parent Loop BB113_3 Depth=1
                                        ;     Parent Loop BB113_8 Depth=2
                                        ;       Parent Loop BB113_11 Depth=3
                                        ;         Parent Loop BB113_14 Depth=4
                                        ; =>        This Inner Loop Header: Depth=5
	v_cmp_gt_i32_e32 vcc_lo, 0, v21
	v_cmp_le_i32_e64 s0, s6, v21
	s_or_b32 s0, vcc_lo, s0
	s_wait_alu 0xfffe
	s_nor_b32 s91, s89, s0
	s_delay_alu instid0(SALU_CYCLE_1)
	s_and_saveexec_b32 s0, s91
	s_cbranch_execz .LBB113_16
; %bb.18:                               ;   in Loop: Header=BB113_17 Depth=5
	v_mad_co_u64_u32 v[22:23], null, s40, v21, 0
	s_delay_alu instid0(VALU_DEP_1) | instskip(NEXT) | instid1(VALU_DEP_1)
	v_mad_co_u64_u32 v[23:24], null, s41, v21, v[23:24]
	v_lshlrev_b64_e32 v[22:23], 1, v[22:23]
	s_delay_alu instid0(VALU_DEP_1) | instskip(SKIP_1) | instid1(VALU_DEP_2)
	v_add_co_u32 v22, vcc_lo, v19, v22
	s_wait_alu 0xfffd
	v_add_co_ci_u32_e64 v23, null, v20, v23, vcc_lo
	global_load_u16 v22, v[22:23], off
	global_load_u16 v23, v5, s[66:67]
	s_wait_loadcnt 0x1
	v_cvt_f32_f16_e32 v22, v22
	s_wait_loadcnt 0x0
	v_cvt_f32_f16_e32 v24, v23
	s_delay_alu instid0(VALU_DEP_2) | instskip(NEXT) | instid1(VALU_DEP_2)
	v_cvt_f64_f32_e32 v[22:23], v22
	v_cvt_f64_f32_e32 v[24:25], v24
	s_delay_alu instid0(VALU_DEP_1)
	v_fma_f64 v[1:2], v[22:23], v[24:25], v[1:2]
	s_branch .LBB113_16
.LBB113_19:                             ;   in Loop: Header=BB113_3 Depth=1
	v_ashrrev_i32_e32 v12, 31, v11
	v_mul_lo_u32 v13, s51, v11
	v_mad_co_u64_u32 v[3:4], null, s50, v11, 0
	v_mul_lo_u32 v8, v8, s48
	s_delay_alu instid0(VALU_DEP_4) | instskip(SKIP_3) | instid1(VALU_DEP_1)
	v_mul_lo_u32 v11, s50, v12
	v_ashrrev_i32_e32 v12, 31, v10
	s_and_b32 vcc_lo, exec_lo, s79
	s_mov_b32 s0, -1
	v_mul_lo_u32 v12, s52, v12
	s_delay_alu instid0(VALU_DEP_3) | instskip(SKIP_1) | instid1(VALU_DEP_2)
	v_add3_u32 v4, v4, v11, v13
	v_mul_lo_u32 v11, s53, v10
	v_mad_co_u64_u32 v[3:4], null, s52, v10, v[3:4]
	v_ashrrev_i32_e32 v10, 31, v9
	s_delay_alu instid0(VALU_DEP_1) | instskip(NEXT) | instid1(VALU_DEP_3)
	v_mul_lo_u32 v10, s54, v10
	v_add3_u32 v4, v11, v4, v12
	v_mul_lo_u32 v11, s55, v9
	s_delay_alu instid0(VALU_DEP_2) | instskip(SKIP_1) | instid1(VALU_DEP_2)
	v_mad_co_u64_u32 v[3:4], null, s54, v9, v[3:4]
	v_mul_lo_u32 v9, v7, s49
	v_add3_u32 v4, v11, v4, v10
	s_delay_alu instid0(VALU_DEP_1) | instskip(NEXT) | instid1(VALU_DEP_1)
	v_mad_co_u64_u32 v[3:4], null, v7, s48, v[3:4]
	v_add3_u32 v4, v8, v4, v9
	s_wait_alu 0xfffe
	s_cbranch_vccz .LBB113_21
; %bb.20:                               ;   in Loop: Header=BB113_3 Depth=1
	s_delay_alu instid0(VALU_DEP_1) | instskip(SKIP_1) | instid1(VALU_DEP_1)
	v_lshlrev_b64_e32 v[7:8], 1, v[3:4]
	s_mov_b32 s0, 0
	v_add_co_u32 v7, vcc_lo, s22, v7
	s_wait_alu 0xfffd
	s_delay_alu instid0(VALU_DEP_2) | instskip(SKIP_3) | instid1(VALU_DEP_1)
	v_add_co_ci_u32_e64 v8, null, s23, v8, vcc_lo
	global_load_u16 v9, v[7:8], off
	s_wait_loadcnt 0x0
	v_cvt_f32_f16_e32 v9, v9
	v_cvt_f64_f32_e32 v[9:10], v9
	s_delay_alu instid0(VALU_DEP_1) | instskip(NEXT) | instid1(VALU_DEP_1)
	v_mul_f64_e32 v[9:10], s[26:27], v[9:10]
	v_fma_f64 v[9:10], s[24:25], v[1:2], v[9:10]
	s_delay_alu instid0(VALU_DEP_1) | instskip(SKIP_3) | instid1(VALU_DEP_4)
	v_and_or_b32 v9, 0x1ff, v10, v9
	v_lshrrev_b32_e32 v11, 8, v10
	v_bfe_u32 v12, v10, 20, 11
	v_lshrrev_b32_e32 v10, 16, v10
	v_cmp_ne_u32_e32 vcc_lo, 0, v9
	s_delay_alu instid0(VALU_DEP_3) | instskip(SKIP_2) | instid1(VALU_DEP_1)
	v_sub_nc_u32_e32 v13, 0x3f1, v12
	s_wait_alu 0xfffd
	v_cndmask_b32_e64 v9, 0, 1, vcc_lo
	v_and_or_b32 v9, 0xffe, v11, v9
	s_delay_alu instid0(VALU_DEP_3) | instskip(NEXT) | instid1(VALU_DEP_2)
	v_med3_i32 v11, v13, 0, 13
	v_or_b32_e32 v13, 0x1000, v9
	s_delay_alu instid0(VALU_DEP_1) | instskip(NEXT) | instid1(VALU_DEP_1)
	v_lshrrev_b32_e32 v14, v11, v13
	v_lshlrev_b32_e32 v11, v11, v14
	s_delay_alu instid0(VALU_DEP_1) | instskip(SKIP_2) | instid1(VALU_DEP_1)
	v_cmp_ne_u32_e32 vcc_lo, v11, v13
	s_wait_alu 0xfffd
	v_cndmask_b32_e64 v11, 0, 1, vcc_lo
	v_or_b32_e32 v11, v14, v11
	v_add_nc_u32_e32 v12, 0xfffffc10, v12
	s_delay_alu instid0(VALU_DEP_1) | instskip(SKIP_2) | instid1(VALU_DEP_2)
	v_lshl_or_b32 v13, v12, 12, v9
	v_cmp_gt_i32_e32 vcc_lo, 1, v12
	s_wait_alu 0xfffd
	v_cndmask_b32_e32 v11, v13, v11, vcc_lo
	s_delay_alu instid0(VALU_DEP_1) | instskip(SKIP_1) | instid1(VALU_DEP_2)
	v_and_b32_e32 v13, 7, v11
	v_lshrrev_b32_e32 v11, 2, v11
	v_cmp_lt_i32_e32 vcc_lo, 5, v13
	s_wait_alu 0xfffd
	v_cndmask_b32_e64 v14, 0, 1, vcc_lo
	v_cmp_eq_u32_e32 vcc_lo, 3, v13
	s_wait_alu 0xfffd
	v_cndmask_b32_e64 v13, 0, 1, vcc_lo
	v_cmp_ne_u32_e32 vcc_lo, 0, v9
	s_delay_alu instid0(VALU_DEP_2) | instskip(SKIP_3) | instid1(VALU_DEP_3)
	v_or_b32_e32 v13, v13, v14
	s_wait_alu 0xfffd
	v_cndmask_b32_e32 v9, 0x7c00, v6, vcc_lo
	v_cmp_gt_i32_e32 vcc_lo, 31, v12
	v_add_nc_u32_e32 v11, v11, v13
	s_wait_alu 0xfffd
	s_delay_alu instid0(VALU_DEP_1) | instskip(SKIP_2) | instid1(VALU_DEP_2)
	v_cndmask_b32_e32 v11, 0x7c00, v11, vcc_lo
	v_cmp_eq_u32_e32 vcc_lo, 0x40f, v12
	s_wait_alu 0xfffd
	v_cndmask_b32_e32 v9, v11, v9, vcc_lo
	s_delay_alu instid0(VALU_DEP_1)
	v_and_or_b32 v9, 0x8000, v10, v9
	global_store_b16 v[7:8], v9, off
.LBB113_21:                             ;   in Loop: Header=BB113_3 Depth=1
	s_wait_alu 0xfffe
	s_and_not1_b32 vcc_lo, exec_lo, s0
	s_wait_alu 0xfffe
	s_cbranch_vccnz .LBB113_2
; %bb.22:                               ;   in Loop: Header=BB113_3 Depth=1
	v_and_or_b32 v1, 0x1ff, v2, v1
	v_lshrrev_b32_e32 v7, 8, v2
	v_bfe_u32 v8, v2, 20, 11
	s_delay_alu instid0(VALU_DEP_3) | instskip(NEXT) | instid1(VALU_DEP_2)
	v_cmp_ne_u32_e32 vcc_lo, 0, v1
	v_sub_nc_u32_e32 v9, 0x3f1, v8
	s_wait_alu 0xfffd
	v_cndmask_b32_e64 v1, 0, 1, vcc_lo
	s_delay_alu instid0(VALU_DEP_1) | instskip(NEXT) | instid1(VALU_DEP_3)
	v_and_or_b32 v1, 0xffe, v7, v1
	v_med3_i32 v7, v9, 0, 13
	s_delay_alu instid0(VALU_DEP_2) | instskip(NEXT) | instid1(VALU_DEP_1)
	v_or_b32_e32 v9, 0x1000, v1
	v_lshrrev_b32_e32 v10, v7, v9
	s_delay_alu instid0(VALU_DEP_1) | instskip(NEXT) | instid1(VALU_DEP_1)
	v_lshlrev_b32_e32 v7, v7, v10
	v_cmp_ne_u32_e32 vcc_lo, v7, v9
	s_wait_alu 0xfffd
	v_cndmask_b32_e64 v7, 0, 1, vcc_lo
	s_delay_alu instid0(VALU_DEP_1) | instskip(SKIP_1) | instid1(VALU_DEP_1)
	v_or_b32_e32 v7, v10, v7
	v_add_nc_u32_e32 v8, 0xfffffc10, v8
	v_lshl_or_b32 v9, v8, 12, v1
	v_cmp_gt_i32_e32 vcc_lo, 1, v8
	s_wait_alu 0xfffd
	s_delay_alu instid0(VALU_DEP_2) | instskip(NEXT) | instid1(VALU_DEP_1)
	v_cndmask_b32_e32 v7, v9, v7, vcc_lo
	v_and_b32_e32 v9, 7, v7
	v_lshrrev_b32_e32 v7, 2, v7
	s_delay_alu instid0(VALU_DEP_2)
	v_cmp_lt_i32_e32 vcc_lo, 5, v9
	s_wait_alu 0xfffd
	v_cndmask_b32_e64 v10, 0, 1, vcc_lo
	v_cmp_eq_u32_e32 vcc_lo, 3, v9
	s_wait_alu 0xfffd
	v_cndmask_b32_e64 v9, 0, 1, vcc_lo
	v_cmp_ne_u32_e32 vcc_lo, 0, v1
	s_delay_alu instid0(VALU_DEP_2) | instskip(SKIP_3) | instid1(VALU_DEP_3)
	v_or_b32_e32 v9, v9, v10
	s_wait_alu 0xfffd
	v_cndmask_b32_e32 v1, 0x7c00, v6, vcc_lo
	v_cmp_gt_i32_e32 vcc_lo, 31, v8
	v_add_nc_u32_e32 v7, v7, v9
	v_lshrrev_b32_e32 v9, 16, v2
	s_wait_alu 0xfffd
	s_delay_alu instid0(VALU_DEP_2) | instskip(SKIP_2) | instid1(VALU_DEP_2)
	v_cndmask_b32_e32 v7, 0x7c00, v7, vcc_lo
	v_cmp_eq_u32_e32 vcc_lo, 0x40f, v8
	s_wait_alu 0xfffd
	v_cndmask_b32_e32 v7, v7, v1, vcc_lo
	v_lshlrev_b64_e32 v[1:2], 1, v[3:4]
	s_delay_alu instid0(VALU_DEP_2) | instskip(NEXT) | instid1(VALU_DEP_2)
	v_and_or_b32 v3, 0x8000, v9, v7
	v_add_co_u32 v1, vcc_lo, s22, v1
	s_wait_alu 0xfffd
	s_delay_alu instid0(VALU_DEP_3)
	v_add_co_ci_u32_e64 v2, null, s23, v2, vcc_lo
	global_store_b16 v[1:2], v3, off
	s_branch .LBB113_2
.LBB113_23:
	s_endpgm
	.section	.rodata,"a",@progbits
	.p2align	6, 0x0
	.amdhsa_kernel naive_conv_ab_nonpacked_wrw_ndhwc_half_double_half_0
		.amdhsa_group_segment_fixed_size 0
		.amdhsa_private_segment_fixed_size 0
		.amdhsa_kernarg_size 528
		.amdhsa_user_sgpr_count 2
		.amdhsa_user_sgpr_dispatch_ptr 0
		.amdhsa_user_sgpr_queue_ptr 0
		.amdhsa_user_sgpr_kernarg_segment_ptr 1
		.amdhsa_user_sgpr_dispatch_id 0
		.amdhsa_user_sgpr_private_segment_size 0
		.amdhsa_wavefront_size32 1
		.amdhsa_uses_dynamic_stack 0
		.amdhsa_enable_private_segment 0
		.amdhsa_system_sgpr_workgroup_id_x 1
		.amdhsa_system_sgpr_workgroup_id_y 0
		.amdhsa_system_sgpr_workgroup_id_z 0
		.amdhsa_system_sgpr_workgroup_info 0
		.amdhsa_system_vgpr_workitem_id 0
		.amdhsa_next_free_vgpr 26
		.amdhsa_next_free_sgpr 92
		.amdhsa_reserve_vcc 1
		.amdhsa_float_round_mode_32 0
		.amdhsa_float_round_mode_16_64 0
		.amdhsa_float_denorm_mode_32 3
		.amdhsa_float_denorm_mode_16_64 3
		.amdhsa_fp16_overflow 0
		.amdhsa_workgroup_processor_mode 1
		.amdhsa_memory_ordered 1
		.amdhsa_forward_progress 1
		.amdhsa_inst_pref_size 23
		.amdhsa_round_robin_scheduling 0
		.amdhsa_exception_fp_ieee_invalid_op 0
		.amdhsa_exception_fp_denorm_src 0
		.amdhsa_exception_fp_ieee_div_zero 0
		.amdhsa_exception_fp_ieee_overflow 0
		.amdhsa_exception_fp_ieee_underflow 0
		.amdhsa_exception_fp_ieee_inexact 0
		.amdhsa_exception_int_div_zero 0
	.end_amdhsa_kernel
	.text
.Lfunc_end113:
	.size	naive_conv_ab_nonpacked_wrw_ndhwc_half_double_half_0, .Lfunc_end113-naive_conv_ab_nonpacked_wrw_ndhwc_half_double_half_0
                                        ; -- End function
	.set naive_conv_ab_nonpacked_wrw_ndhwc_half_double_half_0.num_vgpr, 26
	.set naive_conv_ab_nonpacked_wrw_ndhwc_half_double_half_0.num_agpr, 0
	.set naive_conv_ab_nonpacked_wrw_ndhwc_half_double_half_0.numbered_sgpr, 92
	.set naive_conv_ab_nonpacked_wrw_ndhwc_half_double_half_0.num_named_barrier, 0
	.set naive_conv_ab_nonpacked_wrw_ndhwc_half_double_half_0.private_seg_size, 0
	.set naive_conv_ab_nonpacked_wrw_ndhwc_half_double_half_0.uses_vcc, 1
	.set naive_conv_ab_nonpacked_wrw_ndhwc_half_double_half_0.uses_flat_scratch, 0
	.set naive_conv_ab_nonpacked_wrw_ndhwc_half_double_half_0.has_dyn_sized_stack, 0
	.set naive_conv_ab_nonpacked_wrw_ndhwc_half_double_half_0.has_recursion, 0
	.set naive_conv_ab_nonpacked_wrw_ndhwc_half_double_half_0.has_indirect_call, 0
	.section	.AMDGPU.csdata,"",@progbits
; Kernel info:
; codeLenInByte = 2852
; TotalNumSgprs: 94
; NumVgprs: 26
; ScratchSize: 0
; MemoryBound: 0
; FloatMode: 240
; IeeeMode: 1
; LDSByteSize: 0 bytes/workgroup (compile time only)
; SGPRBlocks: 0
; VGPRBlocks: 3
; NumSGPRsForWavesPerEU: 94
; NumVGPRsForWavesPerEU: 26
; Occupancy: 16
; WaveLimiterHint : 0
; COMPUTE_PGM_RSRC2:SCRATCH_EN: 0
; COMPUTE_PGM_RSRC2:USER_SGPR: 2
; COMPUTE_PGM_RSRC2:TRAP_HANDLER: 0
; COMPUTE_PGM_RSRC2:TGID_X_EN: 1
; COMPUTE_PGM_RSRC2:TGID_Y_EN: 0
; COMPUTE_PGM_RSRC2:TGID_Z_EN: 0
; COMPUTE_PGM_RSRC2:TIDIG_COMP_CNT: 0
	.text
	.protected	naive_conv_ab_packed_wrw_ndhwc_ushort_double_ushort_0 ; -- Begin function naive_conv_ab_packed_wrw_ndhwc_ushort_double_ushort_0
	.globl	naive_conv_ab_packed_wrw_ndhwc_ushort_double_ushort_0
	.p2align	8
	.type	naive_conv_ab_packed_wrw_ndhwc_ushort_double_ushort_0,@function
naive_conv_ab_packed_wrw_ndhwc_ushort_double_ushort_0: ; @naive_conv_ab_packed_wrw_ndhwc_ushort_double_ushort_0
; %bb.0:
	s_clause 0x2
	s_load_b512 s[4:19], s[0:1], 0xb8
	s_load_b64 s[2:3], s[0:1], 0x108
	s_load_b128 s[28:31], s[0:1], 0xf8
	s_mov_b32 s21, exec_lo
	s_wait_kmcnt 0x0
	s_abs_i32 s37, s8
	s_mul_i32 s45, s2, s9
	s_cvt_f32_u32 s20, s37
	s_mul_i32 s44, s45, s31
	s_delay_alu instid0(SALU_CYCLE_1) | instskip(NEXT) | instid1(SALU_CYCLE_1)
	s_mul_i32 s33, s44, s30
	v_rcp_iflag_f32_e32 v1, s20
	s_delay_alu instid0(TRANS32_DEP_1)
	v_readfirstlane_b32 s20, v1
	v_cmpx_gt_i32_e64 s33, v0
	s_cbranch_execz .LBB114_23
; %bb.1:
	s_mul_f32 s20, s20, 0x4f7ffffe
	s_sub_co_i32 s35, 0, s37
	s_abs_i32 s34, ttmp9
	s_ashr_i32 s41, s8, 31
	s_wait_alu 0xfffe
	s_cvt_u32_f32 s36, s20
	s_clause 0x1
	s_load_b256 s[20:27], s[0:1], 0x0
	s_load_b64 s[42:43], s[0:1], 0x20
	s_mov_b32 s40, s8
	s_mul_i32 s38, s35, s36
	s_mov_b32 s35, 0
	s_mul_hi_u32 s38, s36, s38
	s_mov_b32 s39, s35
	s_add_co_i32 s38, s36, s38
	s_mov_b32 s36, s9
	s_mul_u64 s[38:39], s[34:35], s[38:39]
	s_ashr_i32 s38, ttmp9, 31
	s_mul_i32 s46, s39, s37
	s_xor_b32 s48, s38, s41
	s_sub_co_i32 s34, s34, s46
	s_add_co_i32 s38, s39, 1
	s_sub_co_i32 s47, s34, s37
	s_cmp_ge_u32 s34, s37
	s_mov_b32 s46, s30
	s_cselect_b32 s39, s38, s39
	s_cselect_b32 s34, s47, s34
	s_add_co_i32 s47, s39, 1
	s_cmp_ge_u32 s34, s37
	s_mov_b32 s38, s31
	s_cselect_b32 s34, s47, s39
	s_ashr_i32 s47, s30, 31
	s_xor_b32 s30, s34, s48
	s_wait_kmcnt 0x0
	v_cmp_neq_f64_e64 s34, s[26:27], 0
	s_sub_co_i32 s48, s30, s48
	s_ashr_i32 s37, s9, 31
	s_mul_i32 s30, s48, s8
	s_ashr_i32 s39, s31, 31
	s_sub_co_i32 s50, ttmp9, s30
	v_cmp_neq_f64_e64 s30, s[24:25], 1.0
	s_mul_u64 s[46:47], s[46:47], s[36:37]
	s_ashr_i32 s49, s48, 31
	s_mul_u64 s[46:47], s[46:47], s[38:39]
	s_mul_u64 s[52:53], s[48:49], s[36:37]
	;; [unrolled: 1-line block ×3, first 2 shown]
	s_ashr_i32 s41, s2, 31
	s_mov_b32 s40, s2
	s_ashr_i32 s51, s50, 31
	s_mul_u64 s[46:47], s[46:47], s[40:41]
	s_add_nc_u64 s[54:55], s[48:49], s[50:51]
	s_lshl_b64 s[52:53], s[52:53], 1
	s_mul_u64 s[46:47], s[46:47], s[54:55]
	s_add_nc_u64 s[20:21], s[20:21], s[52:53]
	s_lshl_b64 s[46:47], s[46:47], 1
	s_mul_i32 s60, s3, s9
	s_add_nc_u64 s[22:23], s[22:23], s[46:47]
	s_lshl_b64 s[46:47], s[48:49], 1
	s_lshl_b64 s[48:49], s[50:51], 1
	s_cmp_lt_i32 s7, 1
	s_load_b32 s50, s[0:1], 0x11c
	s_cselect_b32 s39, -1, 0
	s_cmp_gt_i32 s10, 0
	s_add_nc_u64 s[0:1], s[42:43], s[46:47]
	s_cselect_b32 s51, -1, 0
	s_cmp_gt_i32 s11, 0
	s_add_nc_u64 s[42:43], s[0:1], s[48:49]
	s_cselect_b32 s61, -1, 0
	s_cmp_gt_i32 s12, 0
	s_mul_i32 s0, s3, s8
	s_cselect_b32 s62, -1, 0
	s_abs_i32 s63, s9
	s_abs_i32 s68, s2
	s_cvt_f32_u32 s1, s63
	s_abs_i32 s70, s45
	s_abs_i32 s72, s31
	;; [unrolled: 1-line block ×3, first 2 shown]
	v_rcp_iflag_f32_e32 v1, s1
	s_cvt_f32_u32 s1, s68
	s_or_b32 s71, s30, s34
	s_cvt_f32_u32 s30, s70
	s_cvt_f32_u32 s31, s72
	s_wait_alu 0xfffe
	v_rcp_iflag_f32_e32 v2, s1
	s_wait_kmcnt 0x0
	s_and_b32 s73, s50, 0xffff
	s_ashr_i32 s77, s45, 31
	s_sub_co_i32 s53, 0, s63
	s_ashr_i32 s47, s11, 31
	v_readfirstlane_b32 s52, v1
	v_rcp_iflag_f32_e32 v1, s30
	s_mov_b32 s46, s11
	s_ashr_i32 s49, s12, 31
	s_mov_b32 s48, s12
	v_readfirstlane_b32 s34, v2
	v_rcp_iflag_f32_e32 v2, s31
	s_mul_f32 s52, s52, 0x4f7ffffe
	s_sub_co_i32 s31, 0, s68
	s_ashr_i32 s1, s0, 31
	s_mul_f32 s30, s34, 0x4f7ffffe
	s_cvt_f32_u32 s34, s74
	v_readfirstlane_b32 s50, v1
	s_cvt_u32_f32 s52, s52
	s_wait_alu 0xfffe
	s_cvt_u32_f32 s30, s30
	v_rcp_iflag_f32_e32 v1, s34
	s_ashr_i32 s3, s10, 31
	s_mul_f32 s34, s50, 0x4f7ffffe
	v_readfirstlane_b32 s50, v2
	s_wait_alu 0xfffe
	s_mul_i32 s31, s31, s30
	s_mul_i32 s53, s53, s52
	s_wait_alu 0xfffe
	s_mul_hi_u32 s31, s30, s31
	s_mul_hi_u32 s53, s52, s53
	s_wait_alu 0xfffe
	s_add_co_i32 s76, s30, s31
	s_cvt_u32_f32 s30, s34
	v_readfirstlane_b32 s45, v1
	s_mul_f32 s31, s50, 0x4f7ffffe
	s_sub_co_i32 s34, 0, s70
	s_add_co_i32 s75, s52, s53
	s_wait_alu 0xfffe
	s_mul_i32 s34, s34, s30
	s_mul_f32 s45, s45, 0x4f7ffffe
	s_cvt_u32_f32 s50, s31
	s_wait_alu 0xfffe
	s_mul_hi_u32 s31, s30, s34
	s_sub_co_i32 s34, 0, s72
	s_cvt_u32_f32 s52, s45
	s_wait_alu 0xfffe
	s_mul_i32 s34, s34, s50
	s_sub_co_i32 s45, 0, s74
	s_add_co_i32 s78, s30, s31
	s_wait_alu 0xfffe
	s_mul_hi_u32 s34, s50, s34
	s_mul_u64 s[30:31], s[48:49], s[46:47]
	s_mul_i32 s45, s45, s52
	s_mov_b32 s2, s10
	s_wait_alu 0xfffe
	s_add_co_i32 s79, s50, s34
	s_ashr_i32 s80, s44, 31
	s_mul_hi_u32 s34, s52, s45
	s_mul_u64 s[44:45], s[30:31], s[0:1]
	s_mul_u64 s[46:47], s[48:49], s[0:1]
	;; [unrolled: 1-line block ×3, first 2 shown]
	s_ashr_i32 s9, s4, 31
	s_mov_b32 s8, s4
	s_ashr_i32 s64, s5, 31
	s_mov_b32 s65, s5
	s_ashr_i32 s66, s6, 31
	s_mov_b32 s67, s6
	s_ashr_i32 s69, s60, 31
	s_wait_alu 0xfffe
	s_add_co_i32 s81, s52, s34
	s_lshl_b64 s[30:31], s[2:3], 1
	s_lshl_b64 s[44:45], s[44:45], 1
	s_lshl_b64 s[46:47], s[46:47], 1
	s_lshl_b64 s[48:49], s[0:1], 1
	s_sub_co_i32 s50, 0, s29
	s_mov_b32 s29, 0
	s_branch .LBB114_3
.LBB114_2:                              ;   in Loop: Header=BB114_3 Depth=1
	v_add_nc_u32_e32 v0, s73, v0
	s_delay_alu instid0(VALU_DEP_1) | instskip(SKIP_1) | instid1(SALU_CYCLE_1)
	v_cmp_le_i32_e32 vcc_lo, s33, v0
	s_or_b32 s29, vcc_lo, s29
	s_and_not1_b32 exec_lo, exec_lo, s29
	s_cbranch_execz .LBB114_23
.LBB114_3:                              ; =>This Loop Header: Depth=1
                                        ;     Child Loop BB114_8 Depth 2
                                        ;       Child Loop BB114_11 Depth 3
                                        ;         Child Loop BB114_14 Depth 4
                                        ;           Child Loop BB114_17 Depth 5
	v_sub_nc_u32_e32 v1, 0, v0
	s_mov_b32 s34, -1
	s_delay_alu instid0(VALU_DEP_1) | instskip(NEXT) | instid1(VALU_DEP_1)
	v_max_i32_e32 v1, v0, v1
	v_mul_hi_u32 v4, v1, s78
	v_mul_hi_u32 v2, v1, s75
	s_delay_alu instid0(VALU_DEP_2) | instskip(NEXT) | instid1(VALU_DEP_2)
	v_mul_lo_u32 v5, v4, s70
	v_mul_lo_u32 v3, v2, s63
	v_add_nc_u32_e32 v8, 1, v4
	s_delay_alu instid0(VALU_DEP_3) | instskip(NEXT) | instid1(VALU_DEP_3)
	v_sub_nc_u32_e32 v5, v1, v5
	v_sub_nc_u32_e32 v6, v1, v3
	v_ashrrev_i32_e32 v3, 31, v0
	s_delay_alu instid0(VALU_DEP_3) | instskip(SKIP_1) | instid1(VALU_DEP_4)
	v_cmp_le_u32_e64 s0, s70, v5
	v_subrev_nc_u32_e32 v9, s70, v5
	v_cmp_le_u32_e32 vcc_lo, s63, v6
	s_delay_alu instid0(VALU_DEP_4) | instskip(SKIP_4) | instid1(VALU_DEP_3)
	v_xor_b32_e32 v10, s77, v3
	s_wait_alu 0xf1ff
	v_cndmask_b32_e64 v4, v4, v8, s0
	v_cndmask_b32_e64 v5, v5, v9, s0
	v_xor_b32_e32 v8, s37, v3
	v_add_nc_u32_e32 v9, 1, v4
	v_add_nc_u32_e32 v7, 1, v2
	s_wait_alu 0xfffd
	s_delay_alu instid0(VALU_DEP_1) | instskip(SKIP_1) | instid1(VALU_DEP_1)
	v_cndmask_b32_e32 v2, v2, v7, vcc_lo
	v_subrev_nc_u32_e32 v7, s63, v6
	v_dual_cndmask_b32 v6, v6, v7 :: v_dual_add_nc_u32 v7, 1, v2
	s_delay_alu instid0(VALU_DEP_1) | instskip(SKIP_1) | instid1(VALU_DEP_2)
	v_cmp_le_u32_e32 vcc_lo, s63, v6
	s_wait_alu 0xfffd
	v_cndmask_b32_e32 v2, v2, v7, vcc_lo
	v_cmp_le_u32_e32 vcc_lo, s70, v5
	s_delay_alu instid0(VALU_DEP_2) | instskip(SKIP_2) | instid1(VALU_DEP_2)
	v_xor_b32_e32 v2, v2, v8
	s_wait_alu 0xfffd
	v_cndmask_b32_e32 v4, v4, v9, vcc_lo
	v_sub_nc_u32_e32 v5, v2, v8
	s_delay_alu instid0(VALU_DEP_2) | instskip(NEXT) | instid1(VALU_DEP_2)
	v_xor_b32_e32 v4, v4, v10
	v_sub_nc_u32_e32 v2, 0, v5
	s_delay_alu instid0(VALU_DEP_2) | instskip(SKIP_1) | instid1(VALU_DEP_3)
	v_sub_nc_u32_e32 v4, v4, v10
	v_mul_lo_u32 v11, v5, s36
	v_max_i32_e32 v2, v5, v2
	s_delay_alu instid0(VALU_DEP_3) | instskip(NEXT) | instid1(VALU_DEP_2)
	v_sub_nc_u32_e32 v6, 0, v4
	v_mul_hi_u32 v8, v2, s76
	s_delay_alu instid0(VALU_DEP_2) | instskip(SKIP_1) | instid1(VALU_DEP_2)
	v_max_i32_e32 v7, v4, v6
	v_mul_hi_u32 v6, v1, s81
	v_mul_hi_u32 v9, v7, s79
	s_delay_alu instid0(VALU_DEP_4) | instskip(NEXT) | instid1(VALU_DEP_3)
	v_mul_lo_u32 v8, v8, s68
	v_mul_lo_u32 v10, v6, s74
	s_delay_alu instid0(VALU_DEP_3) | instskip(NEXT) | instid1(VALU_DEP_3)
	v_mul_lo_u32 v9, v9, s72
	v_sub_nc_u32_e32 v2, v2, v8
	s_delay_alu instid0(VALU_DEP_3) | instskip(NEXT) | instid1(VALU_DEP_2)
	v_sub_nc_u32_e32 v1, v1, v10
	v_cmp_le_u32_e32 vcc_lo, s68, v2
	s_delay_alu instid0(VALU_DEP_4) | instskip(SKIP_1) | instid1(VALU_DEP_4)
	v_sub_nc_u32_e32 v8, v7, v9
	v_subrev_nc_u32_e32 v7, s68, v2
	v_subrev_nc_u32_e32 v9, s74, v1
	v_cmp_le_u32_e64 s3, s74, v1
	s_delay_alu instid0(VALU_DEP_4)
	v_subrev_nc_u32_e32 v10, s72, v8
	s_wait_alu 0xfffd
	v_cndmask_b32_e32 v7, v2, v7, vcc_lo
	v_cmp_le_u32_e32 vcc_lo, s72, v8
	s_wait_alu 0xf1ff
	v_cndmask_b32_e64 v2, v1, v9, s3
	v_sub_nc_u32_e32 v1, v0, v11
	v_cmp_le_u32_e64 s2, s68, v7
	s_wait_alu 0xfffd
	v_cndmask_b32_e32 v8, v8, v10, vcc_lo
	v_cmp_le_u32_e64 s0, s74, v2
	s_and_not1_b32 vcc_lo, exec_lo, s39
	v_cmp_le_u32_e64 s1, s72, v8
	s_wait_alu 0xfffe
	s_cbranch_vccnz .LBB114_5
; %bb.4:                                ;   in Loop: Header=BB114_3 Depth=1
	v_ashrrev_i32_e32 v2, 31, v1
	s_mov_b32 s34, 0
.LBB114_5:                              ;   in Loop: Header=BB114_3 Depth=1
	v_add_nc_u32_e32 v9, 1, v6
	v_subrev_nc_u32_e32 v10, s72, v8
	v_ashrrev_i32_e32 v5, 31, v5
	v_ashrrev_i32_e32 v4, 31, v4
	s_wait_alu 0xfffe
	s_and_not1_b32 vcc_lo, exec_lo, s34
	v_cndmask_b32_e64 v6, v6, v9, s3
	v_subrev_nc_u32_e32 v9, s68, v7
	v_cndmask_b32_e64 v8, v8, v10, s1
	s_delay_alu instid0(VALU_DEP_3) | instskip(NEXT) | instid1(VALU_DEP_3)
	v_add_nc_u32_e32 v11, 1, v6
	v_cndmask_b32_e64 v7, v7, v9, s2
	v_xor_b32_e32 v9, s80, v3
	s_delay_alu instid0(VALU_DEP_3) | instskip(NEXT) | instid1(VALU_DEP_3)
	v_cndmask_b32_e64 v3, v6, v11, s0
	v_xor_b32_e32 v6, v7, v5
	v_xor_b32_e32 v7, v8, v4
	s_delay_alu instid0(VALU_DEP_3) | instskip(NEXT) | instid1(VALU_DEP_3)
	v_xor_b32_e32 v8, v3, v9
	v_sub_nc_u32_e32 v5, v6, v5
	s_delay_alu instid0(VALU_DEP_3)
	v_sub_nc_u32_e32 v6, v7, v4
	v_mov_b32_e32 v3, 0
	v_mov_b32_e32 v4, 0
	v_sub_nc_u32_e32 v12, v8, v9
	s_wait_alu 0xfffe
	s_cbranch_vccnz .LBB114_19
; %bb.6:                                ;   in Loop: Header=BB114_3 Depth=1
	v_ashrrev_i32_e32 v2, 31, v1
	s_delay_alu instid0(VALU_DEP_2) | instskip(SKIP_2) | instid1(VALU_DEP_4)
	v_mul_lo_u32 v13, v12, s16
	v_mul_lo_u32 v14, v6, s17
	v_mad_co_u64_u32 v[7:8], null, v5, s18, s[50:51]
	v_lshlrev_b64_e32 v[9:10], 1, v[1:2]
	v_mov_b32_e32 v3, 0
	v_mov_b32_e32 v4, 0
	s_mov_b32 s34, 0
	s_mov_b64 s[2:3], s[42:43]
	s_delay_alu instid0(VALU_DEP_3)
	v_add_co_u32 v15, vcc_lo, s20, v9
	s_wait_alu 0xfffd
	v_add_co_ci_u32_e64 v16, null, s21, v10, vcc_lo
	s_branch .LBB114_8
.LBB114_7:                              ;   in Loop: Header=BB114_8 Depth=2
	s_add_co_i32 s34, s34, 1
	s_add_nc_u64 s[2:3], s[2:3], s[30:31]
	s_wait_alu 0xfffe
	s_cmp_eq_u32 s34, s7
	s_cbranch_scc1 .LBB114_19
.LBB114_8:                              ;   Parent Loop BB114_3 Depth=1
                                        ; =>  This Loop Header: Depth=2
                                        ;       Child Loop BB114_11 Depth 3
                                        ;         Child Loop BB114_14 Depth 4
                                        ;           Child Loop BB114_17 Depth 5
	s_and_not1_b32 vcc_lo, exec_lo, s51
	s_wait_alu 0xfffe
	s_cbranch_vccnz .LBB114_7
; %bb.9:                                ;   in Loop: Header=BB114_8 Depth=2
	s_mul_u64 s[52:53], s[34:35], s[8:9]
	s_mov_b32 s1, 0
	s_mov_b64 s[54:55], s[2:3]
	s_branch .LBB114_11
.LBB114_10:                             ;   in Loop: Header=BB114_11 Depth=3
	s_add_co_i32 s1, s1, 1
	s_add_nc_u64 s[54:55], s[54:55], s[44:45]
	s_wait_alu 0xfffe
	s_cmp_eq_u32 s1, s10
	s_cbranch_scc1 .LBB114_7
.LBB114_11:                             ;   Parent Loop BB114_3 Depth=1
                                        ;     Parent Loop BB114_8 Depth=2
                                        ; =>    This Loop Header: Depth=3
                                        ;         Child Loop BB114_14 Depth 4
                                        ;           Child Loop BB114_17 Depth 5
	s_and_not1_b32 vcc_lo, exec_lo, s61
	s_wait_alu 0xfffe
	s_cbranch_vccnz .LBB114_10
; %bb.12:                               ;   in Loop: Header=BB114_11 Depth=3
	s_mul_i32 s0, s1, s13
	s_mov_b32 s82, 0
	s_wait_alu 0xfffe
	s_sub_co_i32 s0, s0, s19
	s_mov_b64 s[56:57], s[54:55]
	s_wait_alu 0xfffe
	v_add_nc_u32_e32 v10, s0, v13
	s_delay_alu instid0(VALU_DEP_1) | instskip(SKIP_3) | instid1(VALU_DEP_3)
	v_add_co_u32 v8, s0, s52, v10
	s_wait_alu 0xf1ff
	v_add_co_ci_u32_e64 v9, null, s53, 0, s0
	v_cmp_gt_i32_e32 vcc_lo, 0, v10
	v_mul_lo_u32 v17, v8, s64
	v_cmp_le_i32_e64 s0, s4, v10
	s_delay_alu instid0(VALU_DEP_4)
	v_mul_lo_u32 v11, v9, s65
	v_mad_co_u64_u32 v[8:9], null, v8, s65, 0
	s_or_b32 s83, vcc_lo, s0
	v_add3_u32 v9, v9, v17, v11
	s_branch .LBB114_14
.LBB114_13:                             ;   in Loop: Header=BB114_14 Depth=4
	s_add_co_i32 s82, s82, 1
	s_add_nc_u64 s[56:57], s[56:57], s[46:47]
	s_cmp_eq_u32 s82, s11
	s_cbranch_scc1 .LBB114_10
.LBB114_14:                             ;   Parent Loop BB114_3 Depth=1
                                        ;     Parent Loop BB114_8 Depth=2
                                        ;       Parent Loop BB114_11 Depth=3
                                        ; =>      This Loop Header: Depth=4
                                        ;           Child Loop BB114_17 Depth 5
	s_and_not1_b32 vcc_lo, exec_lo, s62
	s_wait_alu 0xfffe
	s_cbranch_vccnz .LBB114_13
; %bb.15:                               ;   in Loop: Header=BB114_14 Depth=4
	s_mul_i32 s0, s82, s14
	s_mov_b64 s[58:59], s[56:57]
	s_wait_alu 0xfffe
	s_sub_co_i32 s0, s0, s28
	s_mov_b32 s85, s12
	s_wait_alu 0xfffe
	v_add_nc_u32_e32 v17, s0, v14
	s_delay_alu instid0(VALU_DEP_1) | instskip(SKIP_3) | instid1(VALU_DEP_3)
	v_add_co_u32 v10, vcc_lo, v8, v17
	s_wait_alu 0xfffd
	v_add_co_ci_u32_e64 v11, null, 0, v9, vcc_lo
	v_cmp_gt_i32_e32 vcc_lo, 0, v17
	v_mul_lo_u32 v19, v10, s66
	v_cmp_le_i32_e64 s0, s5, v17
	s_delay_alu instid0(VALU_DEP_4) | instskip(SKIP_2) | instid1(VALU_DEP_4)
	v_mul_lo_u32 v18, v11, s67
	v_mad_co_u64_u32 v[10:11], null, v10, s67, 0
	v_mov_b32_e32 v17, v7
	s_or_b32 s0, vcc_lo, s0
	s_wait_alu 0xfffe
	s_or_b32 s84, s83, s0
	s_delay_alu instid0(VALU_DEP_2)
	v_add3_u32 v11, v11, v19, v18
	s_branch .LBB114_17
.LBB114_16:                             ;   in Loop: Header=BB114_17 Depth=5
	s_wait_alu 0xfffe
	s_or_b32 exec_lo, exec_lo, s0
	v_add_nc_u32_e32 v17, s15, v17
	s_add_co_i32 s85, s85, -1
	s_add_nc_u64 s[58:59], s[58:59], s[48:49]
	s_cmp_eq_u32 s85, 0
	s_cbranch_scc1 .LBB114_13
.LBB114_17:                             ;   Parent Loop BB114_3 Depth=1
                                        ;     Parent Loop BB114_8 Depth=2
                                        ;       Parent Loop BB114_11 Depth=3
                                        ;         Parent Loop BB114_14 Depth=4
                                        ; =>        This Inner Loop Header: Depth=5
	v_cmp_gt_i32_e32 vcc_lo, 0, v17
	v_cmp_le_i32_e64 s0, s6, v17
	s_or_b32 s0, vcc_lo, s0
	s_wait_alu 0xfffe
	s_nor_b32 s86, s84, s0
	s_wait_alu 0xfffe
	s_and_saveexec_b32 s0, s86
	s_cbranch_execz .LBB114_16
; %bb.18:                               ;   in Loop: Header=BB114_17 Depth=5
	v_add_co_u32 v18, vcc_lo, v10, v17
	s_wait_alu 0xfffd
	v_add_co_ci_u32_e64 v19, null, 0, v11, vcc_lo
	s_load_u16 s86, s[58:59], 0x0
	v_mul_lo_u32 v21, v18, s69
	v_mul_lo_u32 v20, v19, s60
	v_mad_co_u64_u32 v[18:19], null, v18, s60, 0
	s_delay_alu instid0(VALU_DEP_1) | instskip(NEXT) | instid1(VALU_DEP_1)
	v_add3_u32 v19, v19, v21, v20
	v_lshlrev_b64_e32 v[18:19], 1, v[18:19]
	s_wait_kmcnt 0x0
	s_lshl_b32 s86, s86, 16
	s_wait_alu 0xfffe
	v_cvt_f64_f32_e32 v[20:21], s86
	s_delay_alu instid0(VALU_DEP_2)
	v_add_co_u32 v18, vcc_lo, v15, v18
	s_wait_alu 0xfffd
	v_add_co_ci_u32_e64 v19, null, v16, v19, vcc_lo
	global_load_u16 v18, v[18:19], off
	s_wait_loadcnt 0x0
	v_lshlrev_b32_e32 v18, 16, v18
	s_delay_alu instid0(VALU_DEP_1) | instskip(NEXT) | instid1(VALU_DEP_1)
	v_cvt_f64_f32_e32 v[18:19], v18
	v_fma_f64 v[3:4], v[18:19], v[20:21], v[3:4]
	s_branch .LBB114_16
.LBB114_19:                             ;   in Loop: Header=BB114_3 Depth=1
	v_ashrrev_i32_e32 v7, 31, v6
	s_and_b32 vcc_lo, exec_lo, s71
	s_mov_b32 s0, -1
	s_delay_alu instid0(VALU_DEP_1) | instskip(SKIP_1) | instid1(VALU_DEP_1)
	v_mad_co_i64_i32 v[7:8], null, v12, s38, v[6:7]
	v_ashrrev_i32_e32 v6, 31, v5
	v_mad_co_u64_u32 v[5:6], null, v7, s40, v[5:6]
	v_mul_lo_u32 v7, v7, s41
	s_delay_alu instid0(VALU_DEP_4) | instskip(NEXT) | instid1(VALU_DEP_3)
	v_mul_lo_u32 v8, v8, s40
	v_mad_co_u64_u32 v[1:2], null, v5, s36, v[1:2]
	s_delay_alu instid0(VALU_DEP_2) | instskip(SKIP_1) | instid1(VALU_DEP_2)
	v_add3_u32 v6, v8, v6, v7
	v_mul_lo_u32 v7, v5, s37
	v_mul_lo_u32 v5, v6, s36
	s_delay_alu instid0(VALU_DEP_1)
	v_add3_u32 v2, v5, v2, v7
	s_wait_alu 0xfffe
	s_cbranch_vccz .LBB114_21
; %bb.20:                               ;   in Loop: Header=BB114_3 Depth=1
	s_delay_alu instid0(VALU_DEP_1) | instskip(NEXT) | instid1(VALU_DEP_1)
	v_lshlrev_b64_e32 v[5:6], 1, v[1:2]
	v_add_co_u32 v5, vcc_lo, s22, v5
	s_wait_alu 0xfffd
	s_delay_alu instid0(VALU_DEP_2) | instskip(SKIP_3) | instid1(VALU_DEP_1)
	v_add_co_ci_u32_e64 v6, null, s23, v6, vcc_lo
	global_load_u16 v7, v[5:6], off
	s_wait_loadcnt 0x0
	v_lshlrev_b32_e32 v7, 16, v7
	v_cvt_f64_f32_e32 v[7:8], v7
	s_delay_alu instid0(VALU_DEP_1) | instskip(NEXT) | instid1(VALU_DEP_1)
	v_mul_f64_e32 v[7:8], s[26:27], v[7:8]
	v_fma_f64 v[7:8], s[24:25], v[3:4], v[7:8]
	s_delay_alu instid0(VALU_DEP_1) | instskip(NEXT) | instid1(VALU_DEP_1)
	v_cvt_f32_f64_e32 v7, v[7:8]
	v_and_b32_e32 v8, 0x7f800000, v7
	v_and_b32_e32 v9, 0xffff, v7
	v_lshrrev_b32_e32 v7, 16, v7
	s_delay_alu instid0(VALU_DEP_3) | instskip(NEXT) | instid1(VALU_DEP_3)
	v_cmp_eq_u32_e32 vcc_lo, 0x7f800000, v8
	v_cmp_ne_u32_e64 s0, 0, v9
	s_and_b32 s0, vcc_lo, s0
	s_wait_alu 0xfffe
	v_cndmask_b32_e64 v8, 0, 1, s0
	s_mov_b32 s0, 0
	s_delay_alu instid0(VALU_DEP_1)
	v_or_b32_e32 v7, v7, v8
	global_store_b16 v[5:6], v7, off
.LBB114_21:                             ;   in Loop: Header=BB114_3 Depth=1
	s_wait_alu 0xfffe
	s_and_not1_b32 vcc_lo, exec_lo, s0
	s_wait_alu 0xfffe
	s_cbranch_vccnz .LBB114_2
; %bb.22:                               ;   in Loop: Header=BB114_3 Depth=1
	v_cvt_f32_f64_e32 v3, v[3:4]
	v_lshlrev_b64_e32 v[1:2], 1, v[1:2]
	s_delay_alu instid0(VALU_DEP_2) | instskip(SKIP_2) | instid1(VALU_DEP_3)
	v_and_b32_e32 v4, 0x7f800000, v3
	v_and_b32_e32 v5, 0xffff, v3
	v_lshrrev_b32_e32 v3, 16, v3
	v_cmp_eq_u32_e32 vcc_lo, 0x7f800000, v4
	s_delay_alu instid0(VALU_DEP_3)
	v_cmp_ne_u32_e64 s0, 0, v5
	s_and_b32 s0, vcc_lo, s0
	v_add_co_u32 v1, vcc_lo, s22, v1
	s_wait_alu 0xfffe
	v_cndmask_b32_e64 v4, 0, 1, s0
	s_wait_alu 0xfffd
	v_add_co_ci_u32_e64 v2, null, s23, v2, vcc_lo
	s_delay_alu instid0(VALU_DEP_2)
	v_or_b32_e32 v3, v3, v4
	global_store_b16 v[1:2], v3, off
	s_branch .LBB114_2
.LBB114_23:
	s_endpgm
	.section	.rodata,"a",@progbits
	.p2align	6, 0x0
	.amdhsa_kernel naive_conv_ab_packed_wrw_ndhwc_ushort_double_ushort_0
		.amdhsa_group_segment_fixed_size 0
		.amdhsa_private_segment_fixed_size 0
		.amdhsa_kernarg_size 528
		.amdhsa_user_sgpr_count 2
		.amdhsa_user_sgpr_dispatch_ptr 0
		.amdhsa_user_sgpr_queue_ptr 0
		.amdhsa_user_sgpr_kernarg_segment_ptr 1
		.amdhsa_user_sgpr_dispatch_id 0
		.amdhsa_user_sgpr_private_segment_size 0
		.amdhsa_wavefront_size32 1
		.amdhsa_uses_dynamic_stack 0
		.amdhsa_enable_private_segment 0
		.amdhsa_system_sgpr_workgroup_id_x 1
		.amdhsa_system_sgpr_workgroup_id_y 0
		.amdhsa_system_sgpr_workgroup_id_z 0
		.amdhsa_system_sgpr_workgroup_info 0
		.amdhsa_system_vgpr_workitem_id 0
		.amdhsa_next_free_vgpr 22
		.amdhsa_next_free_sgpr 87
		.amdhsa_reserve_vcc 1
		.amdhsa_float_round_mode_32 0
		.amdhsa_float_round_mode_16_64 0
		.amdhsa_float_denorm_mode_32 3
		.amdhsa_float_denorm_mode_16_64 3
		.amdhsa_fp16_overflow 0
		.amdhsa_workgroup_processor_mode 1
		.amdhsa_memory_ordered 1
		.amdhsa_forward_progress 1
		.amdhsa_inst_pref_size 19
		.amdhsa_round_robin_scheduling 0
		.amdhsa_exception_fp_ieee_invalid_op 0
		.amdhsa_exception_fp_denorm_src 0
		.amdhsa_exception_fp_ieee_div_zero 0
		.amdhsa_exception_fp_ieee_overflow 0
		.amdhsa_exception_fp_ieee_underflow 0
		.amdhsa_exception_fp_ieee_inexact 0
		.amdhsa_exception_int_div_zero 0
	.end_amdhsa_kernel
	.text
.Lfunc_end114:
	.size	naive_conv_ab_packed_wrw_ndhwc_ushort_double_ushort_0, .Lfunc_end114-naive_conv_ab_packed_wrw_ndhwc_ushort_double_ushort_0
                                        ; -- End function
	.set naive_conv_ab_packed_wrw_ndhwc_ushort_double_ushort_0.num_vgpr, 22
	.set naive_conv_ab_packed_wrw_ndhwc_ushort_double_ushort_0.num_agpr, 0
	.set naive_conv_ab_packed_wrw_ndhwc_ushort_double_ushort_0.numbered_sgpr, 87
	.set naive_conv_ab_packed_wrw_ndhwc_ushort_double_ushort_0.num_named_barrier, 0
	.set naive_conv_ab_packed_wrw_ndhwc_ushort_double_ushort_0.private_seg_size, 0
	.set naive_conv_ab_packed_wrw_ndhwc_ushort_double_ushort_0.uses_vcc, 1
	.set naive_conv_ab_packed_wrw_ndhwc_ushort_double_ushort_0.uses_flat_scratch, 0
	.set naive_conv_ab_packed_wrw_ndhwc_ushort_double_ushort_0.has_dyn_sized_stack, 0
	.set naive_conv_ab_packed_wrw_ndhwc_ushort_double_ushort_0.has_recursion, 0
	.set naive_conv_ab_packed_wrw_ndhwc_ushort_double_ushort_0.has_indirect_call, 0
	.section	.AMDGPU.csdata,"",@progbits
; Kernel info:
; codeLenInByte = 2392
; TotalNumSgprs: 89
; NumVgprs: 22
; ScratchSize: 0
; MemoryBound: 0
; FloatMode: 240
; IeeeMode: 1
; LDSByteSize: 0 bytes/workgroup (compile time only)
; SGPRBlocks: 0
; VGPRBlocks: 2
; NumSGPRsForWavesPerEU: 89
; NumVGPRsForWavesPerEU: 22
; Occupancy: 16
; WaveLimiterHint : 0
; COMPUTE_PGM_RSRC2:SCRATCH_EN: 0
; COMPUTE_PGM_RSRC2:USER_SGPR: 2
; COMPUTE_PGM_RSRC2:TRAP_HANDLER: 0
; COMPUTE_PGM_RSRC2:TGID_X_EN: 1
; COMPUTE_PGM_RSRC2:TGID_Y_EN: 0
; COMPUTE_PGM_RSRC2:TGID_Z_EN: 0
; COMPUTE_PGM_RSRC2:TIDIG_COMP_CNT: 0
	.text
	.protected	naive_conv_ab_nonpacked_wrw_ndhwc_ushort_double_ushort_0 ; -- Begin function naive_conv_ab_nonpacked_wrw_ndhwc_ushort_double_ushort_0
	.globl	naive_conv_ab_nonpacked_wrw_ndhwc_ushort_double_ushort_0
	.p2align	8
	.type	naive_conv_ab_nonpacked_wrw_ndhwc_ushort_double_ushort_0,@function
naive_conv_ab_nonpacked_wrw_ndhwc_ushort_double_ushort_0: ; @naive_conv_ab_nonpacked_wrw_ndhwc_ushort_double_ushort_0
; %bb.0:
	s_clause 0x2
	s_load_b512 s[4:19], s[0:1], 0xb8
	s_load_b32 s73, s[0:1], 0x108
	s_load_b128 s[28:31], s[0:1], 0xf8
	s_mov_b32 s20, exec_lo
	s_wait_kmcnt 0x0
	s_abs_i32 s2, s8
	s_mul_i32 s82, s73, s9
	s_cvt_f32_u32 s3, s2
	s_mul_i32 s85, s82, s31
	s_delay_alu instid0(SALU_CYCLE_1) | instskip(NEXT) | instid1(SALU_CYCLE_1)
	s_mul_i32 s33, s85, s30
	v_rcp_iflag_f32_e32 v1, s3
	s_delay_alu instid0(TRANS32_DEP_1)
	v_readfirstlane_b32 s3, v1
	v_cmpx_gt_i32_e64 s33, v0
	s_cbranch_execz .LBB115_23
; %bb.1:
	s_mul_f32 s3, s3, 0x4f7ffffe
	s_sub_co_i32 s20, 0, s2
	s_mov_b32 s35, 0
	s_abs_i32 s34, ttmp9
	s_wait_alu 0xfffe
	s_cvt_u32_f32 s3, s3
	s_mov_b32 s37, s35
	s_ashr_i32 s30, s8, 31
	s_load_b64 s[74:75], s[0:1], 0x20
	s_mul_i32 s20, s20, s3
	s_delay_alu instid0(SALU_CYCLE_1) | instskip(NEXT) | instid1(SALU_CYCLE_1)
	s_mul_hi_u32 s20, s3, s20
	s_add_co_i32 s36, s3, s20
	s_ashr_i32 s3, ttmp9, 31
	s_mul_u64 s[68:69], s[34:35], s[36:37]
	s_load_b256 s[20:27], s[0:1], 0x0
	s_mul_i32 s68, s69, s2
	s_clause 0x1
	s_load_b512 s[36:51], s[0:1], 0x28
	s_load_b512 s[52:67], s[0:1], 0x68
	s_xor_b32 s3, s3, s30
	s_sub_co_i32 s30, s34, s68
	s_add_co_i32 s34, s69, 1
	s_sub_co_i32 s68, s30, s2
	s_cmp_ge_u32 s30, s2
	s_cselect_b32 s34, s34, s69
	s_cselect_b32 s30, s68, s30
	s_add_co_i32 s68, s34, 1
	s_cmp_ge_u32 s30, s2
	s_cselect_b32 s2, s68, s34
	s_wait_alu 0xfffe
	s_xor_b32 s2, s2, s3
	s_wait_alu 0xfffe
	s_sub_co_i32 s2, s2, s3
	s_wait_alu 0xfffe
	s_mul_i32 s8, s2, s8
	s_ashr_i32 s3, s2, 31
	s_sub_co_i32 s68, ttmp9, s8
	s_wait_kmcnt 0x0
	v_cmp_neq_f64_e64 s30, s[24:25], 1.0
	v_cmp_neq_f64_e64 s34, s[26:27], 0
	s_wait_alu 0xfffe
	s_mul_u64 s[38:39], s[38:39], s[2:3]
	s_mul_u64 s[58:59], s[58:59], s[2:3]
	;; [unrolled: 1-line block ×3, first 2 shown]
	s_ashr_i32 s69, s68, 31
	s_wait_alu 0xfffe
	s_lshl_b64 s[62:63], s[2:3], 1
	s_mul_u64 s[2:3], s[56:57], s[68:69]
	s_mul_u64 s[56:57], s[60:61], s[68:69]
	s_lshl_b64 s[38:39], s[38:39], 1
	s_lshl_b64 s[58:59], s[58:59], 1
	s_wait_alu 0xfffe
	s_lshl_b64 s[60:61], s[2:3], 1
	s_lshl_b64 s[56:57], s[56:57], 1
	s_cmp_lt_i32 s7, 1
	s_load_b32 s8, s[0:1], 0x11c
	s_cselect_b32 s68, -1, 0
	s_cmp_gt_i32 s10, 0
	s_add_nc_u64 s[22:23], s[22:23], s[58:59]
	s_cselect_b32 s69, -1, 0
	s_cmp_gt_i32 s11, 0
	s_add_nc_u64 s[20:21], s[20:21], s[38:39]
	;; [unrolled: 3-line block ×3, first 2 shown]
	s_cselect_b32 s71, -1, 0
	s_abs_i32 s72, s9
	s_abs_i32 s73, s73
	s_cvt_f32_u32 s76, s72
	s_cvt_f32_u32 s58, s73
	s_abs_i32 s75, s82
	s_add_nc_u64 s[38:39], s[38:39], s[56:57]
	v_rcp_iflag_f32_e32 v1, s76
	v_rcp_iflag_f32_e32 v2, s58
	s_abs_i32 s77, s31
	s_wait_kmcnt 0x0
	s_and_b32 s74, s8, 0xffff
	s_cvt_f32_u32 s8, s75
	s_abs_i32 s78, s85
	s_sub_co_i32 s31, 0, s72
	s_cvt_f32_u32 s58, s78
	s_or_b32 s79, s30, s34
	s_load_b128 s[0:3], s[0:1], 0xa8
	v_readfirstlane_b32 s56, v1
	v_rcp_iflag_f32_e32 v1, s8
	v_readfirstlane_b32 s57, v2
	s_add_nc_u64 s[22:23], s[22:23], s[60:61]
	s_ashr_i32 s76, s9, 31
	s_mul_f32 s8, s56, 0x4f7ffffe
	s_cvt_f32_u32 s56, s77
	s_mul_f32 s30, s57, 0x4f7ffffe
	s_ashr_i32 s82, s82, 31
	s_wait_alu 0xfffe
	s_cvt_u32_f32 s8, s8
	v_rcp_iflag_f32_e32 v2, s56
	v_readfirstlane_b32 s34, v1
	v_rcp_iflag_f32_e32 v1, s58
	s_cvt_u32_f32 s30, s30
	s_wait_alu 0xfffe
	s_mul_i32 s31, s31, s8
	s_sub_co_i32 s56, 0, s73
	s_mul_f32 s34, s34, 0x4f7ffffe
	s_mul_hi_u32 s31, s8, s31
	s_wait_alu 0xfffe
	s_mul_i32 s56, s56, s30
	s_add_co_i32 s80, s8, s31
	s_wait_alu 0xfffe
	s_mul_hi_u32 s8, s30, s56
	s_cvt_u32_f32 s31, s34
	v_readfirstlane_b32 s34, v2
	s_wait_alu 0xfffe
	s_add_co_i32 s81, s30, s8
	v_readfirstlane_b32 s30, v1
	s_sub_co_i32 s8, 0, s75
	s_ashr_i32 s85, s85, 31
	s_mul_f32 s34, s34, 0x4f7ffffe
	s_wait_alu 0xfffe
	s_mul_i32 s8, s8, s31
	s_mul_f32 s30, s30, 0x4f7ffffe
	s_wait_alu 0xfffe
	s_mul_hi_u32 s8, s31, s8
	s_cvt_u32_f32 s34, s34
	s_wait_alu 0xfffe
	s_add_co_i32 s83, s31, s8
	s_sub_co_i32 s8, 0, s77
	s_cvt_u32_f32 s30, s30
	s_wait_alu 0xfffe
	s_mul_i32 s8, s8, s34
	s_sub_co_i32 s31, 0, s78
	s_wait_alu 0xfffe
	s_mul_hi_u32 s8, s34, s8
	s_mul_i32 s31, s31, s30
	s_wait_alu 0xfffe
	s_add_co_i32 s84, s34, s8
	s_mul_hi_u32 s8, s30, s31
	s_wait_kmcnt 0x0
	s_lshl_b64 s[56:57], s[0:1], 1
	s_wait_alu 0xfffe
	s_add_co_i32 s86, s30, s8
	s_lshl_b64 s[30:31], s[2:3], 1
	s_lshl_b64 s[58:59], s[66:67], 1
	;; [unrolled: 1-line block ×3, first 2 shown]
	s_sub_co_i32 s8, 0, s29
	s_mov_b32 s29, 0
	s_branch .LBB115_3
.LBB115_2:                              ;   in Loop: Header=BB115_3 Depth=1
	v_add_nc_u32_e32 v0, s74, v0
	s_delay_alu instid0(VALU_DEP_1) | instskip(SKIP_1) | instid1(SALU_CYCLE_1)
	v_cmp_le_i32_e32 vcc_lo, s33, v0
	s_or_b32 s29, vcc_lo, s29
	s_and_not1_b32 exec_lo, exec_lo, s29
	s_cbranch_execz .LBB115_23
.LBB115_3:                              ; =>This Loop Header: Depth=1
                                        ;     Child Loop BB115_8 Depth 2
                                        ;       Child Loop BB115_11 Depth 3
                                        ;         Child Loop BB115_14 Depth 4
                                        ;           Child Loop BB115_17 Depth 5
	v_sub_nc_u32_e32 v1, 0, v0
	s_mov_b32 s34, -1
	s_delay_alu instid0(VALU_DEP_1) | instskip(NEXT) | instid1(VALU_DEP_1)
	v_max_i32_e32 v5, v0, v1
	v_mul_hi_u32 v2, v5, s80
	v_mul_hi_u32 v3, v5, s83
	s_delay_alu instid0(VALU_DEP_2) | instskip(NEXT) | instid1(VALU_DEP_2)
	v_mul_lo_u32 v1, v2, s72
	v_mul_lo_u32 v4, v3, s75
	v_add_nc_u32_e32 v7, 1, v2
	s_delay_alu instid0(VALU_DEP_3) | instskip(NEXT) | instid1(VALU_DEP_3)
	v_sub_nc_u32_e32 v6, v5, v1
	v_sub_nc_u32_e32 v4, v5, v4
	v_ashrrev_i32_e32 v1, 31, v0
	s_delay_alu instid0(VALU_DEP_3) | instskip(NEXT) | instid1(VALU_DEP_3)
	v_cmp_le_u32_e32 vcc_lo, s72, v6
	v_subrev_nc_u32_e32 v9, s75, v4
	v_cmp_le_u32_e64 s0, s75, v4
	s_delay_alu instid0(VALU_DEP_4)
	v_xor_b32_e32 v10, s82, v1
	s_wait_alu 0xfffd
	v_cndmask_b32_e32 v2, v2, v7, vcc_lo
	v_subrev_nc_u32_e32 v7, s72, v6
	s_wait_alu 0xf1ff
	v_cndmask_b32_e64 v4, v4, v9, s0
	s_delay_alu instid0(VALU_DEP_2) | instskip(NEXT) | instid1(VALU_DEP_1)
	v_dual_cndmask_b32 v6, v6, v7 :: v_dual_add_nc_u32 v7, 1, v2
	v_cmp_le_u32_e32 vcc_lo, s72, v6
	s_wait_alu 0xfffd
	s_delay_alu instid0(VALU_DEP_2) | instskip(SKIP_2) | instid1(VALU_DEP_1)
	v_cndmask_b32_e32 v2, v2, v7, vcc_lo
	v_cmp_le_u32_e32 vcc_lo, s75, v4
	v_add_nc_u32_e32 v8, 1, v3
	v_cndmask_b32_e64 v3, v3, v8, s0
	v_xor_b32_e32 v8, s76, v1
	s_delay_alu instid0(VALU_DEP_2) | instskip(NEXT) | instid1(VALU_DEP_2)
	v_add_nc_u32_e32 v9, 1, v3
	v_xor_b32_e32 v2, v2, v8
	s_wait_alu 0xfffd
	s_delay_alu instid0(VALU_DEP_2) | instskip(NEXT) | instid1(VALU_DEP_1)
	v_cndmask_b32_e32 v3, v3, v9, vcc_lo
	v_xor_b32_e32 v4, v3, v10
	s_delay_alu instid0(VALU_DEP_3) | instskip(NEXT) | instid1(VALU_DEP_2)
	v_sub_nc_u32_e32 v3, v2, v8
	v_sub_nc_u32_e32 v2, v4, v10
	s_delay_alu instid0(VALU_DEP_2) | instskip(SKIP_1) | instid1(VALU_DEP_3)
	v_sub_nc_u32_e32 v4, 0, v3
	v_mul_lo_u32 v11, v3, s9
	v_sub_nc_u32_e32 v6, 0, v2
	s_delay_alu instid0(VALU_DEP_3) | instskip(SKIP_1) | instid1(VALU_DEP_3)
	v_max_i32_e32 v7, v3, v4
	v_mul_hi_u32 v4, v5, s86
	v_max_i32_e32 v6, v2, v6
	s_delay_alu instid0(VALU_DEP_3) | instskip(NEXT) | instid1(VALU_DEP_2)
	v_mul_hi_u32 v8, v7, s81
	v_mul_hi_u32 v9, v6, s84
	s_delay_alu instid0(VALU_DEP_4) | instskip(NEXT) | instid1(VALU_DEP_3)
	v_mul_lo_u32 v10, v4, s78
	v_mul_lo_u32 v8, v8, s73
	s_delay_alu instid0(VALU_DEP_3) | instskip(NEXT) | instid1(VALU_DEP_3)
	v_mul_lo_u32 v9, v9, s77
	v_sub_nc_u32_e32 v5, v5, v10
	s_delay_alu instid0(VALU_DEP_3) | instskip(NEXT) | instid1(VALU_DEP_2)
	v_sub_nc_u32_e32 v7, v7, v8
	v_cmp_le_u32_e64 s3, s78, v5
	s_delay_alu instid0(VALU_DEP_4) | instskip(NEXT) | instid1(VALU_DEP_3)
	v_sub_nc_u32_e32 v6, v6, v9
	v_subrev_nc_u32_e32 v8, s73, v7
	v_cmp_le_u32_e32 vcc_lo, s73, v7
	v_subrev_nc_u32_e32 v9, s78, v5
	s_delay_alu instid0(VALU_DEP_4) | instskip(SKIP_3) | instid1(VALU_DEP_2)
	v_subrev_nc_u32_e32 v10, s77, v6
	s_wait_alu 0xfffd
	v_cndmask_b32_e32 v7, v7, v8, vcc_lo
	v_cmp_le_u32_e32 vcc_lo, s77, v6
	v_cmp_le_u32_e64 s2, s73, v7
	s_wait_alu 0xfffd
	v_cndmask_b32_e32 v8, v6, v10, vcc_lo
	s_wait_alu 0xf1ff
	v_cndmask_b32_e64 v6, v5, v9, s3
	v_sub_nc_u32_e32 v5, v0, v11
	s_and_not1_b32 vcc_lo, exec_lo, s68
	v_cmp_le_u32_e64 s1, s77, v8
	s_delay_alu instid0(VALU_DEP_3)
	v_cmp_le_u32_e64 s0, s78, v6
                                        ; implicit-def: $vgpr6
	s_wait_alu 0xfffe
	s_cbranch_vccnz .LBB115_5
; %bb.4:                                ;   in Loop: Header=BB115_3 Depth=1
	v_ashrrev_i32_e32 v6, 31, v5
	s_mov_b32 s34, 0
.LBB115_5:                              ;   in Loop: Header=BB115_3 Depth=1
	v_add_nc_u32_e32 v9, 1, v4
	v_subrev_nc_u32_e32 v10, s77, v8
	v_ashrrev_i32_e32 v3, 31, v3
	v_ashrrev_i32_e32 v2, 31, v2
	s_and_not1_b32 vcc_lo, exec_lo, s34
	v_cndmask_b32_e64 v4, v4, v9, s3
	v_subrev_nc_u32_e32 v9, s73, v7
	s_wait_alu 0xf1ff
	v_cndmask_b32_e64 v8, v8, v10, s1
	v_xor_b32_e32 v10, s85, v1
	v_add_nc_u32_e32 v11, 1, v4
	v_cndmask_b32_e64 v7, v7, v9, s2
	s_delay_alu instid0(VALU_DEP_2) | instskip(NEXT) | instid1(VALU_DEP_2)
	v_cndmask_b32_e64 v1, v4, v11, s0
	v_xor_b32_e32 v4, v7, v3
	v_xor_b32_e32 v7, v8, v2
	s_delay_alu instid0(VALU_DEP_3) | instskip(NEXT) | instid1(VALU_DEP_3)
	v_xor_b32_e32 v11, v1, v10
	v_sub_nc_u32_e32 v9, v4, v3
	s_delay_alu instid0(VALU_DEP_3)
	v_sub_nc_u32_e32 v8, v7, v2
	v_mov_b32_e32 v1, 0
	v_mov_b32_e32 v2, 0
	v_sub_nc_u32_e32 v7, v11, v10
	s_wait_alu 0xfffe
	s_cbranch_vccnz .LBB115_19
; %bb.6:                                ;   in Loop: Header=BB115_3 Depth=1
	v_ashrrev_i32_e32 v6, 31, v5
	v_mul_lo_u32 v3, s37, v5
	v_mad_co_u64_u32 v[1:2], null, s36, v5, 0
	v_mul_lo_u32 v10, v7, s16
	s_delay_alu instid0(VALU_DEP_4) | instskip(SKIP_3) | instid1(VALU_DEP_2)
	v_mul_lo_u32 v4, s36, v6
	v_mul_lo_u32 v11, v8, s17
	s_mov_b32 s34, 0
	s_mov_b64 s[2:3], s[38:39]
	v_add3_u32 v2, v2, v4, v3
	v_mad_co_u64_u32 v[3:4], null, v9, s18, s[8:9]
	s_delay_alu instid0(VALU_DEP_2) | instskip(SKIP_2) | instid1(VALU_DEP_3)
	v_lshlrev_b64_e32 v[12:13], 1, v[1:2]
	v_mov_b32_e32 v1, 0
	v_mov_b32_e32 v2, 0
	v_add_co_u32 v4, vcc_lo, s20, v12
	s_wait_alu 0xfffd
	s_delay_alu instid0(VALU_DEP_4)
	v_add_co_ci_u32_e64 v12, null, s21, v13, vcc_lo
	s_branch .LBB115_8
.LBB115_7:                              ;   in Loop: Header=BB115_8 Depth=2
	s_add_co_i32 s34, s34, 1
	s_add_nc_u64 s[2:3], s[2:3], s[30:31]
	s_cmp_eq_u32 s34, s7
	s_cbranch_scc1 .LBB115_19
.LBB115_8:                              ;   Parent Loop BB115_3 Depth=1
                                        ; =>  This Loop Header: Depth=2
                                        ;       Child Loop BB115_11 Depth 3
                                        ;         Child Loop BB115_14 Depth 4
                                        ;           Child Loop BB115_17 Depth 5
	s_and_not1_b32 vcc_lo, exec_lo, s69
	s_wait_alu 0xfffe
	s_cbranch_vccnz .LBB115_7
; %bb.9:                                ;   in Loop: Header=BB115_8 Depth=2
	s_mul_u64 s[0:1], s[46:47], s[34:35]
	s_mov_b32 s87, 0
	s_wait_alu 0xfffe
	s_lshl_b64 s[0:1], s[0:1], 1
	s_mov_b64 s[62:63], s[2:3]
	s_wait_alu 0xfffe
	v_add_co_u32 v13, vcc_lo, v4, s0
	s_wait_alu 0xfffd
	v_add_co_ci_u32_e64 v14, null, s1, v12, vcc_lo
	s_branch .LBB115_11
.LBB115_10:                             ;   in Loop: Header=BB115_11 Depth=3
	s_add_co_i32 s87, s87, 1
	s_add_nc_u64 s[62:63], s[62:63], s[56:57]
	s_wait_alu 0xfffe
	s_cmp_eq_u32 s87, s10
	s_cbranch_scc1 .LBB115_7
.LBB115_11:                             ;   Parent Loop BB115_3 Depth=1
                                        ;     Parent Loop BB115_8 Depth=2
                                        ; =>    This Loop Header: Depth=3
                                        ;         Child Loop BB115_14 Depth 4
                                        ;           Child Loop BB115_17 Depth 5
	s_and_not1_b32 vcc_lo, exec_lo, s70
	s_wait_alu 0xfffe
	s_cbranch_vccnz .LBB115_10
; %bb.12:                               ;   in Loop: Header=BB115_11 Depth=3
	s_mul_i32 s0, s87, s13
	s_mov_b64 s[64:65], s[62:63]
	s_wait_alu 0xfffe
	s_sub_co_i32 s0, s0, s19
	s_wait_alu 0xfffe
	v_add_nc_u32_e32 v18, s0, v10
	s_delay_alu instid0(VALU_DEP_1) | instskip(SKIP_4) | instid1(VALU_DEP_1)
	v_mad_co_u64_u32 v[15:16], null, s44, v18, 0
	v_cmp_gt_i32_e32 vcc_lo, 0, v18
	v_cmp_le_i32_e64 s0, s4, v18
	s_or_b32 s88, vcc_lo, s0
	v_mad_co_u64_u32 v[16:17], null, s45, v18, v[16:17]
	v_lshlrev_b64_e32 v[15:16], 1, v[15:16]
	s_delay_alu instid0(VALU_DEP_1) | instskip(SKIP_1) | instid1(VALU_DEP_2)
	v_add_co_u32 v15, s1, v13, v15
	s_wait_alu 0xf1ff
	v_add_co_ci_u32_e64 v16, null, v14, v16, s1
	s_mov_b32 s1, 0
	s_branch .LBB115_14
.LBB115_13:                             ;   in Loop: Header=BB115_14 Depth=4
	s_add_co_i32 s1, s1, 1
	s_add_nc_u64 s[64:65], s[64:65], s[58:59]
	s_wait_alu 0xfffe
	s_cmp_eq_u32 s1, s11
	s_cbranch_scc1 .LBB115_10
.LBB115_14:                             ;   Parent Loop BB115_3 Depth=1
                                        ;     Parent Loop BB115_8 Depth=2
                                        ;       Parent Loop BB115_11 Depth=3
                                        ; =>      This Loop Header: Depth=4
                                        ;           Child Loop BB115_17 Depth 5
	s_and_not1_b32 vcc_lo, exec_lo, s71
	s_wait_alu 0xfffe
	s_cbranch_vccnz .LBB115_13
; %bb.15:                               ;   in Loop: Header=BB115_14 Depth=4
	s_mul_i32 s0, s1, s14
	s_mov_b64 s[66:67], s[64:65]
	s_wait_alu 0xfffe
	s_sub_co_i32 s0, s0, s28
	s_mov_b32 s90, s12
	s_wait_alu 0xfffe
	v_add_nc_u32_e32 v20, s0, v11
	s_delay_alu instid0(VALU_DEP_1) | instskip(NEXT) | instid1(VALU_DEP_1)
	v_mad_co_u64_u32 v[17:18], null, s42, v20, 0
	v_mad_co_u64_u32 v[18:19], null, s43, v20, v[18:19]
	v_mov_b32_e32 v19, v3
	v_cmp_gt_i32_e32 vcc_lo, 0, v20
	v_cmp_le_i32_e64 s0, s5, v20
	s_delay_alu instid0(VALU_DEP_4) | instskip(SKIP_3) | instid1(VALU_DEP_1)
	v_lshlrev_b64_e32 v[17:18], 1, v[17:18]
	s_or_b32 s0, vcc_lo, s0
	s_wait_alu 0xfffe
	s_or_b32 s89, s88, s0
	v_add_co_u32 v17, vcc_lo, v15, v17
	s_wait_alu 0xfffd
	v_add_co_ci_u32_e64 v18, null, v16, v18, vcc_lo
	s_branch .LBB115_17
.LBB115_16:                             ;   in Loop: Header=BB115_17 Depth=5
	s_wait_alu 0xfffe
	s_or_b32 exec_lo, exec_lo, s0
	v_add_nc_u32_e32 v19, s15, v19
	s_add_co_i32 s90, s90, -1
	s_add_nc_u64 s[66:67], s[66:67], s[60:61]
	s_wait_alu 0xfffe
	s_cmp_eq_u32 s90, 0
	s_cbranch_scc1 .LBB115_13
.LBB115_17:                             ;   Parent Loop BB115_3 Depth=1
                                        ;     Parent Loop BB115_8 Depth=2
                                        ;       Parent Loop BB115_11 Depth=3
                                        ;         Parent Loop BB115_14 Depth=4
                                        ; =>        This Inner Loop Header: Depth=5
	v_cmp_gt_i32_e32 vcc_lo, 0, v19
	v_cmp_le_i32_e64 s0, s6, v19
	s_or_b32 s0, vcc_lo, s0
	s_wait_alu 0xfffe
	s_nor_b32 s91, s89, s0
	s_wait_alu 0xfffe
	s_and_saveexec_b32 s0, s91
	s_cbranch_execz .LBB115_16
; %bb.18:                               ;   in Loop: Header=BB115_17 Depth=5
	v_mad_co_u64_u32 v[20:21], null, s40, v19, 0
	s_load_u16 s91, s[66:67], 0x0
	v_mad_co_u64_u32 v[21:22], null, s41, v19, v[21:22]
	s_delay_alu instid0(VALU_DEP_1) | instskip(SKIP_2) | instid1(VALU_DEP_1)
	v_lshlrev_b64_e32 v[20:21], 1, v[20:21]
	s_wait_kmcnt 0x0
	s_lshl_b32 s91, s91, 16
	v_add_co_u32 v20, vcc_lo, v17, v20
	s_wait_alu 0xfffd
	s_delay_alu instid0(VALU_DEP_2)
	v_add_co_ci_u32_e64 v21, null, v18, v21, vcc_lo
	s_wait_alu 0xfffe
	v_cvt_f64_f32_e32 v[22:23], s91
	global_load_u16 v20, v[20:21], off
	s_wait_loadcnt 0x0
	v_lshlrev_b32_e32 v20, 16, v20
	s_delay_alu instid0(VALU_DEP_1) | instskip(NEXT) | instid1(VALU_DEP_1)
	v_cvt_f64_f32_e32 v[20:21], v20
	v_fma_f64 v[1:2], v[20:21], v[22:23], v[1:2]
	s_branch .LBB115_16
.LBB115_19:                             ;   in Loop: Header=BB115_3 Depth=1
	v_ashrrev_i32_e32 v10, 31, v9
	v_mul_lo_u32 v11, s51, v9
	v_mad_co_u64_u32 v[3:4], null, s50, v9, 0
	v_mul_lo_u32 v6, v6, s48
	s_delay_alu instid0(VALU_DEP_4) | instskip(SKIP_3) | instid1(VALU_DEP_1)
	v_mul_lo_u32 v9, s50, v10
	v_ashrrev_i32_e32 v10, 31, v8
	s_and_b32 vcc_lo, exec_lo, s79
	s_mov_b32 s0, -1
	v_mul_lo_u32 v10, s52, v10
	s_delay_alu instid0(VALU_DEP_3) | instskip(SKIP_1) | instid1(VALU_DEP_2)
	v_add3_u32 v4, v4, v9, v11
	v_mul_lo_u32 v9, s53, v8
	v_mad_co_u64_u32 v[3:4], null, s52, v8, v[3:4]
	v_ashrrev_i32_e32 v8, 31, v7
	s_delay_alu instid0(VALU_DEP_1) | instskip(NEXT) | instid1(VALU_DEP_3)
	v_mul_lo_u32 v8, s54, v8
	v_add3_u32 v4, v9, v4, v10
	v_mul_lo_u32 v9, s55, v7
	s_delay_alu instid0(VALU_DEP_2) | instskip(SKIP_1) | instid1(VALU_DEP_2)
	v_mad_co_u64_u32 v[3:4], null, s54, v7, v[3:4]
	v_mul_lo_u32 v7, v5, s49
	v_add3_u32 v4, v9, v4, v8
	s_delay_alu instid0(VALU_DEP_1) | instskip(NEXT) | instid1(VALU_DEP_1)
	v_mad_co_u64_u32 v[3:4], null, v5, s48, v[3:4]
	v_add3_u32 v4, v6, v4, v7
	s_wait_alu 0xfffe
	s_cbranch_vccz .LBB115_21
; %bb.20:                               ;   in Loop: Header=BB115_3 Depth=1
	s_delay_alu instid0(VALU_DEP_1) | instskip(NEXT) | instid1(VALU_DEP_1)
	v_lshlrev_b64_e32 v[5:6], 1, v[3:4]
	v_add_co_u32 v5, vcc_lo, s22, v5
	s_wait_alu 0xfffd
	s_delay_alu instid0(VALU_DEP_2) | instskip(SKIP_3) | instid1(VALU_DEP_1)
	v_add_co_ci_u32_e64 v6, null, s23, v6, vcc_lo
	global_load_u16 v7, v[5:6], off
	s_wait_loadcnt 0x0
	v_lshlrev_b32_e32 v7, 16, v7
	v_cvt_f64_f32_e32 v[7:8], v7
	s_delay_alu instid0(VALU_DEP_1) | instskip(NEXT) | instid1(VALU_DEP_1)
	v_mul_f64_e32 v[7:8], s[26:27], v[7:8]
	v_fma_f64 v[7:8], s[24:25], v[1:2], v[7:8]
	s_delay_alu instid0(VALU_DEP_1) | instskip(NEXT) | instid1(VALU_DEP_1)
	v_cvt_f32_f64_e32 v7, v[7:8]
	v_and_b32_e32 v8, 0x7f800000, v7
	v_and_b32_e32 v9, 0xffff, v7
	v_lshrrev_b32_e32 v7, 16, v7
	s_delay_alu instid0(VALU_DEP_3) | instskip(NEXT) | instid1(VALU_DEP_3)
	v_cmp_eq_u32_e32 vcc_lo, 0x7f800000, v8
	v_cmp_ne_u32_e64 s0, 0, v9
	s_and_b32 s0, vcc_lo, s0
	s_wait_alu 0xfffe
	v_cndmask_b32_e64 v8, 0, 1, s0
	s_mov_b32 s0, 0
	s_delay_alu instid0(VALU_DEP_1)
	v_or_b32_e32 v7, v7, v8
	global_store_b16 v[5:6], v7, off
.LBB115_21:                             ;   in Loop: Header=BB115_3 Depth=1
	s_wait_alu 0xfffe
	s_and_not1_b32 vcc_lo, exec_lo, s0
	s_wait_alu 0xfffe
	s_cbranch_vccnz .LBB115_2
; %bb.22:                               ;   in Loop: Header=BB115_3 Depth=1
	v_cvt_f32_f64_e32 v1, v[1:2]
	s_delay_alu instid0(VALU_DEP_1) | instskip(SKIP_1) | instid1(VALU_DEP_2)
	v_and_b32_e32 v2, 0x7f800000, v1
	v_and_b32_e32 v5, 0xffff, v1
	v_cmp_eq_u32_e32 vcc_lo, 0x7f800000, v2
	s_delay_alu instid0(VALU_DEP_2)
	v_cmp_ne_u32_e64 s0, 0, v5
	v_lshrrev_b32_e32 v5, 16, v1
	v_lshlrev_b64_e32 v[1:2], 1, v[3:4]
	s_and_b32 s0, vcc_lo, s0
	s_wait_alu 0xfffe
	v_cndmask_b32_e64 v6, 0, 1, s0
	s_delay_alu instid0(VALU_DEP_2) | instskip(SKIP_2) | instid1(VALU_DEP_3)
	v_add_co_u32 v1, vcc_lo, s22, v1
	s_wait_alu 0xfffd
	v_add_co_ci_u32_e64 v2, null, s23, v2, vcc_lo
	v_or_b32_e32 v3, v5, v6
	global_store_b16 v[1:2], v3, off
	s_branch .LBB115_2
.LBB115_23:
	s_endpgm
	.section	.rodata,"a",@progbits
	.p2align	6, 0x0
	.amdhsa_kernel naive_conv_ab_nonpacked_wrw_ndhwc_ushort_double_ushort_0
		.amdhsa_group_segment_fixed_size 0
		.amdhsa_private_segment_fixed_size 0
		.amdhsa_kernarg_size 528
		.amdhsa_user_sgpr_count 2
		.amdhsa_user_sgpr_dispatch_ptr 0
		.amdhsa_user_sgpr_queue_ptr 0
		.amdhsa_user_sgpr_kernarg_segment_ptr 1
		.amdhsa_user_sgpr_dispatch_id 0
		.amdhsa_user_sgpr_private_segment_size 0
		.amdhsa_wavefront_size32 1
		.amdhsa_uses_dynamic_stack 0
		.amdhsa_enable_private_segment 0
		.amdhsa_system_sgpr_workgroup_id_x 1
		.amdhsa_system_sgpr_workgroup_id_y 0
		.amdhsa_system_sgpr_workgroup_id_z 0
		.amdhsa_system_sgpr_workgroup_info 0
		.amdhsa_system_vgpr_workitem_id 0
		.amdhsa_next_free_vgpr 24
		.amdhsa_next_free_sgpr 92
		.amdhsa_reserve_vcc 1
		.amdhsa_float_round_mode_32 0
		.amdhsa_float_round_mode_16_64 0
		.amdhsa_float_denorm_mode_32 3
		.amdhsa_float_denorm_mode_16_64 3
		.amdhsa_fp16_overflow 0
		.amdhsa_workgroup_processor_mode 1
		.amdhsa_memory_ordered 1
		.amdhsa_forward_progress 1
		.amdhsa_inst_pref_size 19
		.amdhsa_round_robin_scheduling 0
		.amdhsa_exception_fp_ieee_invalid_op 0
		.amdhsa_exception_fp_denorm_src 0
		.amdhsa_exception_fp_ieee_div_zero 0
		.amdhsa_exception_fp_ieee_overflow 0
		.amdhsa_exception_fp_ieee_underflow 0
		.amdhsa_exception_fp_ieee_inexact 0
		.amdhsa_exception_int_div_zero 0
	.end_amdhsa_kernel
	.text
.Lfunc_end115:
	.size	naive_conv_ab_nonpacked_wrw_ndhwc_ushort_double_ushort_0, .Lfunc_end115-naive_conv_ab_nonpacked_wrw_ndhwc_ushort_double_ushort_0
                                        ; -- End function
	.set naive_conv_ab_nonpacked_wrw_ndhwc_ushort_double_ushort_0.num_vgpr, 24
	.set naive_conv_ab_nonpacked_wrw_ndhwc_ushort_double_ushort_0.num_agpr, 0
	.set naive_conv_ab_nonpacked_wrw_ndhwc_ushort_double_ushort_0.numbered_sgpr, 92
	.set naive_conv_ab_nonpacked_wrw_ndhwc_ushort_double_ushort_0.num_named_barrier, 0
	.set naive_conv_ab_nonpacked_wrw_ndhwc_ushort_double_ushort_0.private_seg_size, 0
	.set naive_conv_ab_nonpacked_wrw_ndhwc_ushort_double_ushort_0.uses_vcc, 1
	.set naive_conv_ab_nonpacked_wrw_ndhwc_ushort_double_ushort_0.uses_flat_scratch, 0
	.set naive_conv_ab_nonpacked_wrw_ndhwc_ushort_double_ushort_0.has_dyn_sized_stack, 0
	.set naive_conv_ab_nonpacked_wrw_ndhwc_ushort_double_ushort_0.has_recursion, 0
	.set naive_conv_ab_nonpacked_wrw_ndhwc_ushort_double_ushort_0.has_indirect_call, 0
	.section	.AMDGPU.csdata,"",@progbits
; Kernel info:
; codeLenInByte = 2416
; TotalNumSgprs: 94
; NumVgprs: 24
; ScratchSize: 0
; MemoryBound: 0
; FloatMode: 240
; IeeeMode: 1
; LDSByteSize: 0 bytes/workgroup (compile time only)
; SGPRBlocks: 0
; VGPRBlocks: 2
; NumSGPRsForWavesPerEU: 94
; NumVGPRsForWavesPerEU: 24
; Occupancy: 16
; WaveLimiterHint : 0
; COMPUTE_PGM_RSRC2:SCRATCH_EN: 0
; COMPUTE_PGM_RSRC2:USER_SGPR: 2
; COMPUTE_PGM_RSRC2:TRAP_HANDLER: 0
; COMPUTE_PGM_RSRC2:TGID_X_EN: 1
; COMPUTE_PGM_RSRC2:TGID_Y_EN: 0
; COMPUTE_PGM_RSRC2:TGID_Z_EN: 0
; COMPUTE_PGM_RSRC2:TIDIG_COMP_CNT: 0
	.text
	.p2alignl 7, 3214868480
	.fill 96, 4, 3214868480
	.section	.AMDGPU.gpr_maximums,"",@progbits
	.set amdgpu.max_num_vgpr, 0
	.set amdgpu.max_num_agpr, 0
	.set amdgpu.max_num_sgpr, 0
	.text
	.type	__hip_cuid_4bac53ce36a5d642,@object ; @__hip_cuid_4bac53ce36a5d642
	.section	.bss,"aw",@nobits
	.globl	__hip_cuid_4bac53ce36a5d642
__hip_cuid_4bac53ce36a5d642:
	.byte	0                               ; 0x0
	.size	__hip_cuid_4bac53ce36a5d642, 1

	.ident	"AMD clang version 22.0.0git (https://github.com/RadeonOpenCompute/llvm-project roc-7.2.4 26084 f58b06dce1f9c15707c5f808fd002e18c2accf7e)"
	.section	".note.GNU-stack","",@progbits
	.addrsig
	.addrsig_sym __hip_cuid_4bac53ce36a5d642
	.amdgpu_metadata
---
amdhsa.kernels:
  - .args:
      - .actual_access:  read_only
        .address_space:  global
        .offset:         0
        .size:           8
        .value_kind:     global_buffer
      - .actual_access:  read_only
        .address_space:  global
        .offset:         8
        .size:           8
        .value_kind:     global_buffer
      - .offset:         16
        .size:           8
        .value_kind:     by_value
      - .offset:         24
        .size:           8
        .value_kind:     by_value
      - .address_space:  global
        .offset:         32
        .size:           8
        .value_kind:     global_buffer
      - .offset:         40
        .size:           40
        .value_kind:     by_value
      - .offset:         80
        .size:           40
        .value_kind:     by_value
      - .offset:         120
        .size:           40
        .value_kind:     by_value
      - .offset:         160
        .size:           4
        .value_kind:     by_value
      - .offset:         164
        .size:           4
        .value_kind:     by_value
      - .offset:         168
        .size:           4
        .value_kind:     by_value
      - .offset:         172
        .size:           4
        .value_kind:     by_value
      - .offset:         176
        .size:           4
        .value_kind:     by_value
      - .offset:         180
        .size:           4
        .value_kind:     by_value
      - .offset:         184
        .size:           4
        .value_kind:     by_value
      - .offset:         188
        .size:           4
        .value_kind:     by_value
      - .offset:         192
        .size:           4
        .value_kind:     by_value
      - .offset:         196
        .size:           4
        .value_kind:     by_value
      - .offset:         200
        .size:           4
        .value_kind:     by_value
      - .offset:         204
        .size:           4
        .value_kind:     by_value
      - .offset:         208
        .size:           4
        .value_kind:     by_value
      - .offset:         212
        .size:           4
        .value_kind:     by_value
      - .offset:         216
        .size:           4
        .value_kind:     by_value
      - .offset:         220
        .size:           4
        .value_kind:     by_value
      - .offset:         224
        .size:           4
        .value_kind:     hidden_block_count_x
      - .offset:         228
        .size:           4
        .value_kind:     hidden_block_count_y
      - .offset:         232
        .size:           4
        .value_kind:     hidden_block_count_z
      - .offset:         236
        .size:           2
        .value_kind:     hidden_group_size_x
      - .offset:         238
        .size:           2
        .value_kind:     hidden_group_size_y
      - .offset:         240
        .size:           2
        .value_kind:     hidden_group_size_z
      - .offset:         242
        .size:           2
        .value_kind:     hidden_remainder_x
      - .offset:         244
        .size:           2
        .value_kind:     hidden_remainder_y
      - .offset:         246
        .size:           2
        .value_kind:     hidden_remainder_z
      - .offset:         264
        .size:           8
        .value_kind:     hidden_global_offset_x
      - .offset:         272
        .size:           8
        .value_kind:     hidden_global_offset_y
      - .offset:         280
        .size:           8
        .value_kind:     hidden_global_offset_z
      - .offset:         288
        .size:           2
        .value_kind:     hidden_grid_dims
    .group_segment_fixed_size: 0
    .kernarg_segment_align: 8
    .kernarg_segment_size: 480
    .language:       OpenCL C
    .language_version:
      - 2
      - 0
    .max_flat_workgroup_size: 1024
    .name:           naive_conv_ab_packed_fwd_nchw_float_double_float_0
    .private_segment_fixed_size: 0
    .sgpr_count:     56
    .sgpr_spill_count: 0
    .symbol:         naive_conv_ab_packed_fwd_nchw_float_double_float_0.kd
    .uniform_work_group_size: 1
    .uses_dynamic_stack: false
    .vgpr_count:     15
    .vgpr_spill_count: 0
    .wavefront_size: 32
    .workgroup_processor_mode: 1
  - .args:
      - .actual_access:  read_only
        .address_space:  global
        .offset:         0
        .size:           8
        .value_kind:     global_buffer
      - .actual_access:  read_only
        .address_space:  global
        .offset:         8
        .size:           8
        .value_kind:     global_buffer
      - .offset:         16
        .size:           8
        .value_kind:     by_value
      - .offset:         24
        .size:           8
        .value_kind:     by_value
      - .address_space:  global
        .offset:         32
        .size:           8
        .value_kind:     global_buffer
      - .offset:         40
        .size:           40
        .value_kind:     by_value
      - .offset:         80
        .size:           40
        .value_kind:     by_value
      - .offset:         120
        .size:           40
        .value_kind:     by_value
      - .offset:         160
        .size:           4
        .value_kind:     by_value
      - .offset:         164
        .size:           4
        .value_kind:     by_value
      - .offset:         168
        .size:           4
        .value_kind:     by_value
      - .offset:         172
        .size:           4
        .value_kind:     by_value
      - .offset:         176
        .size:           4
        .value_kind:     by_value
      - .offset:         180
        .size:           4
        .value_kind:     by_value
      - .offset:         184
        .size:           4
        .value_kind:     by_value
      - .offset:         188
        .size:           4
        .value_kind:     by_value
      - .offset:         192
        .size:           4
        .value_kind:     by_value
      - .offset:         196
        .size:           4
        .value_kind:     by_value
      - .offset:         200
        .size:           4
        .value_kind:     by_value
      - .offset:         204
        .size:           4
        .value_kind:     by_value
      - .offset:         208
        .size:           4
        .value_kind:     by_value
      - .offset:         212
        .size:           4
        .value_kind:     by_value
      - .offset:         216
        .size:           4
        .value_kind:     by_value
      - .offset:         220
        .size:           4
        .value_kind:     by_value
      - .offset:         224
        .size:           4
        .value_kind:     hidden_block_count_x
      - .offset:         228
        .size:           4
        .value_kind:     hidden_block_count_y
      - .offset:         232
        .size:           4
        .value_kind:     hidden_block_count_z
      - .offset:         236
        .size:           2
        .value_kind:     hidden_group_size_x
      - .offset:         238
        .size:           2
        .value_kind:     hidden_group_size_y
      - .offset:         240
        .size:           2
        .value_kind:     hidden_group_size_z
      - .offset:         242
        .size:           2
        .value_kind:     hidden_remainder_x
      - .offset:         244
        .size:           2
        .value_kind:     hidden_remainder_y
      - .offset:         246
        .size:           2
        .value_kind:     hidden_remainder_z
      - .offset:         264
        .size:           8
        .value_kind:     hidden_global_offset_x
      - .offset:         272
        .size:           8
        .value_kind:     hidden_global_offset_y
      - .offset:         280
        .size:           8
        .value_kind:     hidden_global_offset_z
      - .offset:         288
        .size:           2
        .value_kind:     hidden_grid_dims
    .group_segment_fixed_size: 0
    .kernarg_segment_align: 8
    .kernarg_segment_size: 480
    .language:       OpenCL C
    .language_version:
      - 2
      - 0
    .max_flat_workgroup_size: 1024
    .name:           naive_conv_ab_nonpacked_fwd_nchw_float_double_float_0
    .private_segment_fixed_size: 0
    .sgpr_count:     71
    .sgpr_spill_count: 0
    .symbol:         naive_conv_ab_nonpacked_fwd_nchw_float_double_float_0.kd
    .uniform_work_group_size: 1
    .uses_dynamic_stack: false
    .vgpr_count:     14
    .vgpr_spill_count: 0
    .wavefront_size: 32
    .workgroup_processor_mode: 1
  - .args:
      - .actual_access:  read_only
        .address_space:  global
        .offset:         0
        .size:           8
        .value_kind:     global_buffer
      - .actual_access:  read_only
        .address_space:  global
        .offset:         8
        .size:           8
        .value_kind:     global_buffer
      - .offset:         16
        .size:           8
        .value_kind:     by_value
      - .offset:         24
        .size:           8
        .value_kind:     by_value
      - .address_space:  global
        .offset:         32
        .size:           8
        .value_kind:     global_buffer
      - .offset:         40
        .size:           40
        .value_kind:     by_value
      - .offset:         80
        .size:           40
        .value_kind:     by_value
      - .offset:         120
        .size:           40
        .value_kind:     by_value
      - .offset:         160
        .size:           4
        .value_kind:     by_value
      - .offset:         164
        .size:           4
        .value_kind:     by_value
      - .offset:         168
        .size:           4
        .value_kind:     by_value
      - .offset:         172
        .size:           4
        .value_kind:     by_value
      - .offset:         176
        .size:           4
        .value_kind:     by_value
      - .offset:         180
        .size:           4
        .value_kind:     by_value
      - .offset:         184
        .size:           4
        .value_kind:     by_value
      - .offset:         188
        .size:           4
        .value_kind:     by_value
      - .offset:         192
        .size:           4
        .value_kind:     by_value
      - .offset:         196
        .size:           4
        .value_kind:     by_value
      - .offset:         200
        .size:           4
        .value_kind:     by_value
      - .offset:         204
        .size:           4
        .value_kind:     by_value
      - .offset:         208
        .size:           4
        .value_kind:     by_value
      - .offset:         212
        .size:           4
        .value_kind:     by_value
      - .offset:         216
        .size:           4
        .value_kind:     by_value
      - .offset:         220
        .size:           4
        .value_kind:     by_value
      - .offset:         224
        .size:           4
        .value_kind:     hidden_block_count_x
      - .offset:         228
        .size:           4
        .value_kind:     hidden_block_count_y
      - .offset:         232
        .size:           4
        .value_kind:     hidden_block_count_z
      - .offset:         236
        .size:           2
        .value_kind:     hidden_group_size_x
      - .offset:         238
        .size:           2
        .value_kind:     hidden_group_size_y
      - .offset:         240
        .size:           2
        .value_kind:     hidden_group_size_z
      - .offset:         242
        .size:           2
        .value_kind:     hidden_remainder_x
      - .offset:         244
        .size:           2
        .value_kind:     hidden_remainder_y
      - .offset:         246
        .size:           2
        .value_kind:     hidden_remainder_z
      - .offset:         264
        .size:           8
        .value_kind:     hidden_global_offset_x
      - .offset:         272
        .size:           8
        .value_kind:     hidden_global_offset_y
      - .offset:         280
        .size:           8
        .value_kind:     hidden_global_offset_z
      - .offset:         288
        .size:           2
        .value_kind:     hidden_grid_dims
    .group_segment_fixed_size: 0
    .kernarg_segment_align: 8
    .kernarg_segment_size: 480
    .language:       OpenCL C
    .language_version:
      - 2
      - 0
    .max_flat_workgroup_size: 1024
    .name:           naive_conv_ab_packed_fwd_nchw_float_double_float_1
    .private_segment_fixed_size: 0
    .sgpr_count:     56
    .sgpr_spill_count: 0
    .symbol:         naive_conv_ab_packed_fwd_nchw_float_double_float_1.kd
    .uniform_work_group_size: 1
    .uses_dynamic_stack: false
    .vgpr_count:     15
    .vgpr_spill_count: 0
    .wavefront_size: 32
    .workgroup_processor_mode: 1
  - .args:
      - .actual_access:  read_only
        .address_space:  global
        .offset:         0
        .size:           8
        .value_kind:     global_buffer
      - .actual_access:  read_only
        .address_space:  global
        .offset:         8
        .size:           8
        .value_kind:     global_buffer
      - .offset:         16
        .size:           8
        .value_kind:     by_value
      - .offset:         24
        .size:           8
        .value_kind:     by_value
      - .address_space:  global
        .offset:         32
        .size:           8
        .value_kind:     global_buffer
      - .offset:         40
        .size:           40
        .value_kind:     by_value
      - .offset:         80
        .size:           40
        .value_kind:     by_value
      - .offset:         120
        .size:           40
        .value_kind:     by_value
      - .offset:         160
        .size:           4
        .value_kind:     by_value
      - .offset:         164
        .size:           4
        .value_kind:     by_value
      - .offset:         168
        .size:           4
        .value_kind:     by_value
      - .offset:         172
        .size:           4
        .value_kind:     by_value
      - .offset:         176
        .size:           4
        .value_kind:     by_value
      - .offset:         180
        .size:           4
        .value_kind:     by_value
      - .offset:         184
        .size:           4
        .value_kind:     by_value
      - .offset:         188
        .size:           4
        .value_kind:     by_value
      - .offset:         192
        .size:           4
        .value_kind:     by_value
      - .offset:         196
        .size:           4
        .value_kind:     by_value
      - .offset:         200
        .size:           4
        .value_kind:     by_value
      - .offset:         204
        .size:           4
        .value_kind:     by_value
      - .offset:         208
        .size:           4
        .value_kind:     by_value
      - .offset:         212
        .size:           4
        .value_kind:     by_value
      - .offset:         216
        .size:           4
        .value_kind:     by_value
      - .offset:         220
        .size:           4
        .value_kind:     by_value
      - .offset:         224
        .size:           4
        .value_kind:     hidden_block_count_x
      - .offset:         228
        .size:           4
        .value_kind:     hidden_block_count_y
      - .offset:         232
        .size:           4
        .value_kind:     hidden_block_count_z
      - .offset:         236
        .size:           2
        .value_kind:     hidden_group_size_x
      - .offset:         238
        .size:           2
        .value_kind:     hidden_group_size_y
      - .offset:         240
        .size:           2
        .value_kind:     hidden_group_size_z
      - .offset:         242
        .size:           2
        .value_kind:     hidden_remainder_x
      - .offset:         244
        .size:           2
        .value_kind:     hidden_remainder_y
      - .offset:         246
        .size:           2
        .value_kind:     hidden_remainder_z
      - .offset:         264
        .size:           8
        .value_kind:     hidden_global_offset_x
      - .offset:         272
        .size:           8
        .value_kind:     hidden_global_offset_y
      - .offset:         280
        .size:           8
        .value_kind:     hidden_global_offset_z
      - .offset:         288
        .size:           2
        .value_kind:     hidden_grid_dims
    .group_segment_fixed_size: 0
    .kernarg_segment_align: 8
    .kernarg_segment_size: 480
    .language:       OpenCL C
    .language_version:
      - 2
      - 0
    .max_flat_workgroup_size: 1024
    .name:           naive_conv_ab_nonpacked_fwd_nchw_float_double_float_1
    .private_segment_fixed_size: 0
    .sgpr_count:     71
    .sgpr_spill_count: 0
    .symbol:         naive_conv_ab_nonpacked_fwd_nchw_float_double_float_1.kd
    .uniform_work_group_size: 1
    .uses_dynamic_stack: false
    .vgpr_count:     14
    .vgpr_spill_count: 0
    .wavefront_size: 32
    .workgroup_processor_mode: 1
  - .args:
      - .actual_access:  read_only
        .address_space:  global
        .offset:         0
        .size:           8
        .value_kind:     global_buffer
      - .actual_access:  read_only
        .address_space:  global
        .offset:         8
        .size:           8
        .value_kind:     global_buffer
      - .offset:         16
        .size:           8
        .value_kind:     by_value
      - .offset:         24
        .size:           8
        .value_kind:     by_value
      - .address_space:  global
        .offset:         32
        .size:           8
        .value_kind:     global_buffer
      - .offset:         40
        .size:           40
        .value_kind:     by_value
      - .offset:         80
        .size:           40
        .value_kind:     by_value
      - .offset:         120
        .size:           40
        .value_kind:     by_value
      - .offset:         160
        .size:           4
        .value_kind:     by_value
      - .offset:         164
        .size:           4
        .value_kind:     by_value
      - .offset:         168
        .size:           4
        .value_kind:     by_value
      - .offset:         172
        .size:           4
        .value_kind:     by_value
      - .offset:         176
        .size:           4
        .value_kind:     by_value
      - .offset:         180
        .size:           4
        .value_kind:     by_value
      - .offset:         184
        .size:           4
        .value_kind:     by_value
      - .offset:         188
        .size:           4
        .value_kind:     by_value
      - .offset:         192
        .size:           4
        .value_kind:     by_value
      - .offset:         196
        .size:           4
        .value_kind:     by_value
      - .offset:         200
        .size:           4
        .value_kind:     by_value
      - .offset:         204
        .size:           4
        .value_kind:     by_value
      - .offset:         208
        .size:           4
        .value_kind:     by_value
      - .offset:         212
        .size:           4
        .value_kind:     by_value
      - .offset:         216
        .size:           4
        .value_kind:     by_value
      - .offset:         220
        .size:           4
        .value_kind:     by_value
      - .offset:         224
        .size:           4
        .value_kind:     hidden_block_count_x
      - .offset:         228
        .size:           4
        .value_kind:     hidden_block_count_y
      - .offset:         232
        .size:           4
        .value_kind:     hidden_block_count_z
      - .offset:         236
        .size:           2
        .value_kind:     hidden_group_size_x
      - .offset:         238
        .size:           2
        .value_kind:     hidden_group_size_y
      - .offset:         240
        .size:           2
        .value_kind:     hidden_group_size_z
      - .offset:         242
        .size:           2
        .value_kind:     hidden_remainder_x
      - .offset:         244
        .size:           2
        .value_kind:     hidden_remainder_y
      - .offset:         246
        .size:           2
        .value_kind:     hidden_remainder_z
      - .offset:         264
        .size:           8
        .value_kind:     hidden_global_offset_x
      - .offset:         272
        .size:           8
        .value_kind:     hidden_global_offset_y
      - .offset:         280
        .size:           8
        .value_kind:     hidden_global_offset_z
      - .offset:         288
        .size:           2
        .value_kind:     hidden_grid_dims
    .group_segment_fixed_size: 0
    .kernarg_segment_align: 8
    .kernarg_segment_size: 480
    .language:       OpenCL C
    .language_version:
      - 2
      - 0
    .max_flat_workgroup_size: 1024
    .name:           naive_conv_ab_packed_fwd_nchw_half_double_half_0
    .private_segment_fixed_size: 0
    .sgpr_count:     56
    .sgpr_spill_count: 0
    .symbol:         naive_conv_ab_packed_fwd_nchw_half_double_half_0.kd
    .uniform_work_group_size: 1
    .uses_dynamic_stack: false
    .vgpr_count:     16
    .vgpr_spill_count: 0
    .wavefront_size: 32
    .workgroup_processor_mode: 1
  - .args:
      - .actual_access:  read_only
        .address_space:  global
        .offset:         0
        .size:           8
        .value_kind:     global_buffer
      - .actual_access:  read_only
        .address_space:  global
        .offset:         8
        .size:           8
        .value_kind:     global_buffer
      - .offset:         16
        .size:           8
        .value_kind:     by_value
      - .offset:         24
        .size:           8
        .value_kind:     by_value
      - .address_space:  global
        .offset:         32
        .size:           8
        .value_kind:     global_buffer
      - .offset:         40
        .size:           40
        .value_kind:     by_value
      - .offset:         80
        .size:           40
        .value_kind:     by_value
      - .offset:         120
        .size:           40
        .value_kind:     by_value
      - .offset:         160
        .size:           4
        .value_kind:     by_value
      - .offset:         164
        .size:           4
        .value_kind:     by_value
      - .offset:         168
        .size:           4
        .value_kind:     by_value
      - .offset:         172
        .size:           4
        .value_kind:     by_value
      - .offset:         176
        .size:           4
        .value_kind:     by_value
      - .offset:         180
        .size:           4
        .value_kind:     by_value
      - .offset:         184
        .size:           4
        .value_kind:     by_value
      - .offset:         188
        .size:           4
        .value_kind:     by_value
      - .offset:         192
        .size:           4
        .value_kind:     by_value
      - .offset:         196
        .size:           4
        .value_kind:     by_value
      - .offset:         200
        .size:           4
        .value_kind:     by_value
      - .offset:         204
        .size:           4
        .value_kind:     by_value
      - .offset:         208
        .size:           4
        .value_kind:     by_value
      - .offset:         212
        .size:           4
        .value_kind:     by_value
      - .offset:         216
        .size:           4
        .value_kind:     by_value
      - .offset:         220
        .size:           4
        .value_kind:     by_value
      - .offset:         224
        .size:           4
        .value_kind:     hidden_block_count_x
      - .offset:         228
        .size:           4
        .value_kind:     hidden_block_count_y
      - .offset:         232
        .size:           4
        .value_kind:     hidden_block_count_z
      - .offset:         236
        .size:           2
        .value_kind:     hidden_group_size_x
      - .offset:         238
        .size:           2
        .value_kind:     hidden_group_size_y
      - .offset:         240
        .size:           2
        .value_kind:     hidden_group_size_z
      - .offset:         242
        .size:           2
        .value_kind:     hidden_remainder_x
      - .offset:         244
        .size:           2
        .value_kind:     hidden_remainder_y
      - .offset:         246
        .size:           2
        .value_kind:     hidden_remainder_z
      - .offset:         264
        .size:           8
        .value_kind:     hidden_global_offset_x
      - .offset:         272
        .size:           8
        .value_kind:     hidden_global_offset_y
      - .offset:         280
        .size:           8
        .value_kind:     hidden_global_offset_z
      - .offset:         288
        .size:           2
        .value_kind:     hidden_grid_dims
    .group_segment_fixed_size: 0
    .kernarg_segment_align: 8
    .kernarg_segment_size: 480
    .language:       OpenCL C
    .language_version:
      - 2
      - 0
    .max_flat_workgroup_size: 1024
    .name:           naive_conv_ab_nonpacked_fwd_nchw_half_double_half_0
    .private_segment_fixed_size: 0
    .sgpr_count:     71
    .sgpr_spill_count: 0
    .symbol:         naive_conv_ab_nonpacked_fwd_nchw_half_double_half_0.kd
    .uniform_work_group_size: 1
    .uses_dynamic_stack: false
    .vgpr_count:     16
    .vgpr_spill_count: 0
    .wavefront_size: 32
    .workgroup_processor_mode: 1
  - .args:
      - .actual_access:  read_only
        .address_space:  global
        .offset:         0
        .size:           8
        .value_kind:     global_buffer
      - .actual_access:  read_only
        .address_space:  global
        .offset:         8
        .size:           8
        .value_kind:     global_buffer
      - .offset:         16
        .size:           8
        .value_kind:     by_value
      - .offset:         24
        .size:           8
        .value_kind:     by_value
      - .address_space:  global
        .offset:         32
        .size:           8
        .value_kind:     global_buffer
      - .offset:         40
        .size:           40
        .value_kind:     by_value
      - .offset:         80
        .size:           40
        .value_kind:     by_value
      - .offset:         120
        .size:           40
        .value_kind:     by_value
      - .offset:         160
        .size:           4
        .value_kind:     by_value
      - .offset:         164
        .size:           4
        .value_kind:     by_value
      - .offset:         168
        .size:           4
        .value_kind:     by_value
      - .offset:         172
        .size:           4
        .value_kind:     by_value
      - .offset:         176
        .size:           4
        .value_kind:     by_value
      - .offset:         180
        .size:           4
        .value_kind:     by_value
      - .offset:         184
        .size:           4
        .value_kind:     by_value
      - .offset:         188
        .size:           4
        .value_kind:     by_value
      - .offset:         192
        .size:           4
        .value_kind:     by_value
      - .offset:         196
        .size:           4
        .value_kind:     by_value
      - .offset:         200
        .size:           4
        .value_kind:     by_value
      - .offset:         204
        .size:           4
        .value_kind:     by_value
      - .offset:         208
        .size:           4
        .value_kind:     by_value
      - .offset:         212
        .size:           4
        .value_kind:     by_value
      - .offset:         216
        .size:           4
        .value_kind:     by_value
      - .offset:         220
        .size:           4
        .value_kind:     by_value
      - .offset:         224
        .size:           4
        .value_kind:     hidden_block_count_x
      - .offset:         228
        .size:           4
        .value_kind:     hidden_block_count_y
      - .offset:         232
        .size:           4
        .value_kind:     hidden_block_count_z
      - .offset:         236
        .size:           2
        .value_kind:     hidden_group_size_x
      - .offset:         238
        .size:           2
        .value_kind:     hidden_group_size_y
      - .offset:         240
        .size:           2
        .value_kind:     hidden_group_size_z
      - .offset:         242
        .size:           2
        .value_kind:     hidden_remainder_x
      - .offset:         244
        .size:           2
        .value_kind:     hidden_remainder_y
      - .offset:         246
        .size:           2
        .value_kind:     hidden_remainder_z
      - .offset:         264
        .size:           8
        .value_kind:     hidden_global_offset_x
      - .offset:         272
        .size:           8
        .value_kind:     hidden_global_offset_y
      - .offset:         280
        .size:           8
        .value_kind:     hidden_global_offset_z
      - .offset:         288
        .size:           2
        .value_kind:     hidden_grid_dims
    .group_segment_fixed_size: 0
    .kernarg_segment_align: 8
    .kernarg_segment_size: 480
    .language:       OpenCL C
    .language_version:
      - 2
      - 0
    .max_flat_workgroup_size: 1024
    .name:           naive_conv_ab_packed_fwd_nchw_ushort_double_ushort_0
    .private_segment_fixed_size: 0
    .sgpr_count:     56
    .sgpr_spill_count: 0
    .symbol:         naive_conv_ab_packed_fwd_nchw_ushort_double_ushort_0.kd
    .uniform_work_group_size: 1
    .uses_dynamic_stack: false
    .vgpr_count:     15
    .vgpr_spill_count: 0
    .wavefront_size: 32
    .workgroup_processor_mode: 1
  - .args:
      - .actual_access:  read_only
        .address_space:  global
        .offset:         0
        .size:           8
        .value_kind:     global_buffer
      - .actual_access:  read_only
        .address_space:  global
        .offset:         8
        .size:           8
        .value_kind:     global_buffer
      - .offset:         16
        .size:           8
        .value_kind:     by_value
      - .offset:         24
        .size:           8
        .value_kind:     by_value
      - .address_space:  global
        .offset:         32
        .size:           8
        .value_kind:     global_buffer
      - .offset:         40
        .size:           40
        .value_kind:     by_value
      - .offset:         80
        .size:           40
        .value_kind:     by_value
      - .offset:         120
        .size:           40
        .value_kind:     by_value
      - .offset:         160
        .size:           4
        .value_kind:     by_value
      - .offset:         164
        .size:           4
        .value_kind:     by_value
      - .offset:         168
        .size:           4
        .value_kind:     by_value
      - .offset:         172
        .size:           4
        .value_kind:     by_value
      - .offset:         176
        .size:           4
        .value_kind:     by_value
      - .offset:         180
        .size:           4
        .value_kind:     by_value
      - .offset:         184
        .size:           4
        .value_kind:     by_value
      - .offset:         188
        .size:           4
        .value_kind:     by_value
      - .offset:         192
        .size:           4
        .value_kind:     by_value
      - .offset:         196
        .size:           4
        .value_kind:     by_value
      - .offset:         200
        .size:           4
        .value_kind:     by_value
      - .offset:         204
        .size:           4
        .value_kind:     by_value
      - .offset:         208
        .size:           4
        .value_kind:     by_value
      - .offset:         212
        .size:           4
        .value_kind:     by_value
      - .offset:         216
        .size:           4
        .value_kind:     by_value
      - .offset:         220
        .size:           4
        .value_kind:     by_value
      - .offset:         224
        .size:           4
        .value_kind:     hidden_block_count_x
      - .offset:         228
        .size:           4
        .value_kind:     hidden_block_count_y
      - .offset:         232
        .size:           4
        .value_kind:     hidden_block_count_z
      - .offset:         236
        .size:           2
        .value_kind:     hidden_group_size_x
      - .offset:         238
        .size:           2
        .value_kind:     hidden_group_size_y
      - .offset:         240
        .size:           2
        .value_kind:     hidden_group_size_z
      - .offset:         242
        .size:           2
        .value_kind:     hidden_remainder_x
      - .offset:         244
        .size:           2
        .value_kind:     hidden_remainder_y
      - .offset:         246
        .size:           2
        .value_kind:     hidden_remainder_z
      - .offset:         264
        .size:           8
        .value_kind:     hidden_global_offset_x
      - .offset:         272
        .size:           8
        .value_kind:     hidden_global_offset_y
      - .offset:         280
        .size:           8
        .value_kind:     hidden_global_offset_z
      - .offset:         288
        .size:           2
        .value_kind:     hidden_grid_dims
    .group_segment_fixed_size: 0
    .kernarg_segment_align: 8
    .kernarg_segment_size: 480
    .language:       OpenCL C
    .language_version:
      - 2
      - 0
    .max_flat_workgroup_size: 1024
    .name:           naive_conv_ab_nonpacked_fwd_nchw_ushort_double_ushort_0
    .private_segment_fixed_size: 0
    .sgpr_count:     71
    .sgpr_spill_count: 0
    .symbol:         naive_conv_ab_nonpacked_fwd_nchw_ushort_double_ushort_0.kd
    .uniform_work_group_size: 1
    .uses_dynamic_stack: false
    .vgpr_count:     14
    .vgpr_spill_count: 0
    .wavefront_size: 32
    .workgroup_processor_mode: 1
  - .args:
      - .actual_access:  read_only
        .address_space:  global
        .offset:         0
        .size:           8
        .value_kind:     global_buffer
      - .actual_access:  read_only
        .address_space:  global
        .offset:         8
        .size:           8
        .value_kind:     global_buffer
      - .offset:         16
        .size:           8
        .value_kind:     by_value
      - .offset:         24
        .size:           8
        .value_kind:     by_value
      - .address_space:  global
        .offset:         32
        .size:           8
        .value_kind:     global_buffer
      - .offset:         40
        .size:           40
        .value_kind:     by_value
      - .offset:         80
        .size:           40
        .value_kind:     by_value
      - .offset:         120
        .size:           40
        .value_kind:     by_value
      - .offset:         160
        .size:           4
        .value_kind:     by_value
      - .offset:         164
        .size:           4
        .value_kind:     by_value
      - .offset:         168
        .size:           4
        .value_kind:     by_value
      - .offset:         172
        .size:           4
        .value_kind:     by_value
      - .offset:         176
        .size:           4
        .value_kind:     by_value
      - .offset:         180
        .size:           4
        .value_kind:     by_value
      - .offset:         184
        .size:           4
        .value_kind:     by_value
      - .offset:         188
        .size:           4
        .value_kind:     by_value
      - .offset:         192
        .size:           4
        .value_kind:     by_value
      - .offset:         196
        .size:           4
        .value_kind:     by_value
      - .offset:         200
        .size:           4
        .value_kind:     by_value
      - .offset:         204
        .size:           4
        .value_kind:     by_value
      - .offset:         208
        .size:           4
        .value_kind:     by_value
      - .offset:         212
        .size:           4
        .value_kind:     by_value
      - .offset:         216
        .size:           4
        .value_kind:     by_value
      - .offset:         220
        .size:           4
        .value_kind:     by_value
      - .offset:         224
        .size:           4
        .value_kind:     hidden_block_count_x
      - .offset:         228
        .size:           4
        .value_kind:     hidden_block_count_y
      - .offset:         232
        .size:           4
        .value_kind:     hidden_block_count_z
      - .offset:         236
        .size:           2
        .value_kind:     hidden_group_size_x
      - .offset:         238
        .size:           2
        .value_kind:     hidden_group_size_y
      - .offset:         240
        .size:           2
        .value_kind:     hidden_group_size_z
      - .offset:         242
        .size:           2
        .value_kind:     hidden_remainder_x
      - .offset:         244
        .size:           2
        .value_kind:     hidden_remainder_y
      - .offset:         246
        .size:           2
        .value_kind:     hidden_remainder_z
      - .offset:         264
        .size:           8
        .value_kind:     hidden_global_offset_x
      - .offset:         272
        .size:           8
        .value_kind:     hidden_global_offset_y
      - .offset:         280
        .size:           8
        .value_kind:     hidden_global_offset_z
      - .offset:         288
        .size:           2
        .value_kind:     hidden_grid_dims
    .group_segment_fixed_size: 0
    .kernarg_segment_align: 8
    .kernarg_segment_size: 480
    .language:       OpenCL C
    .language_version:
      - 2
      - 0
    .max_flat_workgroup_size: 1024
    .name:           naive_conv_ab_packed_fwd_nchw_int8_t_int32_t_int8_t_0
    .private_segment_fixed_size: 0
    .sgpr_count:     64
    .sgpr_spill_count: 0
    .symbol:         naive_conv_ab_packed_fwd_nchw_int8_t_int32_t_int8_t_0.kd
    .uniform_work_group_size: 1
    .uses_dynamic_stack: false
    .vgpr_count:     13
    .vgpr_spill_count: 0
    .wavefront_size: 32
    .workgroup_processor_mode: 1
  - .args:
      - .actual_access:  read_only
        .address_space:  global
        .offset:         0
        .size:           8
        .value_kind:     global_buffer
      - .actual_access:  read_only
        .address_space:  global
        .offset:         8
        .size:           8
        .value_kind:     global_buffer
      - .offset:         16
        .size:           8
        .value_kind:     by_value
      - .offset:         24
        .size:           8
        .value_kind:     by_value
      - .address_space:  global
        .offset:         32
        .size:           8
        .value_kind:     global_buffer
      - .offset:         40
        .size:           40
        .value_kind:     by_value
      - .offset:         80
        .size:           40
        .value_kind:     by_value
      - .offset:         120
        .size:           40
        .value_kind:     by_value
      - .offset:         160
        .size:           4
        .value_kind:     by_value
      - .offset:         164
        .size:           4
        .value_kind:     by_value
      - .offset:         168
        .size:           4
        .value_kind:     by_value
      - .offset:         172
        .size:           4
        .value_kind:     by_value
      - .offset:         176
        .size:           4
        .value_kind:     by_value
      - .offset:         180
        .size:           4
        .value_kind:     by_value
      - .offset:         184
        .size:           4
        .value_kind:     by_value
      - .offset:         188
        .size:           4
        .value_kind:     by_value
      - .offset:         192
        .size:           4
        .value_kind:     by_value
      - .offset:         196
        .size:           4
        .value_kind:     by_value
      - .offset:         200
        .size:           4
        .value_kind:     by_value
      - .offset:         204
        .size:           4
        .value_kind:     by_value
      - .offset:         208
        .size:           4
        .value_kind:     by_value
      - .offset:         212
        .size:           4
        .value_kind:     by_value
      - .offset:         216
        .size:           4
        .value_kind:     by_value
      - .offset:         220
        .size:           4
        .value_kind:     by_value
      - .offset:         224
        .size:           4
        .value_kind:     hidden_block_count_x
      - .offset:         228
        .size:           4
        .value_kind:     hidden_block_count_y
      - .offset:         232
        .size:           4
        .value_kind:     hidden_block_count_z
      - .offset:         236
        .size:           2
        .value_kind:     hidden_group_size_x
      - .offset:         238
        .size:           2
        .value_kind:     hidden_group_size_y
      - .offset:         240
        .size:           2
        .value_kind:     hidden_group_size_z
      - .offset:         242
        .size:           2
        .value_kind:     hidden_remainder_x
      - .offset:         244
        .size:           2
        .value_kind:     hidden_remainder_y
      - .offset:         246
        .size:           2
        .value_kind:     hidden_remainder_z
      - .offset:         264
        .size:           8
        .value_kind:     hidden_global_offset_x
      - .offset:         272
        .size:           8
        .value_kind:     hidden_global_offset_y
      - .offset:         280
        .size:           8
        .value_kind:     hidden_global_offset_z
      - .offset:         288
        .size:           2
        .value_kind:     hidden_grid_dims
    .group_segment_fixed_size: 0
    .kernarg_segment_align: 8
    .kernarg_segment_size: 480
    .language:       OpenCL C
    .language_version:
      - 2
      - 0
    .max_flat_workgroup_size: 1024
    .name:           naive_conv_ab_nonpacked_fwd_nchw_int8_t_int32_t_int8_t_0
    .private_segment_fixed_size: 0
    .sgpr_count:     72
    .sgpr_spill_count: 0
    .symbol:         naive_conv_ab_nonpacked_fwd_nchw_int8_t_int32_t_int8_t_0.kd
    .uniform_work_group_size: 1
    .uses_dynamic_stack: false
    .vgpr_count:     14
    .vgpr_spill_count: 0
    .wavefront_size: 32
    .workgroup_processor_mode: 1
  - .args:
      - .actual_access:  read_only
        .address_space:  global
        .offset:         0
        .size:           8
        .value_kind:     global_buffer
      - .actual_access:  read_only
        .address_space:  global
        .offset:         8
        .size:           8
        .value_kind:     global_buffer
      - .offset:         16
        .size:           8
        .value_kind:     by_value
      - .offset:         24
        .size:           8
        .value_kind:     by_value
      - .address_space:  global
        .offset:         32
        .size:           8
        .value_kind:     global_buffer
      - .offset:         40
        .size:           40
        .value_kind:     by_value
      - .offset:         80
        .size:           40
        .value_kind:     by_value
      - .offset:         120
        .size:           40
        .value_kind:     by_value
      - .offset:         160
        .size:           4
        .value_kind:     by_value
      - .offset:         164
        .size:           4
        .value_kind:     by_value
      - .offset:         168
        .size:           4
        .value_kind:     by_value
      - .offset:         172
        .size:           4
        .value_kind:     by_value
      - .offset:         176
        .size:           4
        .value_kind:     by_value
      - .offset:         180
        .size:           4
        .value_kind:     by_value
      - .offset:         184
        .size:           4
        .value_kind:     by_value
      - .offset:         188
        .size:           4
        .value_kind:     by_value
      - .offset:         192
        .size:           4
        .value_kind:     by_value
      - .offset:         196
        .size:           4
        .value_kind:     by_value
      - .offset:         200
        .size:           4
        .value_kind:     by_value
      - .offset:         204
        .size:           4
        .value_kind:     by_value
      - .offset:         208
        .size:           4
        .value_kind:     by_value
      - .offset:         212
        .size:           4
        .value_kind:     by_value
      - .offset:         216
        .size:           4
        .value_kind:     by_value
      - .offset:         220
        .size:           4
        .value_kind:     by_value
      - .offset:         224
        .size:           4
        .value_kind:     hidden_block_count_x
      - .offset:         228
        .size:           4
        .value_kind:     hidden_block_count_y
      - .offset:         232
        .size:           4
        .value_kind:     hidden_block_count_z
      - .offset:         236
        .size:           2
        .value_kind:     hidden_group_size_x
      - .offset:         238
        .size:           2
        .value_kind:     hidden_group_size_y
      - .offset:         240
        .size:           2
        .value_kind:     hidden_group_size_z
      - .offset:         242
        .size:           2
        .value_kind:     hidden_remainder_x
      - .offset:         244
        .size:           2
        .value_kind:     hidden_remainder_y
      - .offset:         246
        .size:           2
        .value_kind:     hidden_remainder_z
      - .offset:         264
        .size:           8
        .value_kind:     hidden_global_offset_x
      - .offset:         272
        .size:           8
        .value_kind:     hidden_global_offset_y
      - .offset:         280
        .size:           8
        .value_kind:     hidden_global_offset_z
      - .offset:         288
        .size:           2
        .value_kind:     hidden_grid_dims
    .group_segment_fixed_size: 0
    .kernarg_segment_align: 8
    .kernarg_segment_size: 480
    .language:       OpenCL C
    .language_version:
      - 2
      - 0
    .max_flat_workgroup_size: 1024
    .name:           naive_conv_ab_packed_fwd_nchw_int8_t_int32_t_int32_t_0
    .private_segment_fixed_size: 0
    .sgpr_count:     52
    .sgpr_spill_count: 0
    .symbol:         naive_conv_ab_packed_fwd_nchw_int8_t_int32_t_int32_t_0.kd
    .uniform_work_group_size: 1
    .uses_dynamic_stack: false
    .vgpr_count:     13
    .vgpr_spill_count: 0
    .wavefront_size: 32
    .workgroup_processor_mode: 1
  - .args:
      - .actual_access:  read_only
        .address_space:  global
        .offset:         0
        .size:           8
        .value_kind:     global_buffer
      - .actual_access:  read_only
        .address_space:  global
        .offset:         8
        .size:           8
        .value_kind:     global_buffer
      - .offset:         16
        .size:           8
        .value_kind:     by_value
      - .offset:         24
        .size:           8
        .value_kind:     by_value
      - .address_space:  global
        .offset:         32
        .size:           8
        .value_kind:     global_buffer
      - .offset:         40
        .size:           40
        .value_kind:     by_value
      - .offset:         80
        .size:           40
        .value_kind:     by_value
      - .offset:         120
        .size:           40
        .value_kind:     by_value
      - .offset:         160
        .size:           4
        .value_kind:     by_value
      - .offset:         164
        .size:           4
        .value_kind:     by_value
      - .offset:         168
        .size:           4
        .value_kind:     by_value
      - .offset:         172
        .size:           4
        .value_kind:     by_value
      - .offset:         176
        .size:           4
        .value_kind:     by_value
      - .offset:         180
        .size:           4
        .value_kind:     by_value
      - .offset:         184
        .size:           4
        .value_kind:     by_value
      - .offset:         188
        .size:           4
        .value_kind:     by_value
      - .offset:         192
        .size:           4
        .value_kind:     by_value
      - .offset:         196
        .size:           4
        .value_kind:     by_value
      - .offset:         200
        .size:           4
        .value_kind:     by_value
      - .offset:         204
        .size:           4
        .value_kind:     by_value
      - .offset:         208
        .size:           4
        .value_kind:     by_value
      - .offset:         212
        .size:           4
        .value_kind:     by_value
      - .offset:         216
        .size:           4
        .value_kind:     by_value
      - .offset:         220
        .size:           4
        .value_kind:     by_value
      - .offset:         224
        .size:           4
        .value_kind:     hidden_block_count_x
      - .offset:         228
        .size:           4
        .value_kind:     hidden_block_count_y
      - .offset:         232
        .size:           4
        .value_kind:     hidden_block_count_z
      - .offset:         236
        .size:           2
        .value_kind:     hidden_group_size_x
      - .offset:         238
        .size:           2
        .value_kind:     hidden_group_size_y
      - .offset:         240
        .size:           2
        .value_kind:     hidden_group_size_z
      - .offset:         242
        .size:           2
        .value_kind:     hidden_remainder_x
      - .offset:         244
        .size:           2
        .value_kind:     hidden_remainder_y
      - .offset:         246
        .size:           2
        .value_kind:     hidden_remainder_z
      - .offset:         264
        .size:           8
        .value_kind:     hidden_global_offset_x
      - .offset:         272
        .size:           8
        .value_kind:     hidden_global_offset_y
      - .offset:         280
        .size:           8
        .value_kind:     hidden_global_offset_z
      - .offset:         288
        .size:           2
        .value_kind:     hidden_grid_dims
    .group_segment_fixed_size: 0
    .kernarg_segment_align: 8
    .kernarg_segment_size: 480
    .language:       OpenCL C
    .language_version:
      - 2
      - 0
    .max_flat_workgroup_size: 1024
    .name:           naive_conv_ab_nonpacked_fwd_nchw_int8_t_int32_t_int32_t_0
    .private_segment_fixed_size: 0
    .sgpr_count:     70
    .sgpr_spill_count: 0
    .symbol:         naive_conv_ab_nonpacked_fwd_nchw_int8_t_int32_t_int32_t_0.kd
    .uniform_work_group_size: 1
    .uses_dynamic_stack: false
    .vgpr_count:     14
    .vgpr_spill_count: 0
    .wavefront_size: 32
    .workgroup_processor_mode: 1
  - .args:
      - .actual_access:  read_only
        .address_space:  global
        .offset:         0
        .size:           8
        .value_kind:     global_buffer
      - .actual_access:  read_only
        .address_space:  global
        .offset:         8
        .size:           8
        .value_kind:     global_buffer
      - .offset:         16
        .size:           8
        .value_kind:     by_value
      - .offset:         24
        .size:           8
        .value_kind:     by_value
      - .address_space:  global
        .offset:         32
        .size:           8
        .value_kind:     global_buffer
      - .offset:         40
        .size:           40
        .value_kind:     by_value
      - .offset:         80
        .size:           40
        .value_kind:     by_value
      - .offset:         120
        .size:           40
        .value_kind:     by_value
      - .offset:         160
        .size:           4
        .value_kind:     by_value
      - .offset:         164
        .size:           4
        .value_kind:     by_value
      - .offset:         168
        .size:           4
        .value_kind:     by_value
      - .offset:         172
        .size:           4
        .value_kind:     by_value
      - .offset:         176
        .size:           4
        .value_kind:     by_value
      - .offset:         180
        .size:           4
        .value_kind:     by_value
      - .offset:         184
        .size:           4
        .value_kind:     by_value
      - .offset:         188
        .size:           4
        .value_kind:     by_value
      - .offset:         192
        .size:           4
        .value_kind:     by_value
      - .offset:         196
        .size:           4
        .value_kind:     by_value
      - .offset:         200
        .size:           4
        .value_kind:     by_value
      - .offset:         204
        .size:           4
        .value_kind:     by_value
      - .offset:         208
        .size:           4
        .value_kind:     by_value
      - .offset:         212
        .size:           4
        .value_kind:     by_value
      - .offset:         216
        .size:           4
        .value_kind:     by_value
      - .offset:         220
        .size:           4
        .value_kind:     by_value
      - .offset:         224
        .size:           4
        .value_kind:     hidden_block_count_x
      - .offset:         228
        .size:           4
        .value_kind:     hidden_block_count_y
      - .offset:         232
        .size:           4
        .value_kind:     hidden_block_count_z
      - .offset:         236
        .size:           2
        .value_kind:     hidden_group_size_x
      - .offset:         238
        .size:           2
        .value_kind:     hidden_group_size_y
      - .offset:         240
        .size:           2
        .value_kind:     hidden_group_size_z
      - .offset:         242
        .size:           2
        .value_kind:     hidden_remainder_x
      - .offset:         244
        .size:           2
        .value_kind:     hidden_remainder_y
      - .offset:         246
        .size:           2
        .value_kind:     hidden_remainder_z
      - .offset:         264
        .size:           8
        .value_kind:     hidden_global_offset_x
      - .offset:         272
        .size:           8
        .value_kind:     hidden_global_offset_y
      - .offset:         280
        .size:           8
        .value_kind:     hidden_global_offset_z
      - .offset:         288
        .size:           2
        .value_kind:     hidden_grid_dims
    .group_segment_fixed_size: 0
    .kernarg_segment_align: 8
    .kernarg_segment_size: 480
    .language:       OpenCL C
    .language_version:
      - 2
      - 0
    .max_flat_workgroup_size: 1024
    .name:           naive_conv_ab_packed_fwd_nchw_int8_t_int32_t_float_0
    .private_segment_fixed_size: 0
    .sgpr_count:     52
    .sgpr_spill_count: 0
    .symbol:         naive_conv_ab_packed_fwd_nchw_int8_t_int32_t_float_0.kd
    .uniform_work_group_size: 1
    .uses_dynamic_stack: false
    .vgpr_count:     13
    .vgpr_spill_count: 0
    .wavefront_size: 32
    .workgroup_processor_mode: 1
  - .args:
      - .actual_access:  read_only
        .address_space:  global
        .offset:         0
        .size:           8
        .value_kind:     global_buffer
      - .actual_access:  read_only
        .address_space:  global
        .offset:         8
        .size:           8
        .value_kind:     global_buffer
      - .offset:         16
        .size:           8
        .value_kind:     by_value
      - .offset:         24
        .size:           8
        .value_kind:     by_value
      - .address_space:  global
        .offset:         32
        .size:           8
        .value_kind:     global_buffer
      - .offset:         40
        .size:           40
        .value_kind:     by_value
      - .offset:         80
        .size:           40
        .value_kind:     by_value
      - .offset:         120
        .size:           40
        .value_kind:     by_value
      - .offset:         160
        .size:           4
        .value_kind:     by_value
      - .offset:         164
        .size:           4
        .value_kind:     by_value
      - .offset:         168
        .size:           4
        .value_kind:     by_value
      - .offset:         172
        .size:           4
        .value_kind:     by_value
      - .offset:         176
        .size:           4
        .value_kind:     by_value
      - .offset:         180
        .size:           4
        .value_kind:     by_value
      - .offset:         184
        .size:           4
        .value_kind:     by_value
      - .offset:         188
        .size:           4
        .value_kind:     by_value
      - .offset:         192
        .size:           4
        .value_kind:     by_value
      - .offset:         196
        .size:           4
        .value_kind:     by_value
      - .offset:         200
        .size:           4
        .value_kind:     by_value
      - .offset:         204
        .size:           4
        .value_kind:     by_value
      - .offset:         208
        .size:           4
        .value_kind:     by_value
      - .offset:         212
        .size:           4
        .value_kind:     by_value
      - .offset:         216
        .size:           4
        .value_kind:     by_value
      - .offset:         220
        .size:           4
        .value_kind:     by_value
      - .offset:         224
        .size:           4
        .value_kind:     hidden_block_count_x
      - .offset:         228
        .size:           4
        .value_kind:     hidden_block_count_y
      - .offset:         232
        .size:           4
        .value_kind:     hidden_block_count_z
      - .offset:         236
        .size:           2
        .value_kind:     hidden_group_size_x
      - .offset:         238
        .size:           2
        .value_kind:     hidden_group_size_y
      - .offset:         240
        .size:           2
        .value_kind:     hidden_group_size_z
      - .offset:         242
        .size:           2
        .value_kind:     hidden_remainder_x
      - .offset:         244
        .size:           2
        .value_kind:     hidden_remainder_y
      - .offset:         246
        .size:           2
        .value_kind:     hidden_remainder_z
      - .offset:         264
        .size:           8
        .value_kind:     hidden_global_offset_x
      - .offset:         272
        .size:           8
        .value_kind:     hidden_global_offset_y
      - .offset:         280
        .size:           8
        .value_kind:     hidden_global_offset_z
      - .offset:         288
        .size:           2
        .value_kind:     hidden_grid_dims
    .group_segment_fixed_size: 0
    .kernarg_segment_align: 8
    .kernarg_segment_size: 480
    .language:       OpenCL C
    .language_version:
      - 2
      - 0
    .max_flat_workgroup_size: 1024
    .name:           naive_conv_ab_nonpacked_fwd_nchw_int8_t_int32_t_float_0
    .private_segment_fixed_size: 0
    .sgpr_count:     72
    .sgpr_spill_count: 0
    .symbol:         naive_conv_ab_nonpacked_fwd_nchw_int8_t_int32_t_float_0.kd
    .uniform_work_group_size: 1
    .uses_dynamic_stack: false
    .vgpr_count:     14
    .vgpr_spill_count: 0
    .wavefront_size: 32
    .workgroup_processor_mode: 1
  - .args:
      - .actual_access:  read_only
        .address_space:  global
        .offset:         0
        .size:           8
        .value_kind:     global_buffer
      - .actual_access:  read_only
        .address_space:  global
        .offset:         8
        .size:           8
        .value_kind:     global_buffer
      - .offset:         16
        .size:           8
        .value_kind:     by_value
      - .offset:         24
        .size:           8
        .value_kind:     by_value
      - .address_space:  global
        .offset:         32
        .size:           8
        .value_kind:     global_buffer
      - .offset:         40
        .size:           40
        .value_kind:     by_value
      - .offset:         80
        .size:           40
        .value_kind:     by_value
      - .offset:         120
        .size:           40
        .value_kind:     by_value
      - .offset:         160
        .size:           4
        .value_kind:     by_value
      - .offset:         164
        .size:           4
        .value_kind:     by_value
      - .offset:         168
        .size:           4
        .value_kind:     by_value
      - .offset:         172
        .size:           4
        .value_kind:     by_value
      - .offset:         176
        .size:           4
        .value_kind:     by_value
      - .offset:         180
        .size:           4
        .value_kind:     by_value
      - .offset:         184
        .size:           4
        .value_kind:     by_value
      - .offset:         188
        .size:           4
        .value_kind:     by_value
      - .offset:         192
        .size:           4
        .value_kind:     by_value
      - .offset:         196
        .size:           4
        .value_kind:     by_value
      - .offset:         200
        .size:           4
        .value_kind:     by_value
      - .offset:         204
        .size:           4
        .value_kind:     by_value
      - .offset:         208
        .size:           4
        .value_kind:     by_value
      - .offset:         212
        .size:           4
        .value_kind:     by_value
      - .offset:         216
        .size:           4
        .value_kind:     by_value
      - .offset:         220
        .size:           4
        .value_kind:     by_value
      - .offset:         224
        .size:           4
        .value_kind:     hidden_block_count_x
      - .offset:         228
        .size:           4
        .value_kind:     hidden_block_count_y
      - .offset:         232
        .size:           4
        .value_kind:     hidden_block_count_z
      - .offset:         236
        .size:           2
        .value_kind:     hidden_group_size_x
      - .offset:         238
        .size:           2
        .value_kind:     hidden_group_size_y
      - .offset:         240
        .size:           2
        .value_kind:     hidden_group_size_z
      - .offset:         242
        .size:           2
        .value_kind:     hidden_remainder_x
      - .offset:         244
        .size:           2
        .value_kind:     hidden_remainder_y
      - .offset:         246
        .size:           2
        .value_kind:     hidden_remainder_z
      - .offset:         264
        .size:           8
        .value_kind:     hidden_global_offset_x
      - .offset:         272
        .size:           8
        .value_kind:     hidden_global_offset_y
      - .offset:         280
        .size:           8
        .value_kind:     hidden_global_offset_z
      - .offset:         288
        .size:           2
        .value_kind:     hidden_grid_dims
    .group_segment_fixed_size: 0
    .kernarg_segment_align: 8
    .kernarg_segment_size: 480
    .language:       OpenCL C
    .language_version:
      - 2
      - 0
    .max_flat_workgroup_size: 1024
    .name:           naive_conv_ab_packed_fwd_nhwc_float_double_float_0
    .private_segment_fixed_size: 0
    .sgpr_count:     60
    .sgpr_spill_count: 0
    .symbol:         naive_conv_ab_packed_fwd_nhwc_float_double_float_0.kd
    .uniform_work_group_size: 1
    .uses_dynamic_stack: false
    .vgpr_count:     24
    .vgpr_spill_count: 0
    .wavefront_size: 32
    .workgroup_processor_mode: 1
  - .args:
      - .actual_access:  read_only
        .address_space:  global
        .offset:         0
        .size:           8
        .value_kind:     global_buffer
      - .actual_access:  read_only
        .address_space:  global
        .offset:         8
        .size:           8
        .value_kind:     global_buffer
      - .offset:         16
        .size:           8
        .value_kind:     by_value
      - .offset:         24
        .size:           8
        .value_kind:     by_value
      - .address_space:  global
        .offset:         32
        .size:           8
        .value_kind:     global_buffer
      - .offset:         40
        .size:           40
        .value_kind:     by_value
      - .offset:         80
        .size:           40
        .value_kind:     by_value
      - .offset:         120
        .size:           40
        .value_kind:     by_value
      - .offset:         160
        .size:           4
        .value_kind:     by_value
      - .offset:         164
        .size:           4
        .value_kind:     by_value
      - .offset:         168
        .size:           4
        .value_kind:     by_value
      - .offset:         172
        .size:           4
        .value_kind:     by_value
      - .offset:         176
        .size:           4
        .value_kind:     by_value
      - .offset:         180
        .size:           4
        .value_kind:     by_value
      - .offset:         184
        .size:           4
        .value_kind:     by_value
      - .offset:         188
        .size:           4
        .value_kind:     by_value
      - .offset:         192
        .size:           4
        .value_kind:     by_value
      - .offset:         196
        .size:           4
        .value_kind:     by_value
      - .offset:         200
        .size:           4
        .value_kind:     by_value
      - .offset:         204
        .size:           4
        .value_kind:     by_value
      - .offset:         208
        .size:           4
        .value_kind:     by_value
      - .offset:         212
        .size:           4
        .value_kind:     by_value
      - .offset:         216
        .size:           4
        .value_kind:     by_value
      - .offset:         220
        .size:           4
        .value_kind:     by_value
      - .offset:         224
        .size:           4
        .value_kind:     hidden_block_count_x
      - .offset:         228
        .size:           4
        .value_kind:     hidden_block_count_y
      - .offset:         232
        .size:           4
        .value_kind:     hidden_block_count_z
      - .offset:         236
        .size:           2
        .value_kind:     hidden_group_size_x
      - .offset:         238
        .size:           2
        .value_kind:     hidden_group_size_y
      - .offset:         240
        .size:           2
        .value_kind:     hidden_group_size_z
      - .offset:         242
        .size:           2
        .value_kind:     hidden_remainder_x
      - .offset:         244
        .size:           2
        .value_kind:     hidden_remainder_y
      - .offset:         246
        .size:           2
        .value_kind:     hidden_remainder_z
      - .offset:         264
        .size:           8
        .value_kind:     hidden_global_offset_x
      - .offset:         272
        .size:           8
        .value_kind:     hidden_global_offset_y
      - .offset:         280
        .size:           8
        .value_kind:     hidden_global_offset_z
      - .offset:         288
        .size:           2
        .value_kind:     hidden_grid_dims
    .group_segment_fixed_size: 0
    .kernarg_segment_align: 8
    .kernarg_segment_size: 480
    .language:       OpenCL C
    .language_version:
      - 2
      - 0
    .max_flat_workgroup_size: 1024
    .name:           naive_conv_ab_nonpacked_fwd_nhwc_float_double_float_0
    .private_segment_fixed_size: 0
    .sgpr_count:     73
    .sgpr_spill_count: 0
    .symbol:         naive_conv_ab_nonpacked_fwd_nhwc_float_double_float_0.kd
    .uniform_work_group_size: 1
    .uses_dynamic_stack: false
    .vgpr_count:     26
    .vgpr_spill_count: 0
    .wavefront_size: 32
    .workgroup_processor_mode: 1
  - .args:
      - .actual_access:  read_only
        .address_space:  global
        .offset:         0
        .size:           8
        .value_kind:     global_buffer
      - .actual_access:  read_only
        .address_space:  global
        .offset:         8
        .size:           8
        .value_kind:     global_buffer
      - .offset:         16
        .size:           8
        .value_kind:     by_value
      - .offset:         24
        .size:           8
        .value_kind:     by_value
      - .address_space:  global
        .offset:         32
        .size:           8
        .value_kind:     global_buffer
      - .offset:         40
        .size:           40
        .value_kind:     by_value
      - .offset:         80
        .size:           40
        .value_kind:     by_value
      - .offset:         120
        .size:           40
        .value_kind:     by_value
      - .offset:         160
        .size:           4
        .value_kind:     by_value
      - .offset:         164
        .size:           4
        .value_kind:     by_value
      - .offset:         168
        .size:           4
        .value_kind:     by_value
      - .offset:         172
        .size:           4
        .value_kind:     by_value
      - .offset:         176
        .size:           4
        .value_kind:     by_value
      - .offset:         180
        .size:           4
        .value_kind:     by_value
      - .offset:         184
        .size:           4
        .value_kind:     by_value
      - .offset:         188
        .size:           4
        .value_kind:     by_value
      - .offset:         192
        .size:           4
        .value_kind:     by_value
      - .offset:         196
        .size:           4
        .value_kind:     by_value
      - .offset:         200
        .size:           4
        .value_kind:     by_value
      - .offset:         204
        .size:           4
        .value_kind:     by_value
      - .offset:         208
        .size:           4
        .value_kind:     by_value
      - .offset:         212
        .size:           4
        .value_kind:     by_value
      - .offset:         216
        .size:           4
        .value_kind:     by_value
      - .offset:         220
        .size:           4
        .value_kind:     by_value
      - .offset:         224
        .size:           4
        .value_kind:     hidden_block_count_x
      - .offset:         228
        .size:           4
        .value_kind:     hidden_block_count_y
      - .offset:         232
        .size:           4
        .value_kind:     hidden_block_count_z
      - .offset:         236
        .size:           2
        .value_kind:     hidden_group_size_x
      - .offset:         238
        .size:           2
        .value_kind:     hidden_group_size_y
      - .offset:         240
        .size:           2
        .value_kind:     hidden_group_size_z
      - .offset:         242
        .size:           2
        .value_kind:     hidden_remainder_x
      - .offset:         244
        .size:           2
        .value_kind:     hidden_remainder_y
      - .offset:         246
        .size:           2
        .value_kind:     hidden_remainder_z
      - .offset:         264
        .size:           8
        .value_kind:     hidden_global_offset_x
      - .offset:         272
        .size:           8
        .value_kind:     hidden_global_offset_y
      - .offset:         280
        .size:           8
        .value_kind:     hidden_global_offset_z
      - .offset:         288
        .size:           2
        .value_kind:     hidden_grid_dims
    .group_segment_fixed_size: 0
    .kernarg_segment_align: 8
    .kernarg_segment_size: 480
    .language:       OpenCL C
    .language_version:
      - 2
      - 0
    .max_flat_workgroup_size: 1024
    .name:           naive_conv_ab_packed_fwd_nhwc_float_double_float_1
    .private_segment_fixed_size: 0
    .sgpr_count:     60
    .sgpr_spill_count: 0
    .symbol:         naive_conv_ab_packed_fwd_nhwc_float_double_float_1.kd
    .uniform_work_group_size: 1
    .uses_dynamic_stack: false
    .vgpr_count:     24
    .vgpr_spill_count: 0
    .wavefront_size: 32
    .workgroup_processor_mode: 1
  - .args:
      - .actual_access:  read_only
        .address_space:  global
        .offset:         0
        .size:           8
        .value_kind:     global_buffer
      - .actual_access:  read_only
        .address_space:  global
        .offset:         8
        .size:           8
        .value_kind:     global_buffer
      - .offset:         16
        .size:           8
        .value_kind:     by_value
      - .offset:         24
        .size:           8
        .value_kind:     by_value
      - .address_space:  global
        .offset:         32
        .size:           8
        .value_kind:     global_buffer
      - .offset:         40
        .size:           40
        .value_kind:     by_value
      - .offset:         80
        .size:           40
        .value_kind:     by_value
      - .offset:         120
        .size:           40
        .value_kind:     by_value
      - .offset:         160
        .size:           4
        .value_kind:     by_value
      - .offset:         164
        .size:           4
        .value_kind:     by_value
      - .offset:         168
        .size:           4
        .value_kind:     by_value
      - .offset:         172
        .size:           4
        .value_kind:     by_value
      - .offset:         176
        .size:           4
        .value_kind:     by_value
      - .offset:         180
        .size:           4
        .value_kind:     by_value
      - .offset:         184
        .size:           4
        .value_kind:     by_value
      - .offset:         188
        .size:           4
        .value_kind:     by_value
      - .offset:         192
        .size:           4
        .value_kind:     by_value
      - .offset:         196
        .size:           4
        .value_kind:     by_value
      - .offset:         200
        .size:           4
        .value_kind:     by_value
      - .offset:         204
        .size:           4
        .value_kind:     by_value
      - .offset:         208
        .size:           4
        .value_kind:     by_value
      - .offset:         212
        .size:           4
        .value_kind:     by_value
      - .offset:         216
        .size:           4
        .value_kind:     by_value
      - .offset:         220
        .size:           4
        .value_kind:     by_value
      - .offset:         224
        .size:           4
        .value_kind:     hidden_block_count_x
      - .offset:         228
        .size:           4
        .value_kind:     hidden_block_count_y
      - .offset:         232
        .size:           4
        .value_kind:     hidden_block_count_z
      - .offset:         236
        .size:           2
        .value_kind:     hidden_group_size_x
      - .offset:         238
        .size:           2
        .value_kind:     hidden_group_size_y
      - .offset:         240
        .size:           2
        .value_kind:     hidden_group_size_z
      - .offset:         242
        .size:           2
        .value_kind:     hidden_remainder_x
      - .offset:         244
        .size:           2
        .value_kind:     hidden_remainder_y
      - .offset:         246
        .size:           2
        .value_kind:     hidden_remainder_z
      - .offset:         264
        .size:           8
        .value_kind:     hidden_global_offset_x
      - .offset:         272
        .size:           8
        .value_kind:     hidden_global_offset_y
      - .offset:         280
        .size:           8
        .value_kind:     hidden_global_offset_z
      - .offset:         288
        .size:           2
        .value_kind:     hidden_grid_dims
    .group_segment_fixed_size: 0
    .kernarg_segment_align: 8
    .kernarg_segment_size: 480
    .language:       OpenCL C
    .language_version:
      - 2
      - 0
    .max_flat_workgroup_size: 1024
    .name:           naive_conv_ab_nonpacked_fwd_nhwc_float_double_float_1
    .private_segment_fixed_size: 0
    .sgpr_count:     73
    .sgpr_spill_count: 0
    .symbol:         naive_conv_ab_nonpacked_fwd_nhwc_float_double_float_1.kd
    .uniform_work_group_size: 1
    .uses_dynamic_stack: false
    .vgpr_count:     26
    .vgpr_spill_count: 0
    .wavefront_size: 32
    .workgroup_processor_mode: 1
  - .args:
      - .actual_access:  read_only
        .address_space:  global
        .offset:         0
        .size:           8
        .value_kind:     global_buffer
      - .actual_access:  read_only
        .address_space:  global
        .offset:         8
        .size:           8
        .value_kind:     global_buffer
      - .offset:         16
        .size:           8
        .value_kind:     by_value
      - .offset:         24
        .size:           8
        .value_kind:     by_value
      - .address_space:  global
        .offset:         32
        .size:           8
        .value_kind:     global_buffer
      - .offset:         40
        .size:           40
        .value_kind:     by_value
      - .offset:         80
        .size:           40
        .value_kind:     by_value
      - .offset:         120
        .size:           40
        .value_kind:     by_value
      - .offset:         160
        .size:           4
        .value_kind:     by_value
      - .offset:         164
        .size:           4
        .value_kind:     by_value
      - .offset:         168
        .size:           4
        .value_kind:     by_value
      - .offset:         172
        .size:           4
        .value_kind:     by_value
      - .offset:         176
        .size:           4
        .value_kind:     by_value
      - .offset:         180
        .size:           4
        .value_kind:     by_value
      - .offset:         184
        .size:           4
        .value_kind:     by_value
      - .offset:         188
        .size:           4
        .value_kind:     by_value
      - .offset:         192
        .size:           4
        .value_kind:     by_value
      - .offset:         196
        .size:           4
        .value_kind:     by_value
      - .offset:         200
        .size:           4
        .value_kind:     by_value
      - .offset:         204
        .size:           4
        .value_kind:     by_value
      - .offset:         208
        .size:           4
        .value_kind:     by_value
      - .offset:         212
        .size:           4
        .value_kind:     by_value
      - .offset:         216
        .size:           4
        .value_kind:     by_value
      - .offset:         220
        .size:           4
        .value_kind:     by_value
      - .offset:         224
        .size:           4
        .value_kind:     hidden_block_count_x
      - .offset:         228
        .size:           4
        .value_kind:     hidden_block_count_y
      - .offset:         232
        .size:           4
        .value_kind:     hidden_block_count_z
      - .offset:         236
        .size:           2
        .value_kind:     hidden_group_size_x
      - .offset:         238
        .size:           2
        .value_kind:     hidden_group_size_y
      - .offset:         240
        .size:           2
        .value_kind:     hidden_group_size_z
      - .offset:         242
        .size:           2
        .value_kind:     hidden_remainder_x
      - .offset:         244
        .size:           2
        .value_kind:     hidden_remainder_y
      - .offset:         246
        .size:           2
        .value_kind:     hidden_remainder_z
      - .offset:         264
        .size:           8
        .value_kind:     hidden_global_offset_x
      - .offset:         272
        .size:           8
        .value_kind:     hidden_global_offset_y
      - .offset:         280
        .size:           8
        .value_kind:     hidden_global_offset_z
      - .offset:         288
        .size:           2
        .value_kind:     hidden_grid_dims
    .group_segment_fixed_size: 0
    .kernarg_segment_align: 8
    .kernarg_segment_size: 480
    .language:       OpenCL C
    .language_version:
      - 2
      - 0
    .max_flat_workgroup_size: 1024
    .name:           naive_conv_ab_packed_fwd_nhwc_half_double_half_0
    .private_segment_fixed_size: 0
    .sgpr_count:     60
    .sgpr_spill_count: 0
    .symbol:         naive_conv_ab_packed_fwd_nhwc_half_double_half_0.kd
    .uniform_work_group_size: 1
    .uses_dynamic_stack: false
    .vgpr_count:     25
    .vgpr_spill_count: 0
    .wavefront_size: 32
    .workgroup_processor_mode: 1
  - .args:
      - .actual_access:  read_only
        .address_space:  global
        .offset:         0
        .size:           8
        .value_kind:     global_buffer
      - .actual_access:  read_only
        .address_space:  global
        .offset:         8
        .size:           8
        .value_kind:     global_buffer
      - .offset:         16
        .size:           8
        .value_kind:     by_value
      - .offset:         24
        .size:           8
        .value_kind:     by_value
      - .address_space:  global
        .offset:         32
        .size:           8
        .value_kind:     global_buffer
      - .offset:         40
        .size:           40
        .value_kind:     by_value
      - .offset:         80
        .size:           40
        .value_kind:     by_value
      - .offset:         120
        .size:           40
        .value_kind:     by_value
      - .offset:         160
        .size:           4
        .value_kind:     by_value
      - .offset:         164
        .size:           4
        .value_kind:     by_value
      - .offset:         168
        .size:           4
        .value_kind:     by_value
      - .offset:         172
        .size:           4
        .value_kind:     by_value
      - .offset:         176
        .size:           4
        .value_kind:     by_value
      - .offset:         180
        .size:           4
        .value_kind:     by_value
      - .offset:         184
        .size:           4
        .value_kind:     by_value
      - .offset:         188
        .size:           4
        .value_kind:     by_value
      - .offset:         192
        .size:           4
        .value_kind:     by_value
      - .offset:         196
        .size:           4
        .value_kind:     by_value
      - .offset:         200
        .size:           4
        .value_kind:     by_value
      - .offset:         204
        .size:           4
        .value_kind:     by_value
      - .offset:         208
        .size:           4
        .value_kind:     by_value
      - .offset:         212
        .size:           4
        .value_kind:     by_value
      - .offset:         216
        .size:           4
        .value_kind:     by_value
      - .offset:         220
        .size:           4
        .value_kind:     by_value
      - .offset:         224
        .size:           4
        .value_kind:     hidden_block_count_x
      - .offset:         228
        .size:           4
        .value_kind:     hidden_block_count_y
      - .offset:         232
        .size:           4
        .value_kind:     hidden_block_count_z
      - .offset:         236
        .size:           2
        .value_kind:     hidden_group_size_x
      - .offset:         238
        .size:           2
        .value_kind:     hidden_group_size_y
      - .offset:         240
        .size:           2
        .value_kind:     hidden_group_size_z
      - .offset:         242
        .size:           2
        .value_kind:     hidden_remainder_x
      - .offset:         244
        .size:           2
        .value_kind:     hidden_remainder_y
      - .offset:         246
        .size:           2
        .value_kind:     hidden_remainder_z
      - .offset:         264
        .size:           8
        .value_kind:     hidden_global_offset_x
      - .offset:         272
        .size:           8
        .value_kind:     hidden_global_offset_y
      - .offset:         280
        .size:           8
        .value_kind:     hidden_global_offset_z
      - .offset:         288
        .size:           2
        .value_kind:     hidden_grid_dims
    .group_segment_fixed_size: 0
    .kernarg_segment_align: 8
    .kernarg_segment_size: 480
    .language:       OpenCL C
    .language_version:
      - 2
      - 0
    .max_flat_workgroup_size: 1024
    .name:           naive_conv_ab_nonpacked_fwd_nhwc_half_double_half_0
    .private_segment_fixed_size: 0
    .sgpr_count:     73
    .sgpr_spill_count: 0
    .symbol:         naive_conv_ab_nonpacked_fwd_nhwc_half_double_half_0.kd
    .uniform_work_group_size: 1
    .uses_dynamic_stack: false
    .vgpr_count:     27
    .vgpr_spill_count: 0
    .wavefront_size: 32
    .workgroup_processor_mode: 1
  - .args:
      - .actual_access:  read_only
        .address_space:  global
        .offset:         0
        .size:           8
        .value_kind:     global_buffer
      - .actual_access:  read_only
        .address_space:  global
        .offset:         8
        .size:           8
        .value_kind:     global_buffer
      - .offset:         16
        .size:           8
        .value_kind:     by_value
      - .offset:         24
        .size:           8
        .value_kind:     by_value
      - .address_space:  global
        .offset:         32
        .size:           8
        .value_kind:     global_buffer
      - .offset:         40
        .size:           40
        .value_kind:     by_value
      - .offset:         80
        .size:           40
        .value_kind:     by_value
      - .offset:         120
        .size:           40
        .value_kind:     by_value
      - .offset:         160
        .size:           4
        .value_kind:     by_value
      - .offset:         164
        .size:           4
        .value_kind:     by_value
      - .offset:         168
        .size:           4
        .value_kind:     by_value
      - .offset:         172
        .size:           4
        .value_kind:     by_value
      - .offset:         176
        .size:           4
        .value_kind:     by_value
      - .offset:         180
        .size:           4
        .value_kind:     by_value
      - .offset:         184
        .size:           4
        .value_kind:     by_value
      - .offset:         188
        .size:           4
        .value_kind:     by_value
      - .offset:         192
        .size:           4
        .value_kind:     by_value
      - .offset:         196
        .size:           4
        .value_kind:     by_value
      - .offset:         200
        .size:           4
        .value_kind:     by_value
      - .offset:         204
        .size:           4
        .value_kind:     by_value
      - .offset:         208
        .size:           4
        .value_kind:     by_value
      - .offset:         212
        .size:           4
        .value_kind:     by_value
      - .offset:         216
        .size:           4
        .value_kind:     by_value
      - .offset:         220
        .size:           4
        .value_kind:     by_value
      - .offset:         224
        .size:           4
        .value_kind:     hidden_block_count_x
      - .offset:         228
        .size:           4
        .value_kind:     hidden_block_count_y
      - .offset:         232
        .size:           4
        .value_kind:     hidden_block_count_z
      - .offset:         236
        .size:           2
        .value_kind:     hidden_group_size_x
      - .offset:         238
        .size:           2
        .value_kind:     hidden_group_size_y
      - .offset:         240
        .size:           2
        .value_kind:     hidden_group_size_z
      - .offset:         242
        .size:           2
        .value_kind:     hidden_remainder_x
      - .offset:         244
        .size:           2
        .value_kind:     hidden_remainder_y
      - .offset:         246
        .size:           2
        .value_kind:     hidden_remainder_z
      - .offset:         264
        .size:           8
        .value_kind:     hidden_global_offset_x
      - .offset:         272
        .size:           8
        .value_kind:     hidden_global_offset_y
      - .offset:         280
        .size:           8
        .value_kind:     hidden_global_offset_z
      - .offset:         288
        .size:           2
        .value_kind:     hidden_grid_dims
    .group_segment_fixed_size: 0
    .kernarg_segment_align: 8
    .kernarg_segment_size: 480
    .language:       OpenCL C
    .language_version:
      - 2
      - 0
    .max_flat_workgroup_size: 1024
    .name:           naive_conv_ab_packed_fwd_nhwc_ushort_double_ushort_0
    .private_segment_fixed_size: 0
    .sgpr_count:     60
    .sgpr_spill_count: 0
    .symbol:         naive_conv_ab_packed_fwd_nhwc_ushort_double_ushort_0.kd
    .uniform_work_group_size: 1
    .uses_dynamic_stack: false
    .vgpr_count:     24
    .vgpr_spill_count: 0
    .wavefront_size: 32
    .workgroup_processor_mode: 1
  - .args:
      - .actual_access:  read_only
        .address_space:  global
        .offset:         0
        .size:           8
        .value_kind:     global_buffer
      - .actual_access:  read_only
        .address_space:  global
        .offset:         8
        .size:           8
        .value_kind:     global_buffer
      - .offset:         16
        .size:           8
        .value_kind:     by_value
      - .offset:         24
        .size:           8
        .value_kind:     by_value
      - .address_space:  global
        .offset:         32
        .size:           8
        .value_kind:     global_buffer
      - .offset:         40
        .size:           40
        .value_kind:     by_value
      - .offset:         80
        .size:           40
        .value_kind:     by_value
      - .offset:         120
        .size:           40
        .value_kind:     by_value
      - .offset:         160
        .size:           4
        .value_kind:     by_value
      - .offset:         164
        .size:           4
        .value_kind:     by_value
      - .offset:         168
        .size:           4
        .value_kind:     by_value
      - .offset:         172
        .size:           4
        .value_kind:     by_value
      - .offset:         176
        .size:           4
        .value_kind:     by_value
      - .offset:         180
        .size:           4
        .value_kind:     by_value
      - .offset:         184
        .size:           4
        .value_kind:     by_value
      - .offset:         188
        .size:           4
        .value_kind:     by_value
      - .offset:         192
        .size:           4
        .value_kind:     by_value
      - .offset:         196
        .size:           4
        .value_kind:     by_value
      - .offset:         200
        .size:           4
        .value_kind:     by_value
      - .offset:         204
        .size:           4
        .value_kind:     by_value
      - .offset:         208
        .size:           4
        .value_kind:     by_value
      - .offset:         212
        .size:           4
        .value_kind:     by_value
      - .offset:         216
        .size:           4
        .value_kind:     by_value
      - .offset:         220
        .size:           4
        .value_kind:     by_value
      - .offset:         224
        .size:           4
        .value_kind:     hidden_block_count_x
      - .offset:         228
        .size:           4
        .value_kind:     hidden_block_count_y
      - .offset:         232
        .size:           4
        .value_kind:     hidden_block_count_z
      - .offset:         236
        .size:           2
        .value_kind:     hidden_group_size_x
      - .offset:         238
        .size:           2
        .value_kind:     hidden_group_size_y
      - .offset:         240
        .size:           2
        .value_kind:     hidden_group_size_z
      - .offset:         242
        .size:           2
        .value_kind:     hidden_remainder_x
      - .offset:         244
        .size:           2
        .value_kind:     hidden_remainder_y
      - .offset:         246
        .size:           2
        .value_kind:     hidden_remainder_z
      - .offset:         264
        .size:           8
        .value_kind:     hidden_global_offset_x
      - .offset:         272
        .size:           8
        .value_kind:     hidden_global_offset_y
      - .offset:         280
        .size:           8
        .value_kind:     hidden_global_offset_z
      - .offset:         288
        .size:           2
        .value_kind:     hidden_grid_dims
    .group_segment_fixed_size: 0
    .kernarg_segment_align: 8
    .kernarg_segment_size: 480
    .language:       OpenCL C
    .language_version:
      - 2
      - 0
    .max_flat_workgroup_size: 1024
    .name:           naive_conv_ab_nonpacked_fwd_nhwc_ushort_double_ushort_0
    .private_segment_fixed_size: 0
    .sgpr_count:     73
    .sgpr_spill_count: 0
    .symbol:         naive_conv_ab_nonpacked_fwd_nhwc_ushort_double_ushort_0.kd
    .uniform_work_group_size: 1
    .uses_dynamic_stack: false
    .vgpr_count:     26
    .vgpr_spill_count: 0
    .wavefront_size: 32
    .workgroup_processor_mode: 1
  - .args:
      - .actual_access:  read_only
        .address_space:  global
        .offset:         0
        .size:           8
        .value_kind:     global_buffer
      - .actual_access:  read_only
        .address_space:  global
        .offset:         8
        .size:           8
        .value_kind:     global_buffer
      - .offset:         16
        .size:           8
        .value_kind:     by_value
      - .offset:         24
        .size:           8
        .value_kind:     by_value
      - .address_space:  global
        .offset:         32
        .size:           8
        .value_kind:     global_buffer
      - .offset:         40
        .size:           40
        .value_kind:     by_value
      - .offset:         80
        .size:           40
        .value_kind:     by_value
      - .offset:         120
        .size:           40
        .value_kind:     by_value
      - .offset:         160
        .size:           4
        .value_kind:     by_value
      - .offset:         164
        .size:           4
        .value_kind:     by_value
      - .offset:         168
        .size:           4
        .value_kind:     by_value
      - .offset:         172
        .size:           4
        .value_kind:     by_value
      - .offset:         176
        .size:           4
        .value_kind:     by_value
      - .offset:         180
        .size:           4
        .value_kind:     by_value
      - .offset:         184
        .size:           4
        .value_kind:     by_value
      - .offset:         188
        .size:           4
        .value_kind:     by_value
      - .offset:         192
        .size:           4
        .value_kind:     by_value
      - .offset:         196
        .size:           4
        .value_kind:     by_value
      - .offset:         200
        .size:           4
        .value_kind:     by_value
      - .offset:         204
        .size:           4
        .value_kind:     by_value
      - .offset:         208
        .size:           4
        .value_kind:     by_value
      - .offset:         212
        .size:           4
        .value_kind:     by_value
      - .offset:         216
        .size:           4
        .value_kind:     by_value
      - .offset:         220
        .size:           4
        .value_kind:     by_value
      - .offset:         224
        .size:           4
        .value_kind:     hidden_block_count_x
      - .offset:         228
        .size:           4
        .value_kind:     hidden_block_count_y
      - .offset:         232
        .size:           4
        .value_kind:     hidden_block_count_z
      - .offset:         236
        .size:           2
        .value_kind:     hidden_group_size_x
      - .offset:         238
        .size:           2
        .value_kind:     hidden_group_size_y
      - .offset:         240
        .size:           2
        .value_kind:     hidden_group_size_z
      - .offset:         242
        .size:           2
        .value_kind:     hidden_remainder_x
      - .offset:         244
        .size:           2
        .value_kind:     hidden_remainder_y
      - .offset:         246
        .size:           2
        .value_kind:     hidden_remainder_z
      - .offset:         264
        .size:           8
        .value_kind:     hidden_global_offset_x
      - .offset:         272
        .size:           8
        .value_kind:     hidden_global_offset_y
      - .offset:         280
        .size:           8
        .value_kind:     hidden_global_offset_z
      - .offset:         288
        .size:           2
        .value_kind:     hidden_grid_dims
    .group_segment_fixed_size: 0
    .kernarg_segment_align: 8
    .kernarg_segment_size: 480
    .language:       OpenCL C
    .language_version:
      - 2
      - 0
    .max_flat_workgroup_size: 1024
    .name:           naive_conv_ab_packed_fwd_nhwc_int8_t_int32_t_int8_t_0
    .private_segment_fixed_size: 0
    .sgpr_count:     55
    .sgpr_spill_count: 0
    .symbol:         naive_conv_ab_packed_fwd_nhwc_int8_t_int32_t_int8_t_0.kd
    .uniform_work_group_size: 1
    .uses_dynamic_stack: false
    .vgpr_count:     23
    .vgpr_spill_count: 0
    .wavefront_size: 32
    .workgroup_processor_mode: 1
  - .args:
      - .actual_access:  read_only
        .address_space:  global
        .offset:         0
        .size:           8
        .value_kind:     global_buffer
      - .actual_access:  read_only
        .address_space:  global
        .offset:         8
        .size:           8
        .value_kind:     global_buffer
      - .offset:         16
        .size:           8
        .value_kind:     by_value
      - .offset:         24
        .size:           8
        .value_kind:     by_value
      - .address_space:  global
        .offset:         32
        .size:           8
        .value_kind:     global_buffer
      - .offset:         40
        .size:           40
        .value_kind:     by_value
      - .offset:         80
        .size:           40
        .value_kind:     by_value
      - .offset:         120
        .size:           40
        .value_kind:     by_value
      - .offset:         160
        .size:           4
        .value_kind:     by_value
      - .offset:         164
        .size:           4
        .value_kind:     by_value
      - .offset:         168
        .size:           4
        .value_kind:     by_value
      - .offset:         172
        .size:           4
        .value_kind:     by_value
      - .offset:         176
        .size:           4
        .value_kind:     by_value
      - .offset:         180
        .size:           4
        .value_kind:     by_value
      - .offset:         184
        .size:           4
        .value_kind:     by_value
      - .offset:         188
        .size:           4
        .value_kind:     by_value
      - .offset:         192
        .size:           4
        .value_kind:     by_value
      - .offset:         196
        .size:           4
        .value_kind:     by_value
      - .offset:         200
        .size:           4
        .value_kind:     by_value
      - .offset:         204
        .size:           4
        .value_kind:     by_value
      - .offset:         208
        .size:           4
        .value_kind:     by_value
      - .offset:         212
        .size:           4
        .value_kind:     by_value
      - .offset:         216
        .size:           4
        .value_kind:     by_value
      - .offset:         220
        .size:           4
        .value_kind:     by_value
      - .offset:         224
        .size:           4
        .value_kind:     hidden_block_count_x
      - .offset:         228
        .size:           4
        .value_kind:     hidden_block_count_y
      - .offset:         232
        .size:           4
        .value_kind:     hidden_block_count_z
      - .offset:         236
        .size:           2
        .value_kind:     hidden_group_size_x
      - .offset:         238
        .size:           2
        .value_kind:     hidden_group_size_y
      - .offset:         240
        .size:           2
        .value_kind:     hidden_group_size_z
      - .offset:         242
        .size:           2
        .value_kind:     hidden_remainder_x
      - .offset:         244
        .size:           2
        .value_kind:     hidden_remainder_y
      - .offset:         246
        .size:           2
        .value_kind:     hidden_remainder_z
      - .offset:         264
        .size:           8
        .value_kind:     hidden_global_offset_x
      - .offset:         272
        .size:           8
        .value_kind:     hidden_global_offset_y
      - .offset:         280
        .size:           8
        .value_kind:     hidden_global_offset_z
      - .offset:         288
        .size:           2
        .value_kind:     hidden_grid_dims
    .group_segment_fixed_size: 0
    .kernarg_segment_align: 8
    .kernarg_segment_size: 480
    .language:       OpenCL C
    .language_version:
      - 2
      - 0
    .max_flat_workgroup_size: 1024
    .name:           naive_conv_ab_nonpacked_fwd_nhwc_int8_t_int32_t_int8_t_0
    .private_segment_fixed_size: 0
    .sgpr_count:     69
    .sgpr_spill_count: 0
    .symbol:         naive_conv_ab_nonpacked_fwd_nhwc_int8_t_int32_t_int8_t_0.kd
    .uniform_work_group_size: 1
    .uses_dynamic_stack: false
    .vgpr_count:     25
    .vgpr_spill_count: 0
    .wavefront_size: 32
    .workgroup_processor_mode: 1
  - .args:
      - .actual_access:  read_only
        .address_space:  global
        .offset:         0
        .size:           8
        .value_kind:     global_buffer
      - .actual_access:  read_only
        .address_space:  global
        .offset:         8
        .size:           8
        .value_kind:     global_buffer
      - .offset:         16
        .size:           8
        .value_kind:     by_value
      - .offset:         24
        .size:           8
        .value_kind:     by_value
      - .address_space:  global
        .offset:         32
        .size:           8
        .value_kind:     global_buffer
      - .offset:         40
        .size:           40
        .value_kind:     by_value
      - .offset:         80
        .size:           40
        .value_kind:     by_value
      - .offset:         120
        .size:           40
        .value_kind:     by_value
      - .offset:         160
        .size:           4
        .value_kind:     by_value
      - .offset:         164
        .size:           4
        .value_kind:     by_value
      - .offset:         168
        .size:           4
        .value_kind:     by_value
      - .offset:         172
        .size:           4
        .value_kind:     by_value
      - .offset:         176
        .size:           4
        .value_kind:     by_value
      - .offset:         180
        .size:           4
        .value_kind:     by_value
      - .offset:         184
        .size:           4
        .value_kind:     by_value
      - .offset:         188
        .size:           4
        .value_kind:     by_value
      - .offset:         192
        .size:           4
        .value_kind:     by_value
      - .offset:         196
        .size:           4
        .value_kind:     by_value
      - .offset:         200
        .size:           4
        .value_kind:     by_value
      - .offset:         204
        .size:           4
        .value_kind:     by_value
      - .offset:         208
        .size:           4
        .value_kind:     by_value
      - .offset:         212
        .size:           4
        .value_kind:     by_value
      - .offset:         216
        .size:           4
        .value_kind:     by_value
      - .offset:         220
        .size:           4
        .value_kind:     by_value
      - .offset:         224
        .size:           4
        .value_kind:     hidden_block_count_x
      - .offset:         228
        .size:           4
        .value_kind:     hidden_block_count_y
      - .offset:         232
        .size:           4
        .value_kind:     hidden_block_count_z
      - .offset:         236
        .size:           2
        .value_kind:     hidden_group_size_x
      - .offset:         238
        .size:           2
        .value_kind:     hidden_group_size_y
      - .offset:         240
        .size:           2
        .value_kind:     hidden_group_size_z
      - .offset:         242
        .size:           2
        .value_kind:     hidden_remainder_x
      - .offset:         244
        .size:           2
        .value_kind:     hidden_remainder_y
      - .offset:         246
        .size:           2
        .value_kind:     hidden_remainder_z
      - .offset:         264
        .size:           8
        .value_kind:     hidden_global_offset_x
      - .offset:         272
        .size:           8
        .value_kind:     hidden_global_offset_y
      - .offset:         280
        .size:           8
        .value_kind:     hidden_global_offset_z
      - .offset:         288
        .size:           2
        .value_kind:     hidden_grid_dims
    .group_segment_fixed_size: 0
    .kernarg_segment_align: 8
    .kernarg_segment_size: 480
    .language:       OpenCL C
    .language_version:
      - 2
      - 0
    .max_flat_workgroup_size: 1024
    .name:           naive_conv_ab_packed_fwd_nhwc_int8_t_int32_t_int32_t_0
    .private_segment_fixed_size: 0
    .sgpr_count:     55
    .sgpr_spill_count: 0
    .symbol:         naive_conv_ab_packed_fwd_nhwc_int8_t_int32_t_int32_t_0.kd
    .uniform_work_group_size: 1
    .uses_dynamic_stack: false
    .vgpr_count:     23
    .vgpr_spill_count: 0
    .wavefront_size: 32
    .workgroup_processor_mode: 1
  - .args:
      - .actual_access:  read_only
        .address_space:  global
        .offset:         0
        .size:           8
        .value_kind:     global_buffer
      - .actual_access:  read_only
        .address_space:  global
        .offset:         8
        .size:           8
        .value_kind:     global_buffer
      - .offset:         16
        .size:           8
        .value_kind:     by_value
      - .offset:         24
        .size:           8
        .value_kind:     by_value
      - .address_space:  global
        .offset:         32
        .size:           8
        .value_kind:     global_buffer
      - .offset:         40
        .size:           40
        .value_kind:     by_value
      - .offset:         80
        .size:           40
        .value_kind:     by_value
      - .offset:         120
        .size:           40
        .value_kind:     by_value
      - .offset:         160
        .size:           4
        .value_kind:     by_value
      - .offset:         164
        .size:           4
        .value_kind:     by_value
      - .offset:         168
        .size:           4
        .value_kind:     by_value
      - .offset:         172
        .size:           4
        .value_kind:     by_value
      - .offset:         176
        .size:           4
        .value_kind:     by_value
      - .offset:         180
        .size:           4
        .value_kind:     by_value
      - .offset:         184
        .size:           4
        .value_kind:     by_value
      - .offset:         188
        .size:           4
        .value_kind:     by_value
      - .offset:         192
        .size:           4
        .value_kind:     by_value
      - .offset:         196
        .size:           4
        .value_kind:     by_value
      - .offset:         200
        .size:           4
        .value_kind:     by_value
      - .offset:         204
        .size:           4
        .value_kind:     by_value
      - .offset:         208
        .size:           4
        .value_kind:     by_value
      - .offset:         212
        .size:           4
        .value_kind:     by_value
      - .offset:         216
        .size:           4
        .value_kind:     by_value
      - .offset:         220
        .size:           4
        .value_kind:     by_value
      - .offset:         224
        .size:           4
        .value_kind:     hidden_block_count_x
      - .offset:         228
        .size:           4
        .value_kind:     hidden_block_count_y
      - .offset:         232
        .size:           4
        .value_kind:     hidden_block_count_z
      - .offset:         236
        .size:           2
        .value_kind:     hidden_group_size_x
      - .offset:         238
        .size:           2
        .value_kind:     hidden_group_size_y
      - .offset:         240
        .size:           2
        .value_kind:     hidden_group_size_z
      - .offset:         242
        .size:           2
        .value_kind:     hidden_remainder_x
      - .offset:         244
        .size:           2
        .value_kind:     hidden_remainder_y
      - .offset:         246
        .size:           2
        .value_kind:     hidden_remainder_z
      - .offset:         264
        .size:           8
        .value_kind:     hidden_global_offset_x
      - .offset:         272
        .size:           8
        .value_kind:     hidden_global_offset_y
      - .offset:         280
        .size:           8
        .value_kind:     hidden_global_offset_z
      - .offset:         288
        .size:           2
        .value_kind:     hidden_grid_dims
    .group_segment_fixed_size: 0
    .kernarg_segment_align: 8
    .kernarg_segment_size: 480
    .language:       OpenCL C
    .language_version:
      - 2
      - 0
    .max_flat_workgroup_size: 1024
    .name:           naive_conv_ab_nonpacked_fwd_nhwc_int8_t_int32_t_int32_t_0
    .private_segment_fixed_size: 0
    .sgpr_count:     67
    .sgpr_spill_count: 0
    .symbol:         naive_conv_ab_nonpacked_fwd_nhwc_int8_t_int32_t_int32_t_0.kd
    .uniform_work_group_size: 1
    .uses_dynamic_stack: false
    .vgpr_count:     25
    .vgpr_spill_count: 0
    .wavefront_size: 32
    .workgroup_processor_mode: 1
  - .args:
      - .actual_access:  read_only
        .address_space:  global
        .offset:         0
        .size:           8
        .value_kind:     global_buffer
      - .actual_access:  read_only
        .address_space:  global
        .offset:         8
        .size:           8
        .value_kind:     global_buffer
      - .offset:         16
        .size:           8
        .value_kind:     by_value
      - .offset:         24
        .size:           8
        .value_kind:     by_value
      - .address_space:  global
        .offset:         32
        .size:           8
        .value_kind:     global_buffer
      - .offset:         40
        .size:           40
        .value_kind:     by_value
      - .offset:         80
        .size:           40
        .value_kind:     by_value
      - .offset:         120
        .size:           40
        .value_kind:     by_value
      - .offset:         160
        .size:           4
        .value_kind:     by_value
      - .offset:         164
        .size:           4
        .value_kind:     by_value
      - .offset:         168
        .size:           4
        .value_kind:     by_value
      - .offset:         172
        .size:           4
        .value_kind:     by_value
      - .offset:         176
        .size:           4
        .value_kind:     by_value
      - .offset:         180
        .size:           4
        .value_kind:     by_value
      - .offset:         184
        .size:           4
        .value_kind:     by_value
      - .offset:         188
        .size:           4
        .value_kind:     by_value
      - .offset:         192
        .size:           4
        .value_kind:     by_value
      - .offset:         196
        .size:           4
        .value_kind:     by_value
      - .offset:         200
        .size:           4
        .value_kind:     by_value
      - .offset:         204
        .size:           4
        .value_kind:     by_value
      - .offset:         208
        .size:           4
        .value_kind:     by_value
      - .offset:         212
        .size:           4
        .value_kind:     by_value
      - .offset:         216
        .size:           4
        .value_kind:     by_value
      - .offset:         220
        .size:           4
        .value_kind:     by_value
      - .offset:         224
        .size:           4
        .value_kind:     hidden_block_count_x
      - .offset:         228
        .size:           4
        .value_kind:     hidden_block_count_y
      - .offset:         232
        .size:           4
        .value_kind:     hidden_block_count_z
      - .offset:         236
        .size:           2
        .value_kind:     hidden_group_size_x
      - .offset:         238
        .size:           2
        .value_kind:     hidden_group_size_y
      - .offset:         240
        .size:           2
        .value_kind:     hidden_group_size_z
      - .offset:         242
        .size:           2
        .value_kind:     hidden_remainder_x
      - .offset:         244
        .size:           2
        .value_kind:     hidden_remainder_y
      - .offset:         246
        .size:           2
        .value_kind:     hidden_remainder_z
      - .offset:         264
        .size:           8
        .value_kind:     hidden_global_offset_x
      - .offset:         272
        .size:           8
        .value_kind:     hidden_global_offset_y
      - .offset:         280
        .size:           8
        .value_kind:     hidden_global_offset_z
      - .offset:         288
        .size:           2
        .value_kind:     hidden_grid_dims
    .group_segment_fixed_size: 0
    .kernarg_segment_align: 8
    .kernarg_segment_size: 480
    .language:       OpenCL C
    .language_version:
      - 2
      - 0
    .max_flat_workgroup_size: 1024
    .name:           naive_conv_ab_packed_fwd_nhwc_int8_t_int32_t_float_0
    .private_segment_fixed_size: 0
    .sgpr_count:     55
    .sgpr_spill_count: 0
    .symbol:         naive_conv_ab_packed_fwd_nhwc_int8_t_int32_t_float_0.kd
    .uniform_work_group_size: 1
    .uses_dynamic_stack: false
    .vgpr_count:     23
    .vgpr_spill_count: 0
    .wavefront_size: 32
    .workgroup_processor_mode: 1
  - .args:
      - .actual_access:  read_only
        .address_space:  global
        .offset:         0
        .size:           8
        .value_kind:     global_buffer
      - .actual_access:  read_only
        .address_space:  global
        .offset:         8
        .size:           8
        .value_kind:     global_buffer
      - .offset:         16
        .size:           8
        .value_kind:     by_value
      - .offset:         24
        .size:           8
        .value_kind:     by_value
      - .address_space:  global
        .offset:         32
        .size:           8
        .value_kind:     global_buffer
      - .offset:         40
        .size:           40
        .value_kind:     by_value
      - .offset:         80
        .size:           40
        .value_kind:     by_value
      - .offset:         120
        .size:           40
        .value_kind:     by_value
      - .offset:         160
        .size:           4
        .value_kind:     by_value
      - .offset:         164
        .size:           4
        .value_kind:     by_value
      - .offset:         168
        .size:           4
        .value_kind:     by_value
      - .offset:         172
        .size:           4
        .value_kind:     by_value
      - .offset:         176
        .size:           4
        .value_kind:     by_value
      - .offset:         180
        .size:           4
        .value_kind:     by_value
      - .offset:         184
        .size:           4
        .value_kind:     by_value
      - .offset:         188
        .size:           4
        .value_kind:     by_value
      - .offset:         192
        .size:           4
        .value_kind:     by_value
      - .offset:         196
        .size:           4
        .value_kind:     by_value
      - .offset:         200
        .size:           4
        .value_kind:     by_value
      - .offset:         204
        .size:           4
        .value_kind:     by_value
      - .offset:         208
        .size:           4
        .value_kind:     by_value
      - .offset:         212
        .size:           4
        .value_kind:     by_value
      - .offset:         216
        .size:           4
        .value_kind:     by_value
      - .offset:         220
        .size:           4
        .value_kind:     by_value
      - .offset:         224
        .size:           4
        .value_kind:     hidden_block_count_x
      - .offset:         228
        .size:           4
        .value_kind:     hidden_block_count_y
      - .offset:         232
        .size:           4
        .value_kind:     hidden_block_count_z
      - .offset:         236
        .size:           2
        .value_kind:     hidden_group_size_x
      - .offset:         238
        .size:           2
        .value_kind:     hidden_group_size_y
      - .offset:         240
        .size:           2
        .value_kind:     hidden_group_size_z
      - .offset:         242
        .size:           2
        .value_kind:     hidden_remainder_x
      - .offset:         244
        .size:           2
        .value_kind:     hidden_remainder_y
      - .offset:         246
        .size:           2
        .value_kind:     hidden_remainder_z
      - .offset:         264
        .size:           8
        .value_kind:     hidden_global_offset_x
      - .offset:         272
        .size:           8
        .value_kind:     hidden_global_offset_y
      - .offset:         280
        .size:           8
        .value_kind:     hidden_global_offset_z
      - .offset:         288
        .size:           2
        .value_kind:     hidden_grid_dims
    .group_segment_fixed_size: 0
    .kernarg_segment_align: 8
    .kernarg_segment_size: 480
    .language:       OpenCL C
    .language_version:
      - 2
      - 0
    .max_flat_workgroup_size: 1024
    .name:           naive_conv_ab_nonpacked_fwd_nhwc_int8_t_int32_t_float_0
    .private_segment_fixed_size: 0
    .sgpr_count:     67
    .sgpr_spill_count: 0
    .symbol:         naive_conv_ab_nonpacked_fwd_nhwc_int8_t_int32_t_float_0.kd
    .uniform_work_group_size: 1
    .uses_dynamic_stack: false
    .vgpr_count:     25
    .vgpr_spill_count: 0
    .wavefront_size: 32
    .workgroup_processor_mode: 1
  - .args:
      - .address_space:  global
        .offset:         0
        .size:           8
        .value_kind:     global_buffer
      - .actual_access:  read_only
        .address_space:  global
        .offset:         8
        .size:           8
        .value_kind:     global_buffer
      - .offset:         16
        .size:           8
        .value_kind:     by_value
      - .offset:         24
        .size:           8
        .value_kind:     by_value
      - .actual_access:  read_only
        .address_space:  global
        .offset:         32
        .size:           8
        .value_kind:     global_buffer
      - .offset:         40
        .size:           40
        .value_kind:     by_value
      - .offset:         80
        .size:           40
        .value_kind:     by_value
      - .offset:         120
        .size:           40
        .value_kind:     by_value
      - .offset:         160
        .size:           4
        .value_kind:     by_value
      - .offset:         164
        .size:           4
        .value_kind:     by_value
      - .offset:         168
        .size:           4
        .value_kind:     by_value
      - .offset:         172
        .size:           4
        .value_kind:     by_value
      - .offset:         176
        .size:           4
        .value_kind:     by_value
      - .offset:         180
        .size:           4
        .value_kind:     by_value
      - .offset:         184
        .size:           4
        .value_kind:     by_value
      - .offset:         188
        .size:           4
        .value_kind:     by_value
      - .offset:         192
        .size:           4
        .value_kind:     by_value
      - .offset:         196
        .size:           4
        .value_kind:     by_value
      - .offset:         200
        .size:           4
        .value_kind:     by_value
      - .offset:         204
        .size:           4
        .value_kind:     by_value
      - .offset:         208
        .size:           4
        .value_kind:     by_value
      - .offset:         212
        .size:           4
        .value_kind:     by_value
      - .offset:         216
        .size:           4
        .value_kind:     by_value
      - .offset:         220
        .size:           4
        .value_kind:     by_value
      - .offset:         224
        .size:           4
        .value_kind:     hidden_block_count_x
      - .offset:         228
        .size:           4
        .value_kind:     hidden_block_count_y
      - .offset:         232
        .size:           4
        .value_kind:     hidden_block_count_z
      - .offset:         236
        .size:           2
        .value_kind:     hidden_group_size_x
      - .offset:         238
        .size:           2
        .value_kind:     hidden_group_size_y
      - .offset:         240
        .size:           2
        .value_kind:     hidden_group_size_z
      - .offset:         242
        .size:           2
        .value_kind:     hidden_remainder_x
      - .offset:         244
        .size:           2
        .value_kind:     hidden_remainder_y
      - .offset:         246
        .size:           2
        .value_kind:     hidden_remainder_z
      - .offset:         264
        .size:           8
        .value_kind:     hidden_global_offset_x
      - .offset:         272
        .size:           8
        .value_kind:     hidden_global_offset_y
      - .offset:         280
        .size:           8
        .value_kind:     hidden_global_offset_z
      - .offset:         288
        .size:           2
        .value_kind:     hidden_grid_dims
    .group_segment_fixed_size: 0
    .kernarg_segment_align: 8
    .kernarg_segment_size: 480
    .language:       OpenCL C
    .language_version:
      - 2
      - 0
    .max_flat_workgroup_size: 1024
    .name:           naive_conv_ab_packed_bwd_nchw_float_double_float_0
    .private_segment_fixed_size: 0
    .sgpr_count:     59
    .sgpr_spill_count: 0
    .symbol:         naive_conv_ab_packed_bwd_nchw_float_double_float_0.kd
    .uniform_work_group_size: 1
    .uses_dynamic_stack: false
    .vgpr_count:     17
    .vgpr_spill_count: 0
    .wavefront_size: 32
    .workgroup_processor_mode: 1
  - .args:
      - .address_space:  global
        .offset:         0
        .size:           8
        .value_kind:     global_buffer
      - .actual_access:  read_only
        .address_space:  global
        .offset:         8
        .size:           8
        .value_kind:     global_buffer
      - .offset:         16
        .size:           8
        .value_kind:     by_value
      - .offset:         24
        .size:           8
        .value_kind:     by_value
      - .actual_access:  read_only
        .address_space:  global
        .offset:         32
        .size:           8
        .value_kind:     global_buffer
      - .offset:         40
        .size:           40
        .value_kind:     by_value
      - .offset:         80
        .size:           40
        .value_kind:     by_value
      - .offset:         120
        .size:           40
        .value_kind:     by_value
      - .offset:         160
        .size:           4
        .value_kind:     by_value
      - .offset:         164
        .size:           4
        .value_kind:     by_value
      - .offset:         168
        .size:           4
        .value_kind:     by_value
      - .offset:         172
        .size:           4
        .value_kind:     by_value
      - .offset:         176
        .size:           4
        .value_kind:     by_value
      - .offset:         180
        .size:           4
        .value_kind:     by_value
      - .offset:         184
        .size:           4
        .value_kind:     by_value
      - .offset:         188
        .size:           4
        .value_kind:     by_value
      - .offset:         192
        .size:           4
        .value_kind:     by_value
      - .offset:         196
        .size:           4
        .value_kind:     by_value
      - .offset:         200
        .size:           4
        .value_kind:     by_value
      - .offset:         204
        .size:           4
        .value_kind:     by_value
      - .offset:         208
        .size:           4
        .value_kind:     by_value
      - .offset:         212
        .size:           4
        .value_kind:     by_value
      - .offset:         216
        .size:           4
        .value_kind:     by_value
      - .offset:         220
        .size:           4
        .value_kind:     by_value
      - .offset:         224
        .size:           4
        .value_kind:     hidden_block_count_x
      - .offset:         228
        .size:           4
        .value_kind:     hidden_block_count_y
      - .offset:         232
        .size:           4
        .value_kind:     hidden_block_count_z
      - .offset:         236
        .size:           2
        .value_kind:     hidden_group_size_x
      - .offset:         238
        .size:           2
        .value_kind:     hidden_group_size_y
      - .offset:         240
        .size:           2
        .value_kind:     hidden_group_size_z
      - .offset:         242
        .size:           2
        .value_kind:     hidden_remainder_x
      - .offset:         244
        .size:           2
        .value_kind:     hidden_remainder_y
      - .offset:         246
        .size:           2
        .value_kind:     hidden_remainder_z
      - .offset:         264
        .size:           8
        .value_kind:     hidden_global_offset_x
      - .offset:         272
        .size:           8
        .value_kind:     hidden_global_offset_y
      - .offset:         280
        .size:           8
        .value_kind:     hidden_global_offset_z
      - .offset:         288
        .size:           2
        .value_kind:     hidden_grid_dims
    .group_segment_fixed_size: 0
    .kernarg_segment_align: 8
    .kernarg_segment_size: 480
    .language:       OpenCL C
    .language_version:
      - 2
      - 0
    .max_flat_workgroup_size: 1024
    .name:           naive_conv_ab_nonpacked_bwd_nchw_float_double_float_0
    .private_segment_fixed_size: 0
    .sgpr_count:     71
    .sgpr_spill_count: 0
    .symbol:         naive_conv_ab_nonpacked_bwd_nchw_float_double_float_0.kd
    .uniform_work_group_size: 1
    .uses_dynamic_stack: false
    .vgpr_count:     17
    .vgpr_spill_count: 0
    .wavefront_size: 32
    .workgroup_processor_mode: 1
  - .args:
      - .address_space:  global
        .offset:         0
        .size:           8
        .value_kind:     global_buffer
      - .actual_access:  read_only
        .address_space:  global
        .offset:         8
        .size:           8
        .value_kind:     global_buffer
      - .offset:         16
        .size:           8
        .value_kind:     by_value
      - .offset:         24
        .size:           8
        .value_kind:     by_value
      - .actual_access:  read_only
        .address_space:  global
        .offset:         32
        .size:           8
        .value_kind:     global_buffer
      - .offset:         40
        .size:           40
        .value_kind:     by_value
      - .offset:         80
        .size:           40
        .value_kind:     by_value
      - .offset:         120
        .size:           40
        .value_kind:     by_value
      - .offset:         160
        .size:           4
        .value_kind:     by_value
      - .offset:         164
        .size:           4
        .value_kind:     by_value
      - .offset:         168
        .size:           4
        .value_kind:     by_value
      - .offset:         172
        .size:           4
        .value_kind:     by_value
      - .offset:         176
        .size:           4
        .value_kind:     by_value
      - .offset:         180
        .size:           4
        .value_kind:     by_value
      - .offset:         184
        .size:           4
        .value_kind:     by_value
      - .offset:         188
        .size:           4
        .value_kind:     by_value
      - .offset:         192
        .size:           4
        .value_kind:     by_value
      - .offset:         196
        .size:           4
        .value_kind:     by_value
      - .offset:         200
        .size:           4
        .value_kind:     by_value
      - .offset:         204
        .size:           4
        .value_kind:     by_value
      - .offset:         208
        .size:           4
        .value_kind:     by_value
      - .offset:         212
        .size:           4
        .value_kind:     by_value
      - .offset:         216
        .size:           4
        .value_kind:     by_value
      - .offset:         220
        .size:           4
        .value_kind:     by_value
      - .offset:         224
        .size:           4
        .value_kind:     hidden_block_count_x
      - .offset:         228
        .size:           4
        .value_kind:     hidden_block_count_y
      - .offset:         232
        .size:           4
        .value_kind:     hidden_block_count_z
      - .offset:         236
        .size:           2
        .value_kind:     hidden_group_size_x
      - .offset:         238
        .size:           2
        .value_kind:     hidden_group_size_y
      - .offset:         240
        .size:           2
        .value_kind:     hidden_group_size_z
      - .offset:         242
        .size:           2
        .value_kind:     hidden_remainder_x
      - .offset:         244
        .size:           2
        .value_kind:     hidden_remainder_y
      - .offset:         246
        .size:           2
        .value_kind:     hidden_remainder_z
      - .offset:         264
        .size:           8
        .value_kind:     hidden_global_offset_x
      - .offset:         272
        .size:           8
        .value_kind:     hidden_global_offset_y
      - .offset:         280
        .size:           8
        .value_kind:     hidden_global_offset_z
      - .offset:         288
        .size:           2
        .value_kind:     hidden_grid_dims
    .group_segment_fixed_size: 0
    .kernarg_segment_align: 8
    .kernarg_segment_size: 480
    .language:       OpenCL C
    .language_version:
      - 2
      - 0
    .max_flat_workgroup_size: 1024
    .name:           naive_conv_ab_packed_bwd_nchw_float_double_float_1
    .private_segment_fixed_size: 0
    .sgpr_count:     59
    .sgpr_spill_count: 0
    .symbol:         naive_conv_ab_packed_bwd_nchw_float_double_float_1.kd
    .uniform_work_group_size: 1
    .uses_dynamic_stack: false
    .vgpr_count:     17
    .vgpr_spill_count: 0
    .wavefront_size: 32
    .workgroup_processor_mode: 1
  - .args:
      - .address_space:  global
        .offset:         0
        .size:           8
        .value_kind:     global_buffer
      - .actual_access:  read_only
        .address_space:  global
        .offset:         8
        .size:           8
        .value_kind:     global_buffer
      - .offset:         16
        .size:           8
        .value_kind:     by_value
      - .offset:         24
        .size:           8
        .value_kind:     by_value
      - .actual_access:  read_only
        .address_space:  global
        .offset:         32
        .size:           8
        .value_kind:     global_buffer
      - .offset:         40
        .size:           40
        .value_kind:     by_value
      - .offset:         80
        .size:           40
        .value_kind:     by_value
      - .offset:         120
        .size:           40
        .value_kind:     by_value
      - .offset:         160
        .size:           4
        .value_kind:     by_value
      - .offset:         164
        .size:           4
        .value_kind:     by_value
      - .offset:         168
        .size:           4
        .value_kind:     by_value
      - .offset:         172
        .size:           4
        .value_kind:     by_value
      - .offset:         176
        .size:           4
        .value_kind:     by_value
      - .offset:         180
        .size:           4
        .value_kind:     by_value
      - .offset:         184
        .size:           4
        .value_kind:     by_value
      - .offset:         188
        .size:           4
        .value_kind:     by_value
      - .offset:         192
        .size:           4
        .value_kind:     by_value
      - .offset:         196
        .size:           4
        .value_kind:     by_value
      - .offset:         200
        .size:           4
        .value_kind:     by_value
      - .offset:         204
        .size:           4
        .value_kind:     by_value
      - .offset:         208
        .size:           4
        .value_kind:     by_value
      - .offset:         212
        .size:           4
        .value_kind:     by_value
      - .offset:         216
        .size:           4
        .value_kind:     by_value
      - .offset:         220
        .size:           4
        .value_kind:     by_value
      - .offset:         224
        .size:           4
        .value_kind:     hidden_block_count_x
      - .offset:         228
        .size:           4
        .value_kind:     hidden_block_count_y
      - .offset:         232
        .size:           4
        .value_kind:     hidden_block_count_z
      - .offset:         236
        .size:           2
        .value_kind:     hidden_group_size_x
      - .offset:         238
        .size:           2
        .value_kind:     hidden_group_size_y
      - .offset:         240
        .size:           2
        .value_kind:     hidden_group_size_z
      - .offset:         242
        .size:           2
        .value_kind:     hidden_remainder_x
      - .offset:         244
        .size:           2
        .value_kind:     hidden_remainder_y
      - .offset:         246
        .size:           2
        .value_kind:     hidden_remainder_z
      - .offset:         264
        .size:           8
        .value_kind:     hidden_global_offset_x
      - .offset:         272
        .size:           8
        .value_kind:     hidden_global_offset_y
      - .offset:         280
        .size:           8
        .value_kind:     hidden_global_offset_z
      - .offset:         288
        .size:           2
        .value_kind:     hidden_grid_dims
    .group_segment_fixed_size: 0
    .kernarg_segment_align: 8
    .kernarg_segment_size: 480
    .language:       OpenCL C
    .language_version:
      - 2
      - 0
    .max_flat_workgroup_size: 1024
    .name:           naive_conv_ab_nonpacked_bwd_nchw_float_double_float_1
    .private_segment_fixed_size: 0
    .sgpr_count:     71
    .sgpr_spill_count: 0
    .symbol:         naive_conv_ab_nonpacked_bwd_nchw_float_double_float_1.kd
    .uniform_work_group_size: 1
    .uses_dynamic_stack: false
    .vgpr_count:     17
    .vgpr_spill_count: 0
    .wavefront_size: 32
    .workgroup_processor_mode: 1
  - .args:
      - .address_space:  global
        .offset:         0
        .size:           8
        .value_kind:     global_buffer
      - .actual_access:  read_only
        .address_space:  global
        .offset:         8
        .size:           8
        .value_kind:     global_buffer
      - .offset:         16
        .size:           8
        .value_kind:     by_value
      - .offset:         24
        .size:           8
        .value_kind:     by_value
      - .actual_access:  read_only
        .address_space:  global
        .offset:         32
        .size:           8
        .value_kind:     global_buffer
      - .offset:         40
        .size:           40
        .value_kind:     by_value
      - .offset:         80
        .size:           40
        .value_kind:     by_value
      - .offset:         120
        .size:           40
        .value_kind:     by_value
      - .offset:         160
        .size:           4
        .value_kind:     by_value
      - .offset:         164
        .size:           4
        .value_kind:     by_value
      - .offset:         168
        .size:           4
        .value_kind:     by_value
      - .offset:         172
        .size:           4
        .value_kind:     by_value
      - .offset:         176
        .size:           4
        .value_kind:     by_value
      - .offset:         180
        .size:           4
        .value_kind:     by_value
      - .offset:         184
        .size:           4
        .value_kind:     by_value
      - .offset:         188
        .size:           4
        .value_kind:     by_value
      - .offset:         192
        .size:           4
        .value_kind:     by_value
      - .offset:         196
        .size:           4
        .value_kind:     by_value
      - .offset:         200
        .size:           4
        .value_kind:     by_value
      - .offset:         204
        .size:           4
        .value_kind:     by_value
      - .offset:         208
        .size:           4
        .value_kind:     by_value
      - .offset:         212
        .size:           4
        .value_kind:     by_value
      - .offset:         216
        .size:           4
        .value_kind:     by_value
      - .offset:         220
        .size:           4
        .value_kind:     by_value
      - .offset:         224
        .size:           4
        .value_kind:     hidden_block_count_x
      - .offset:         228
        .size:           4
        .value_kind:     hidden_block_count_y
      - .offset:         232
        .size:           4
        .value_kind:     hidden_block_count_z
      - .offset:         236
        .size:           2
        .value_kind:     hidden_group_size_x
      - .offset:         238
        .size:           2
        .value_kind:     hidden_group_size_y
      - .offset:         240
        .size:           2
        .value_kind:     hidden_group_size_z
      - .offset:         242
        .size:           2
        .value_kind:     hidden_remainder_x
      - .offset:         244
        .size:           2
        .value_kind:     hidden_remainder_y
      - .offset:         246
        .size:           2
        .value_kind:     hidden_remainder_z
      - .offset:         264
        .size:           8
        .value_kind:     hidden_global_offset_x
      - .offset:         272
        .size:           8
        .value_kind:     hidden_global_offset_y
      - .offset:         280
        .size:           8
        .value_kind:     hidden_global_offset_z
      - .offset:         288
        .size:           2
        .value_kind:     hidden_grid_dims
    .group_segment_fixed_size: 0
    .kernarg_segment_align: 8
    .kernarg_segment_size: 480
    .language:       OpenCL C
    .language_version:
      - 2
      - 0
    .max_flat_workgroup_size: 1024
    .name:           naive_conv_ab_packed_bwd_nchw_half_double_half_0
    .private_segment_fixed_size: 0
    .sgpr_count:     59
    .sgpr_spill_count: 0
    .symbol:         naive_conv_ab_packed_bwd_nchw_half_double_half_0.kd
    .uniform_work_group_size: 1
    .uses_dynamic_stack: false
    .vgpr_count:     19
    .vgpr_spill_count: 0
    .wavefront_size: 32
    .workgroup_processor_mode: 1
  - .args:
      - .address_space:  global
        .offset:         0
        .size:           8
        .value_kind:     global_buffer
      - .actual_access:  read_only
        .address_space:  global
        .offset:         8
        .size:           8
        .value_kind:     global_buffer
      - .offset:         16
        .size:           8
        .value_kind:     by_value
      - .offset:         24
        .size:           8
        .value_kind:     by_value
      - .actual_access:  read_only
        .address_space:  global
        .offset:         32
        .size:           8
        .value_kind:     global_buffer
      - .offset:         40
        .size:           40
        .value_kind:     by_value
      - .offset:         80
        .size:           40
        .value_kind:     by_value
      - .offset:         120
        .size:           40
        .value_kind:     by_value
      - .offset:         160
        .size:           4
        .value_kind:     by_value
      - .offset:         164
        .size:           4
        .value_kind:     by_value
      - .offset:         168
        .size:           4
        .value_kind:     by_value
      - .offset:         172
        .size:           4
        .value_kind:     by_value
      - .offset:         176
        .size:           4
        .value_kind:     by_value
      - .offset:         180
        .size:           4
        .value_kind:     by_value
      - .offset:         184
        .size:           4
        .value_kind:     by_value
      - .offset:         188
        .size:           4
        .value_kind:     by_value
      - .offset:         192
        .size:           4
        .value_kind:     by_value
      - .offset:         196
        .size:           4
        .value_kind:     by_value
      - .offset:         200
        .size:           4
        .value_kind:     by_value
      - .offset:         204
        .size:           4
        .value_kind:     by_value
      - .offset:         208
        .size:           4
        .value_kind:     by_value
      - .offset:         212
        .size:           4
        .value_kind:     by_value
      - .offset:         216
        .size:           4
        .value_kind:     by_value
      - .offset:         220
        .size:           4
        .value_kind:     by_value
      - .offset:         224
        .size:           4
        .value_kind:     hidden_block_count_x
      - .offset:         228
        .size:           4
        .value_kind:     hidden_block_count_y
      - .offset:         232
        .size:           4
        .value_kind:     hidden_block_count_z
      - .offset:         236
        .size:           2
        .value_kind:     hidden_group_size_x
      - .offset:         238
        .size:           2
        .value_kind:     hidden_group_size_y
      - .offset:         240
        .size:           2
        .value_kind:     hidden_group_size_z
      - .offset:         242
        .size:           2
        .value_kind:     hidden_remainder_x
      - .offset:         244
        .size:           2
        .value_kind:     hidden_remainder_y
      - .offset:         246
        .size:           2
        .value_kind:     hidden_remainder_z
      - .offset:         264
        .size:           8
        .value_kind:     hidden_global_offset_x
      - .offset:         272
        .size:           8
        .value_kind:     hidden_global_offset_y
      - .offset:         280
        .size:           8
        .value_kind:     hidden_global_offset_z
      - .offset:         288
        .size:           2
        .value_kind:     hidden_grid_dims
    .group_segment_fixed_size: 0
    .kernarg_segment_align: 8
    .kernarg_segment_size: 480
    .language:       OpenCL C
    .language_version:
      - 2
      - 0
    .max_flat_workgroup_size: 1024
    .name:           naive_conv_ab_nonpacked_bwd_nchw_half_double_half_0
    .private_segment_fixed_size: 0
    .sgpr_count:     72
    .sgpr_spill_count: 0
    .symbol:         naive_conv_ab_nonpacked_bwd_nchw_half_double_half_0.kd
    .uniform_work_group_size: 1
    .uses_dynamic_stack: false
    .vgpr_count:     19
    .vgpr_spill_count: 0
    .wavefront_size: 32
    .workgroup_processor_mode: 1
  - .args:
      - .address_space:  global
        .offset:         0
        .size:           8
        .value_kind:     global_buffer
      - .actual_access:  read_only
        .address_space:  global
        .offset:         8
        .size:           8
        .value_kind:     global_buffer
      - .offset:         16
        .size:           8
        .value_kind:     by_value
      - .offset:         24
        .size:           8
        .value_kind:     by_value
      - .actual_access:  read_only
        .address_space:  global
        .offset:         32
        .size:           8
        .value_kind:     global_buffer
      - .offset:         40
        .size:           40
        .value_kind:     by_value
      - .offset:         80
        .size:           40
        .value_kind:     by_value
      - .offset:         120
        .size:           40
        .value_kind:     by_value
      - .offset:         160
        .size:           4
        .value_kind:     by_value
      - .offset:         164
        .size:           4
        .value_kind:     by_value
      - .offset:         168
        .size:           4
        .value_kind:     by_value
      - .offset:         172
        .size:           4
        .value_kind:     by_value
      - .offset:         176
        .size:           4
        .value_kind:     by_value
      - .offset:         180
        .size:           4
        .value_kind:     by_value
      - .offset:         184
        .size:           4
        .value_kind:     by_value
      - .offset:         188
        .size:           4
        .value_kind:     by_value
      - .offset:         192
        .size:           4
        .value_kind:     by_value
      - .offset:         196
        .size:           4
        .value_kind:     by_value
      - .offset:         200
        .size:           4
        .value_kind:     by_value
      - .offset:         204
        .size:           4
        .value_kind:     by_value
      - .offset:         208
        .size:           4
        .value_kind:     by_value
      - .offset:         212
        .size:           4
        .value_kind:     by_value
      - .offset:         216
        .size:           4
        .value_kind:     by_value
      - .offset:         220
        .size:           4
        .value_kind:     by_value
      - .offset:         224
        .size:           4
        .value_kind:     hidden_block_count_x
      - .offset:         228
        .size:           4
        .value_kind:     hidden_block_count_y
      - .offset:         232
        .size:           4
        .value_kind:     hidden_block_count_z
      - .offset:         236
        .size:           2
        .value_kind:     hidden_group_size_x
      - .offset:         238
        .size:           2
        .value_kind:     hidden_group_size_y
      - .offset:         240
        .size:           2
        .value_kind:     hidden_group_size_z
      - .offset:         242
        .size:           2
        .value_kind:     hidden_remainder_x
      - .offset:         244
        .size:           2
        .value_kind:     hidden_remainder_y
      - .offset:         246
        .size:           2
        .value_kind:     hidden_remainder_z
      - .offset:         264
        .size:           8
        .value_kind:     hidden_global_offset_x
      - .offset:         272
        .size:           8
        .value_kind:     hidden_global_offset_y
      - .offset:         280
        .size:           8
        .value_kind:     hidden_global_offset_z
      - .offset:         288
        .size:           2
        .value_kind:     hidden_grid_dims
    .group_segment_fixed_size: 0
    .kernarg_segment_align: 8
    .kernarg_segment_size: 480
    .language:       OpenCL C
    .language_version:
      - 2
      - 0
    .max_flat_workgroup_size: 1024
    .name:           naive_conv_ab_packed_bwd_nchw_ushort_double_ushort_0
    .private_segment_fixed_size: 0
    .sgpr_count:     59
    .sgpr_spill_count: 0
    .symbol:         naive_conv_ab_packed_bwd_nchw_ushort_double_ushort_0.kd
    .uniform_work_group_size: 1
    .uses_dynamic_stack: false
    .vgpr_count:     17
    .vgpr_spill_count: 0
    .wavefront_size: 32
    .workgroup_processor_mode: 1
  - .args:
      - .address_space:  global
        .offset:         0
        .size:           8
        .value_kind:     global_buffer
      - .actual_access:  read_only
        .address_space:  global
        .offset:         8
        .size:           8
        .value_kind:     global_buffer
      - .offset:         16
        .size:           8
        .value_kind:     by_value
      - .offset:         24
        .size:           8
        .value_kind:     by_value
      - .actual_access:  read_only
        .address_space:  global
        .offset:         32
        .size:           8
        .value_kind:     global_buffer
      - .offset:         40
        .size:           40
        .value_kind:     by_value
      - .offset:         80
        .size:           40
        .value_kind:     by_value
      - .offset:         120
        .size:           40
        .value_kind:     by_value
      - .offset:         160
        .size:           4
        .value_kind:     by_value
      - .offset:         164
        .size:           4
        .value_kind:     by_value
      - .offset:         168
        .size:           4
        .value_kind:     by_value
      - .offset:         172
        .size:           4
        .value_kind:     by_value
      - .offset:         176
        .size:           4
        .value_kind:     by_value
      - .offset:         180
        .size:           4
        .value_kind:     by_value
      - .offset:         184
        .size:           4
        .value_kind:     by_value
      - .offset:         188
        .size:           4
        .value_kind:     by_value
      - .offset:         192
        .size:           4
        .value_kind:     by_value
      - .offset:         196
        .size:           4
        .value_kind:     by_value
      - .offset:         200
        .size:           4
        .value_kind:     by_value
      - .offset:         204
        .size:           4
        .value_kind:     by_value
      - .offset:         208
        .size:           4
        .value_kind:     by_value
      - .offset:         212
        .size:           4
        .value_kind:     by_value
      - .offset:         216
        .size:           4
        .value_kind:     by_value
      - .offset:         220
        .size:           4
        .value_kind:     by_value
      - .offset:         224
        .size:           4
        .value_kind:     hidden_block_count_x
      - .offset:         228
        .size:           4
        .value_kind:     hidden_block_count_y
      - .offset:         232
        .size:           4
        .value_kind:     hidden_block_count_z
      - .offset:         236
        .size:           2
        .value_kind:     hidden_group_size_x
      - .offset:         238
        .size:           2
        .value_kind:     hidden_group_size_y
      - .offset:         240
        .size:           2
        .value_kind:     hidden_group_size_z
      - .offset:         242
        .size:           2
        .value_kind:     hidden_remainder_x
      - .offset:         244
        .size:           2
        .value_kind:     hidden_remainder_y
      - .offset:         246
        .size:           2
        .value_kind:     hidden_remainder_z
      - .offset:         264
        .size:           8
        .value_kind:     hidden_global_offset_x
      - .offset:         272
        .size:           8
        .value_kind:     hidden_global_offset_y
      - .offset:         280
        .size:           8
        .value_kind:     hidden_global_offset_z
      - .offset:         288
        .size:           2
        .value_kind:     hidden_grid_dims
    .group_segment_fixed_size: 0
    .kernarg_segment_align: 8
    .kernarg_segment_size: 480
    .language:       OpenCL C
    .language_version:
      - 2
      - 0
    .max_flat_workgroup_size: 1024
    .name:           naive_conv_ab_nonpacked_bwd_nchw_ushort_double_ushort_0
    .private_segment_fixed_size: 0
    .sgpr_count:     72
    .sgpr_spill_count: 0
    .symbol:         naive_conv_ab_nonpacked_bwd_nchw_ushort_double_ushort_0.kd
    .uniform_work_group_size: 1
    .uses_dynamic_stack: false
    .vgpr_count:     17
    .vgpr_spill_count: 0
    .wavefront_size: 32
    .workgroup_processor_mode: 1
  - .args:
      - .address_space:  global
        .offset:         0
        .size:           8
        .value_kind:     global_buffer
      - .actual_access:  read_only
        .address_space:  global
        .offset:         8
        .size:           8
        .value_kind:     global_buffer
      - .offset:         16
        .size:           8
        .value_kind:     by_value
      - .offset:         24
        .size:           8
        .value_kind:     by_value
      - .actual_access:  read_only
        .address_space:  global
        .offset:         32
        .size:           8
        .value_kind:     global_buffer
      - .offset:         40
        .size:           40
        .value_kind:     by_value
      - .offset:         80
        .size:           40
        .value_kind:     by_value
      - .offset:         120
        .size:           40
        .value_kind:     by_value
      - .offset:         160
        .size:           4
        .value_kind:     by_value
      - .offset:         164
        .size:           4
        .value_kind:     by_value
      - .offset:         168
        .size:           4
        .value_kind:     by_value
      - .offset:         172
        .size:           4
        .value_kind:     by_value
      - .offset:         176
        .size:           4
        .value_kind:     by_value
      - .offset:         180
        .size:           4
        .value_kind:     by_value
      - .offset:         184
        .size:           4
        .value_kind:     by_value
      - .offset:         188
        .size:           4
        .value_kind:     by_value
      - .offset:         192
        .size:           4
        .value_kind:     by_value
      - .offset:         196
        .size:           4
        .value_kind:     by_value
      - .offset:         200
        .size:           4
        .value_kind:     by_value
      - .offset:         204
        .size:           4
        .value_kind:     by_value
      - .offset:         208
        .size:           4
        .value_kind:     by_value
      - .offset:         212
        .size:           4
        .value_kind:     by_value
      - .offset:         216
        .size:           4
        .value_kind:     by_value
      - .offset:         220
        .size:           4
        .value_kind:     by_value
      - .offset:         224
        .size:           4
        .value_kind:     hidden_block_count_x
      - .offset:         228
        .size:           4
        .value_kind:     hidden_block_count_y
      - .offset:         232
        .size:           4
        .value_kind:     hidden_block_count_z
      - .offset:         236
        .size:           2
        .value_kind:     hidden_group_size_x
      - .offset:         238
        .size:           2
        .value_kind:     hidden_group_size_y
      - .offset:         240
        .size:           2
        .value_kind:     hidden_group_size_z
      - .offset:         242
        .size:           2
        .value_kind:     hidden_remainder_x
      - .offset:         244
        .size:           2
        .value_kind:     hidden_remainder_y
      - .offset:         246
        .size:           2
        .value_kind:     hidden_remainder_z
      - .offset:         264
        .size:           8
        .value_kind:     hidden_global_offset_x
      - .offset:         272
        .size:           8
        .value_kind:     hidden_global_offset_y
      - .offset:         280
        .size:           8
        .value_kind:     hidden_global_offset_z
      - .offset:         288
        .size:           2
        .value_kind:     hidden_grid_dims
    .group_segment_fixed_size: 0
    .kernarg_segment_align: 8
    .kernarg_segment_size: 480
    .language:       OpenCL C
    .language_version:
      - 2
      - 0
    .max_flat_workgroup_size: 1024
    .name:           naive_conv_ab_packed_bwd_nhwc_float_double_float_0
    .private_segment_fixed_size: 0
    .sgpr_count:     68
    .sgpr_spill_count: 0
    .symbol:         naive_conv_ab_packed_bwd_nhwc_float_double_float_0.kd
    .uniform_work_group_size: 1
    .uses_dynamic_stack: false
    .vgpr_count:     23
    .vgpr_spill_count: 0
    .wavefront_size: 32
    .workgroup_processor_mode: 1
  - .args:
      - .address_space:  global
        .offset:         0
        .size:           8
        .value_kind:     global_buffer
      - .actual_access:  read_only
        .address_space:  global
        .offset:         8
        .size:           8
        .value_kind:     global_buffer
      - .offset:         16
        .size:           8
        .value_kind:     by_value
      - .offset:         24
        .size:           8
        .value_kind:     by_value
      - .actual_access:  read_only
        .address_space:  global
        .offset:         32
        .size:           8
        .value_kind:     global_buffer
      - .offset:         40
        .size:           40
        .value_kind:     by_value
      - .offset:         80
        .size:           40
        .value_kind:     by_value
      - .offset:         120
        .size:           40
        .value_kind:     by_value
      - .offset:         160
        .size:           4
        .value_kind:     by_value
      - .offset:         164
        .size:           4
        .value_kind:     by_value
      - .offset:         168
        .size:           4
        .value_kind:     by_value
      - .offset:         172
        .size:           4
        .value_kind:     by_value
      - .offset:         176
        .size:           4
        .value_kind:     by_value
      - .offset:         180
        .size:           4
        .value_kind:     by_value
      - .offset:         184
        .size:           4
        .value_kind:     by_value
      - .offset:         188
        .size:           4
        .value_kind:     by_value
      - .offset:         192
        .size:           4
        .value_kind:     by_value
      - .offset:         196
        .size:           4
        .value_kind:     by_value
      - .offset:         200
        .size:           4
        .value_kind:     by_value
      - .offset:         204
        .size:           4
        .value_kind:     by_value
      - .offset:         208
        .size:           4
        .value_kind:     by_value
      - .offset:         212
        .size:           4
        .value_kind:     by_value
      - .offset:         216
        .size:           4
        .value_kind:     by_value
      - .offset:         220
        .size:           4
        .value_kind:     by_value
      - .offset:         224
        .size:           4
        .value_kind:     hidden_block_count_x
      - .offset:         228
        .size:           4
        .value_kind:     hidden_block_count_y
      - .offset:         232
        .size:           4
        .value_kind:     hidden_block_count_z
      - .offset:         236
        .size:           2
        .value_kind:     hidden_group_size_x
      - .offset:         238
        .size:           2
        .value_kind:     hidden_group_size_y
      - .offset:         240
        .size:           2
        .value_kind:     hidden_group_size_z
      - .offset:         242
        .size:           2
        .value_kind:     hidden_remainder_x
      - .offset:         244
        .size:           2
        .value_kind:     hidden_remainder_y
      - .offset:         246
        .size:           2
        .value_kind:     hidden_remainder_z
      - .offset:         264
        .size:           8
        .value_kind:     hidden_global_offset_x
      - .offset:         272
        .size:           8
        .value_kind:     hidden_global_offset_y
      - .offset:         280
        .size:           8
        .value_kind:     hidden_global_offset_z
      - .offset:         288
        .size:           2
        .value_kind:     hidden_grid_dims
    .group_segment_fixed_size: 0
    .kernarg_segment_align: 8
    .kernarg_segment_size: 480
    .language:       OpenCL C
    .language_version:
      - 2
      - 0
    .max_flat_workgroup_size: 1024
    .name:           naive_conv_ab_nonpacked_bwd_nhwc_float_double_float_0
    .private_segment_fixed_size: 0
    .sgpr_count:     82
    .sgpr_spill_count: 0
    .symbol:         naive_conv_ab_nonpacked_bwd_nhwc_float_double_float_0.kd
    .uniform_work_group_size: 1
    .uses_dynamic_stack: false
    .vgpr_count:     25
    .vgpr_spill_count: 0
    .wavefront_size: 32
    .workgroup_processor_mode: 1
  - .args:
      - .address_space:  global
        .offset:         0
        .size:           8
        .value_kind:     global_buffer
      - .actual_access:  read_only
        .address_space:  global
        .offset:         8
        .size:           8
        .value_kind:     global_buffer
      - .offset:         16
        .size:           8
        .value_kind:     by_value
      - .offset:         24
        .size:           8
        .value_kind:     by_value
      - .actual_access:  read_only
        .address_space:  global
        .offset:         32
        .size:           8
        .value_kind:     global_buffer
      - .offset:         40
        .size:           40
        .value_kind:     by_value
      - .offset:         80
        .size:           40
        .value_kind:     by_value
      - .offset:         120
        .size:           40
        .value_kind:     by_value
      - .offset:         160
        .size:           4
        .value_kind:     by_value
      - .offset:         164
        .size:           4
        .value_kind:     by_value
      - .offset:         168
        .size:           4
        .value_kind:     by_value
      - .offset:         172
        .size:           4
        .value_kind:     by_value
      - .offset:         176
        .size:           4
        .value_kind:     by_value
      - .offset:         180
        .size:           4
        .value_kind:     by_value
      - .offset:         184
        .size:           4
        .value_kind:     by_value
      - .offset:         188
        .size:           4
        .value_kind:     by_value
      - .offset:         192
        .size:           4
        .value_kind:     by_value
      - .offset:         196
        .size:           4
        .value_kind:     by_value
      - .offset:         200
        .size:           4
        .value_kind:     by_value
      - .offset:         204
        .size:           4
        .value_kind:     by_value
      - .offset:         208
        .size:           4
        .value_kind:     by_value
      - .offset:         212
        .size:           4
        .value_kind:     by_value
      - .offset:         216
        .size:           4
        .value_kind:     by_value
      - .offset:         220
        .size:           4
        .value_kind:     by_value
      - .offset:         224
        .size:           4
        .value_kind:     hidden_block_count_x
      - .offset:         228
        .size:           4
        .value_kind:     hidden_block_count_y
      - .offset:         232
        .size:           4
        .value_kind:     hidden_block_count_z
      - .offset:         236
        .size:           2
        .value_kind:     hidden_group_size_x
      - .offset:         238
        .size:           2
        .value_kind:     hidden_group_size_y
      - .offset:         240
        .size:           2
        .value_kind:     hidden_group_size_z
      - .offset:         242
        .size:           2
        .value_kind:     hidden_remainder_x
      - .offset:         244
        .size:           2
        .value_kind:     hidden_remainder_y
      - .offset:         246
        .size:           2
        .value_kind:     hidden_remainder_z
      - .offset:         264
        .size:           8
        .value_kind:     hidden_global_offset_x
      - .offset:         272
        .size:           8
        .value_kind:     hidden_global_offset_y
      - .offset:         280
        .size:           8
        .value_kind:     hidden_global_offset_z
      - .offset:         288
        .size:           2
        .value_kind:     hidden_grid_dims
    .group_segment_fixed_size: 0
    .kernarg_segment_align: 8
    .kernarg_segment_size: 480
    .language:       OpenCL C
    .language_version:
      - 2
      - 0
    .max_flat_workgroup_size: 1024
    .name:           naive_conv_ab_packed_bwd_nhwc_float_double_float_1
    .private_segment_fixed_size: 0
    .sgpr_count:     68
    .sgpr_spill_count: 0
    .symbol:         naive_conv_ab_packed_bwd_nhwc_float_double_float_1.kd
    .uniform_work_group_size: 1
    .uses_dynamic_stack: false
    .vgpr_count:     23
    .vgpr_spill_count: 0
    .wavefront_size: 32
    .workgroup_processor_mode: 1
  - .args:
      - .address_space:  global
        .offset:         0
        .size:           8
        .value_kind:     global_buffer
      - .actual_access:  read_only
        .address_space:  global
        .offset:         8
        .size:           8
        .value_kind:     global_buffer
      - .offset:         16
        .size:           8
        .value_kind:     by_value
      - .offset:         24
        .size:           8
        .value_kind:     by_value
      - .actual_access:  read_only
        .address_space:  global
        .offset:         32
        .size:           8
        .value_kind:     global_buffer
      - .offset:         40
        .size:           40
        .value_kind:     by_value
      - .offset:         80
        .size:           40
        .value_kind:     by_value
      - .offset:         120
        .size:           40
        .value_kind:     by_value
      - .offset:         160
        .size:           4
        .value_kind:     by_value
      - .offset:         164
        .size:           4
        .value_kind:     by_value
      - .offset:         168
        .size:           4
        .value_kind:     by_value
      - .offset:         172
        .size:           4
        .value_kind:     by_value
      - .offset:         176
        .size:           4
        .value_kind:     by_value
      - .offset:         180
        .size:           4
        .value_kind:     by_value
      - .offset:         184
        .size:           4
        .value_kind:     by_value
      - .offset:         188
        .size:           4
        .value_kind:     by_value
      - .offset:         192
        .size:           4
        .value_kind:     by_value
      - .offset:         196
        .size:           4
        .value_kind:     by_value
      - .offset:         200
        .size:           4
        .value_kind:     by_value
      - .offset:         204
        .size:           4
        .value_kind:     by_value
      - .offset:         208
        .size:           4
        .value_kind:     by_value
      - .offset:         212
        .size:           4
        .value_kind:     by_value
      - .offset:         216
        .size:           4
        .value_kind:     by_value
      - .offset:         220
        .size:           4
        .value_kind:     by_value
      - .offset:         224
        .size:           4
        .value_kind:     hidden_block_count_x
      - .offset:         228
        .size:           4
        .value_kind:     hidden_block_count_y
      - .offset:         232
        .size:           4
        .value_kind:     hidden_block_count_z
      - .offset:         236
        .size:           2
        .value_kind:     hidden_group_size_x
      - .offset:         238
        .size:           2
        .value_kind:     hidden_group_size_y
      - .offset:         240
        .size:           2
        .value_kind:     hidden_group_size_z
      - .offset:         242
        .size:           2
        .value_kind:     hidden_remainder_x
      - .offset:         244
        .size:           2
        .value_kind:     hidden_remainder_y
      - .offset:         246
        .size:           2
        .value_kind:     hidden_remainder_z
      - .offset:         264
        .size:           8
        .value_kind:     hidden_global_offset_x
      - .offset:         272
        .size:           8
        .value_kind:     hidden_global_offset_y
      - .offset:         280
        .size:           8
        .value_kind:     hidden_global_offset_z
      - .offset:         288
        .size:           2
        .value_kind:     hidden_grid_dims
    .group_segment_fixed_size: 0
    .kernarg_segment_align: 8
    .kernarg_segment_size: 480
    .language:       OpenCL C
    .language_version:
      - 2
      - 0
    .max_flat_workgroup_size: 1024
    .name:           naive_conv_ab_nonpacked_bwd_nhwc_float_double_float_1
    .private_segment_fixed_size: 0
    .sgpr_count:     82
    .sgpr_spill_count: 0
    .symbol:         naive_conv_ab_nonpacked_bwd_nhwc_float_double_float_1.kd
    .uniform_work_group_size: 1
    .uses_dynamic_stack: false
    .vgpr_count:     25
    .vgpr_spill_count: 0
    .wavefront_size: 32
    .workgroup_processor_mode: 1
  - .args:
      - .address_space:  global
        .offset:         0
        .size:           8
        .value_kind:     global_buffer
      - .actual_access:  read_only
        .address_space:  global
        .offset:         8
        .size:           8
        .value_kind:     global_buffer
      - .offset:         16
        .size:           8
        .value_kind:     by_value
      - .offset:         24
        .size:           8
        .value_kind:     by_value
      - .actual_access:  read_only
        .address_space:  global
        .offset:         32
        .size:           8
        .value_kind:     global_buffer
      - .offset:         40
        .size:           40
        .value_kind:     by_value
      - .offset:         80
        .size:           40
        .value_kind:     by_value
      - .offset:         120
        .size:           40
        .value_kind:     by_value
      - .offset:         160
        .size:           4
        .value_kind:     by_value
      - .offset:         164
        .size:           4
        .value_kind:     by_value
      - .offset:         168
        .size:           4
        .value_kind:     by_value
      - .offset:         172
        .size:           4
        .value_kind:     by_value
      - .offset:         176
        .size:           4
        .value_kind:     by_value
      - .offset:         180
        .size:           4
        .value_kind:     by_value
      - .offset:         184
        .size:           4
        .value_kind:     by_value
      - .offset:         188
        .size:           4
        .value_kind:     by_value
      - .offset:         192
        .size:           4
        .value_kind:     by_value
      - .offset:         196
        .size:           4
        .value_kind:     by_value
      - .offset:         200
        .size:           4
        .value_kind:     by_value
      - .offset:         204
        .size:           4
        .value_kind:     by_value
      - .offset:         208
        .size:           4
        .value_kind:     by_value
      - .offset:         212
        .size:           4
        .value_kind:     by_value
      - .offset:         216
        .size:           4
        .value_kind:     by_value
      - .offset:         220
        .size:           4
        .value_kind:     by_value
      - .offset:         224
        .size:           4
        .value_kind:     hidden_block_count_x
      - .offset:         228
        .size:           4
        .value_kind:     hidden_block_count_y
      - .offset:         232
        .size:           4
        .value_kind:     hidden_block_count_z
      - .offset:         236
        .size:           2
        .value_kind:     hidden_group_size_x
      - .offset:         238
        .size:           2
        .value_kind:     hidden_group_size_y
      - .offset:         240
        .size:           2
        .value_kind:     hidden_group_size_z
      - .offset:         242
        .size:           2
        .value_kind:     hidden_remainder_x
      - .offset:         244
        .size:           2
        .value_kind:     hidden_remainder_y
      - .offset:         246
        .size:           2
        .value_kind:     hidden_remainder_z
      - .offset:         264
        .size:           8
        .value_kind:     hidden_global_offset_x
      - .offset:         272
        .size:           8
        .value_kind:     hidden_global_offset_y
      - .offset:         280
        .size:           8
        .value_kind:     hidden_global_offset_z
      - .offset:         288
        .size:           2
        .value_kind:     hidden_grid_dims
    .group_segment_fixed_size: 0
    .kernarg_segment_align: 8
    .kernarg_segment_size: 480
    .language:       OpenCL C
    .language_version:
      - 2
      - 0
    .max_flat_workgroup_size: 1024
    .name:           naive_conv_ab_packed_bwd_nhwc_half_double_half_0
    .private_segment_fixed_size: 0
    .sgpr_count:     68
    .sgpr_spill_count: 0
    .symbol:         naive_conv_ab_packed_bwd_nhwc_half_double_half_0.kd
    .uniform_work_group_size: 1
    .uses_dynamic_stack: false
    .vgpr_count:     24
    .vgpr_spill_count: 0
    .wavefront_size: 32
    .workgroup_processor_mode: 1
  - .args:
      - .address_space:  global
        .offset:         0
        .size:           8
        .value_kind:     global_buffer
      - .actual_access:  read_only
        .address_space:  global
        .offset:         8
        .size:           8
        .value_kind:     global_buffer
      - .offset:         16
        .size:           8
        .value_kind:     by_value
      - .offset:         24
        .size:           8
        .value_kind:     by_value
      - .actual_access:  read_only
        .address_space:  global
        .offset:         32
        .size:           8
        .value_kind:     global_buffer
      - .offset:         40
        .size:           40
        .value_kind:     by_value
      - .offset:         80
        .size:           40
        .value_kind:     by_value
      - .offset:         120
        .size:           40
        .value_kind:     by_value
      - .offset:         160
        .size:           4
        .value_kind:     by_value
      - .offset:         164
        .size:           4
        .value_kind:     by_value
      - .offset:         168
        .size:           4
        .value_kind:     by_value
      - .offset:         172
        .size:           4
        .value_kind:     by_value
      - .offset:         176
        .size:           4
        .value_kind:     by_value
      - .offset:         180
        .size:           4
        .value_kind:     by_value
      - .offset:         184
        .size:           4
        .value_kind:     by_value
      - .offset:         188
        .size:           4
        .value_kind:     by_value
      - .offset:         192
        .size:           4
        .value_kind:     by_value
      - .offset:         196
        .size:           4
        .value_kind:     by_value
      - .offset:         200
        .size:           4
        .value_kind:     by_value
      - .offset:         204
        .size:           4
        .value_kind:     by_value
      - .offset:         208
        .size:           4
        .value_kind:     by_value
      - .offset:         212
        .size:           4
        .value_kind:     by_value
      - .offset:         216
        .size:           4
        .value_kind:     by_value
      - .offset:         220
        .size:           4
        .value_kind:     by_value
      - .offset:         224
        .size:           4
        .value_kind:     hidden_block_count_x
      - .offset:         228
        .size:           4
        .value_kind:     hidden_block_count_y
      - .offset:         232
        .size:           4
        .value_kind:     hidden_block_count_z
      - .offset:         236
        .size:           2
        .value_kind:     hidden_group_size_x
      - .offset:         238
        .size:           2
        .value_kind:     hidden_group_size_y
      - .offset:         240
        .size:           2
        .value_kind:     hidden_group_size_z
      - .offset:         242
        .size:           2
        .value_kind:     hidden_remainder_x
      - .offset:         244
        .size:           2
        .value_kind:     hidden_remainder_y
      - .offset:         246
        .size:           2
        .value_kind:     hidden_remainder_z
      - .offset:         264
        .size:           8
        .value_kind:     hidden_global_offset_x
      - .offset:         272
        .size:           8
        .value_kind:     hidden_global_offset_y
      - .offset:         280
        .size:           8
        .value_kind:     hidden_global_offset_z
      - .offset:         288
        .size:           2
        .value_kind:     hidden_grid_dims
    .group_segment_fixed_size: 0
    .kernarg_segment_align: 8
    .kernarg_segment_size: 480
    .language:       OpenCL C
    .language_version:
      - 2
      - 0
    .max_flat_workgroup_size: 1024
    .name:           naive_conv_ab_nonpacked_bwd_nhwc_half_double_half_0
    .private_segment_fixed_size: 0
    .sgpr_count:     82
    .sgpr_spill_count: 0
    .symbol:         naive_conv_ab_nonpacked_bwd_nhwc_half_double_half_0.kd
    .uniform_work_group_size: 1
    .uses_dynamic_stack: false
    .vgpr_count:     26
    .vgpr_spill_count: 0
    .wavefront_size: 32
    .workgroup_processor_mode: 1
  - .args:
      - .address_space:  global
        .offset:         0
        .size:           8
        .value_kind:     global_buffer
      - .actual_access:  read_only
        .address_space:  global
        .offset:         8
        .size:           8
        .value_kind:     global_buffer
      - .offset:         16
        .size:           8
        .value_kind:     by_value
      - .offset:         24
        .size:           8
        .value_kind:     by_value
      - .actual_access:  read_only
        .address_space:  global
        .offset:         32
        .size:           8
        .value_kind:     global_buffer
      - .offset:         40
        .size:           40
        .value_kind:     by_value
      - .offset:         80
        .size:           40
        .value_kind:     by_value
      - .offset:         120
        .size:           40
        .value_kind:     by_value
      - .offset:         160
        .size:           4
        .value_kind:     by_value
      - .offset:         164
        .size:           4
        .value_kind:     by_value
      - .offset:         168
        .size:           4
        .value_kind:     by_value
      - .offset:         172
        .size:           4
        .value_kind:     by_value
      - .offset:         176
        .size:           4
        .value_kind:     by_value
      - .offset:         180
        .size:           4
        .value_kind:     by_value
      - .offset:         184
        .size:           4
        .value_kind:     by_value
      - .offset:         188
        .size:           4
        .value_kind:     by_value
      - .offset:         192
        .size:           4
        .value_kind:     by_value
      - .offset:         196
        .size:           4
        .value_kind:     by_value
      - .offset:         200
        .size:           4
        .value_kind:     by_value
      - .offset:         204
        .size:           4
        .value_kind:     by_value
      - .offset:         208
        .size:           4
        .value_kind:     by_value
      - .offset:         212
        .size:           4
        .value_kind:     by_value
      - .offset:         216
        .size:           4
        .value_kind:     by_value
      - .offset:         220
        .size:           4
        .value_kind:     by_value
      - .offset:         224
        .size:           4
        .value_kind:     hidden_block_count_x
      - .offset:         228
        .size:           4
        .value_kind:     hidden_block_count_y
      - .offset:         232
        .size:           4
        .value_kind:     hidden_block_count_z
      - .offset:         236
        .size:           2
        .value_kind:     hidden_group_size_x
      - .offset:         238
        .size:           2
        .value_kind:     hidden_group_size_y
      - .offset:         240
        .size:           2
        .value_kind:     hidden_group_size_z
      - .offset:         242
        .size:           2
        .value_kind:     hidden_remainder_x
      - .offset:         244
        .size:           2
        .value_kind:     hidden_remainder_y
      - .offset:         246
        .size:           2
        .value_kind:     hidden_remainder_z
      - .offset:         264
        .size:           8
        .value_kind:     hidden_global_offset_x
      - .offset:         272
        .size:           8
        .value_kind:     hidden_global_offset_y
      - .offset:         280
        .size:           8
        .value_kind:     hidden_global_offset_z
      - .offset:         288
        .size:           2
        .value_kind:     hidden_grid_dims
    .group_segment_fixed_size: 0
    .kernarg_segment_align: 8
    .kernarg_segment_size: 480
    .language:       OpenCL C
    .language_version:
      - 2
      - 0
    .max_flat_workgroup_size: 1024
    .name:           naive_conv_ab_packed_bwd_nhwc_ushort_double_ushort_0
    .private_segment_fixed_size: 0
    .sgpr_count:     68
    .sgpr_spill_count: 0
    .symbol:         naive_conv_ab_packed_bwd_nhwc_ushort_double_ushort_0.kd
    .uniform_work_group_size: 1
    .uses_dynamic_stack: false
    .vgpr_count:     23
    .vgpr_spill_count: 0
    .wavefront_size: 32
    .workgroup_processor_mode: 1
  - .args:
      - .address_space:  global
        .offset:         0
        .size:           8
        .value_kind:     global_buffer
      - .actual_access:  read_only
        .address_space:  global
        .offset:         8
        .size:           8
        .value_kind:     global_buffer
      - .offset:         16
        .size:           8
        .value_kind:     by_value
      - .offset:         24
        .size:           8
        .value_kind:     by_value
      - .actual_access:  read_only
        .address_space:  global
        .offset:         32
        .size:           8
        .value_kind:     global_buffer
      - .offset:         40
        .size:           40
        .value_kind:     by_value
      - .offset:         80
        .size:           40
        .value_kind:     by_value
      - .offset:         120
        .size:           40
        .value_kind:     by_value
      - .offset:         160
        .size:           4
        .value_kind:     by_value
      - .offset:         164
        .size:           4
        .value_kind:     by_value
      - .offset:         168
        .size:           4
        .value_kind:     by_value
      - .offset:         172
        .size:           4
        .value_kind:     by_value
      - .offset:         176
        .size:           4
        .value_kind:     by_value
      - .offset:         180
        .size:           4
        .value_kind:     by_value
      - .offset:         184
        .size:           4
        .value_kind:     by_value
      - .offset:         188
        .size:           4
        .value_kind:     by_value
      - .offset:         192
        .size:           4
        .value_kind:     by_value
      - .offset:         196
        .size:           4
        .value_kind:     by_value
      - .offset:         200
        .size:           4
        .value_kind:     by_value
      - .offset:         204
        .size:           4
        .value_kind:     by_value
      - .offset:         208
        .size:           4
        .value_kind:     by_value
      - .offset:         212
        .size:           4
        .value_kind:     by_value
      - .offset:         216
        .size:           4
        .value_kind:     by_value
      - .offset:         220
        .size:           4
        .value_kind:     by_value
      - .offset:         224
        .size:           4
        .value_kind:     hidden_block_count_x
      - .offset:         228
        .size:           4
        .value_kind:     hidden_block_count_y
      - .offset:         232
        .size:           4
        .value_kind:     hidden_block_count_z
      - .offset:         236
        .size:           2
        .value_kind:     hidden_group_size_x
      - .offset:         238
        .size:           2
        .value_kind:     hidden_group_size_y
      - .offset:         240
        .size:           2
        .value_kind:     hidden_group_size_z
      - .offset:         242
        .size:           2
        .value_kind:     hidden_remainder_x
      - .offset:         244
        .size:           2
        .value_kind:     hidden_remainder_y
      - .offset:         246
        .size:           2
        .value_kind:     hidden_remainder_z
      - .offset:         264
        .size:           8
        .value_kind:     hidden_global_offset_x
      - .offset:         272
        .size:           8
        .value_kind:     hidden_global_offset_y
      - .offset:         280
        .size:           8
        .value_kind:     hidden_global_offset_z
      - .offset:         288
        .size:           2
        .value_kind:     hidden_grid_dims
    .group_segment_fixed_size: 0
    .kernarg_segment_align: 8
    .kernarg_segment_size: 480
    .language:       OpenCL C
    .language_version:
      - 2
      - 0
    .max_flat_workgroup_size: 1024
    .name:           naive_conv_ab_nonpacked_bwd_nhwc_ushort_double_ushort_0
    .private_segment_fixed_size: 0
    .sgpr_count:     82
    .sgpr_spill_count: 0
    .symbol:         naive_conv_ab_nonpacked_bwd_nhwc_ushort_double_ushort_0.kd
    .uniform_work_group_size: 1
    .uses_dynamic_stack: false
    .vgpr_count:     25
    .vgpr_spill_count: 0
    .wavefront_size: 32
    .workgroup_processor_mode: 1
  - .args:
      - .actual_access:  read_only
        .address_space:  global
        .offset:         0
        .size:           8
        .value_kind:     global_buffer
      - .address_space:  global
        .offset:         8
        .size:           8
        .value_kind:     global_buffer
      - .offset:         16
        .size:           8
        .value_kind:     by_value
      - .offset:         24
        .size:           8
        .value_kind:     by_value
      - .actual_access:  read_only
        .address_space:  global
        .offset:         32
        .size:           8
        .value_kind:     global_buffer
      - .offset:         40
        .size:           40
        .value_kind:     by_value
      - .offset:         80
        .size:           40
        .value_kind:     by_value
      - .offset:         120
        .size:           40
        .value_kind:     by_value
      - .offset:         160
        .size:           4
        .value_kind:     by_value
      - .offset:         164
        .size:           4
        .value_kind:     by_value
      - .offset:         168
        .size:           4
        .value_kind:     by_value
      - .offset:         172
        .size:           4
        .value_kind:     by_value
      - .offset:         176
        .size:           4
        .value_kind:     by_value
      - .offset:         180
        .size:           4
        .value_kind:     by_value
      - .offset:         184
        .size:           4
        .value_kind:     by_value
      - .offset:         188
        .size:           4
        .value_kind:     by_value
      - .offset:         192
        .size:           4
        .value_kind:     by_value
      - .offset:         196
        .size:           4
        .value_kind:     by_value
      - .offset:         200
        .size:           4
        .value_kind:     by_value
      - .offset:         204
        .size:           4
        .value_kind:     by_value
      - .offset:         208
        .size:           4
        .value_kind:     by_value
      - .offset:         212
        .size:           4
        .value_kind:     by_value
      - .offset:         216
        .size:           4
        .value_kind:     by_value
      - .offset:         220
        .size:           4
        .value_kind:     by_value
      - .offset:         224
        .size:           4
        .value_kind:     hidden_block_count_x
      - .offset:         228
        .size:           4
        .value_kind:     hidden_block_count_y
      - .offset:         232
        .size:           4
        .value_kind:     hidden_block_count_z
      - .offset:         236
        .size:           2
        .value_kind:     hidden_group_size_x
      - .offset:         238
        .size:           2
        .value_kind:     hidden_group_size_y
      - .offset:         240
        .size:           2
        .value_kind:     hidden_group_size_z
      - .offset:         242
        .size:           2
        .value_kind:     hidden_remainder_x
      - .offset:         244
        .size:           2
        .value_kind:     hidden_remainder_y
      - .offset:         246
        .size:           2
        .value_kind:     hidden_remainder_z
      - .offset:         264
        .size:           8
        .value_kind:     hidden_global_offset_x
      - .offset:         272
        .size:           8
        .value_kind:     hidden_global_offset_y
      - .offset:         280
        .size:           8
        .value_kind:     hidden_global_offset_z
      - .offset:         288
        .size:           2
        .value_kind:     hidden_grid_dims
    .group_segment_fixed_size: 0
    .kernarg_segment_align: 8
    .kernarg_segment_size: 480
    .language:       OpenCL C
    .language_version:
      - 2
      - 0
    .max_flat_workgroup_size: 1024
    .name:           naive_conv_ab_packed_wrw_nchw_float_double_float_0
    .private_segment_fixed_size: 0
    .sgpr_count:     62
    .sgpr_spill_count: 0
    .symbol:         naive_conv_ab_packed_wrw_nchw_float_double_float_0.kd
    .uniform_work_group_size: 1
    .uses_dynamic_stack: false
    .vgpr_count:     19
    .vgpr_spill_count: 0
    .wavefront_size: 32
    .workgroup_processor_mode: 1
  - .args:
      - .actual_access:  read_only
        .address_space:  global
        .offset:         0
        .size:           8
        .value_kind:     global_buffer
      - .address_space:  global
        .offset:         8
        .size:           8
        .value_kind:     global_buffer
      - .offset:         16
        .size:           8
        .value_kind:     by_value
      - .offset:         24
        .size:           8
        .value_kind:     by_value
      - .actual_access:  read_only
        .address_space:  global
        .offset:         32
        .size:           8
        .value_kind:     global_buffer
      - .offset:         40
        .size:           40
        .value_kind:     by_value
      - .offset:         80
        .size:           40
        .value_kind:     by_value
      - .offset:         120
        .size:           40
        .value_kind:     by_value
      - .offset:         160
        .size:           4
        .value_kind:     by_value
      - .offset:         164
        .size:           4
        .value_kind:     by_value
      - .offset:         168
        .size:           4
        .value_kind:     by_value
      - .offset:         172
        .size:           4
        .value_kind:     by_value
      - .offset:         176
        .size:           4
        .value_kind:     by_value
      - .offset:         180
        .size:           4
        .value_kind:     by_value
      - .offset:         184
        .size:           4
        .value_kind:     by_value
      - .offset:         188
        .size:           4
        .value_kind:     by_value
      - .offset:         192
        .size:           4
        .value_kind:     by_value
      - .offset:         196
        .size:           4
        .value_kind:     by_value
      - .offset:         200
        .size:           4
        .value_kind:     by_value
      - .offset:         204
        .size:           4
        .value_kind:     by_value
      - .offset:         208
        .size:           4
        .value_kind:     by_value
      - .offset:         212
        .size:           4
        .value_kind:     by_value
      - .offset:         216
        .size:           4
        .value_kind:     by_value
      - .offset:         220
        .size:           4
        .value_kind:     by_value
      - .offset:         224
        .size:           4
        .value_kind:     hidden_block_count_x
      - .offset:         228
        .size:           4
        .value_kind:     hidden_block_count_y
      - .offset:         232
        .size:           4
        .value_kind:     hidden_block_count_z
      - .offset:         236
        .size:           2
        .value_kind:     hidden_group_size_x
      - .offset:         238
        .size:           2
        .value_kind:     hidden_group_size_y
      - .offset:         240
        .size:           2
        .value_kind:     hidden_group_size_z
      - .offset:         242
        .size:           2
        .value_kind:     hidden_remainder_x
      - .offset:         244
        .size:           2
        .value_kind:     hidden_remainder_y
      - .offset:         246
        .size:           2
        .value_kind:     hidden_remainder_z
      - .offset:         264
        .size:           8
        .value_kind:     hidden_global_offset_x
      - .offset:         272
        .size:           8
        .value_kind:     hidden_global_offset_y
      - .offset:         280
        .size:           8
        .value_kind:     hidden_global_offset_z
      - .offset:         288
        .size:           2
        .value_kind:     hidden_grid_dims
    .group_segment_fixed_size: 0
    .kernarg_segment_align: 8
    .kernarg_segment_size: 480
    .language:       OpenCL C
    .language_version:
      - 2
      - 0
    .max_flat_workgroup_size: 1024
    .name:           naive_conv_ab_nonpacked_wrw_nchw_float_double_float_0
    .private_segment_fixed_size: 0
    .sgpr_count:     73
    .sgpr_spill_count: 0
    .symbol:         naive_conv_ab_nonpacked_wrw_nchw_float_double_float_0.kd
    .uniform_work_group_size: 1
    .uses_dynamic_stack: false
    .vgpr_count:     20
    .vgpr_spill_count: 0
    .wavefront_size: 32
    .workgroup_processor_mode: 1
  - .args:
      - .actual_access:  read_only
        .address_space:  global
        .offset:         0
        .size:           8
        .value_kind:     global_buffer
      - .address_space:  global
        .offset:         8
        .size:           8
        .value_kind:     global_buffer
      - .offset:         16
        .size:           8
        .value_kind:     by_value
      - .offset:         24
        .size:           8
        .value_kind:     by_value
      - .actual_access:  read_only
        .address_space:  global
        .offset:         32
        .size:           8
        .value_kind:     global_buffer
      - .offset:         40
        .size:           40
        .value_kind:     by_value
      - .offset:         80
        .size:           40
        .value_kind:     by_value
      - .offset:         120
        .size:           40
        .value_kind:     by_value
      - .offset:         160
        .size:           4
        .value_kind:     by_value
      - .offset:         164
        .size:           4
        .value_kind:     by_value
      - .offset:         168
        .size:           4
        .value_kind:     by_value
      - .offset:         172
        .size:           4
        .value_kind:     by_value
      - .offset:         176
        .size:           4
        .value_kind:     by_value
      - .offset:         180
        .size:           4
        .value_kind:     by_value
      - .offset:         184
        .size:           4
        .value_kind:     by_value
      - .offset:         188
        .size:           4
        .value_kind:     by_value
      - .offset:         192
        .size:           4
        .value_kind:     by_value
      - .offset:         196
        .size:           4
        .value_kind:     by_value
      - .offset:         200
        .size:           4
        .value_kind:     by_value
      - .offset:         204
        .size:           4
        .value_kind:     by_value
      - .offset:         208
        .size:           4
        .value_kind:     by_value
      - .offset:         212
        .size:           4
        .value_kind:     by_value
      - .offset:         216
        .size:           4
        .value_kind:     by_value
      - .offset:         220
        .size:           4
        .value_kind:     by_value
      - .offset:         224
        .size:           4
        .value_kind:     hidden_block_count_x
      - .offset:         228
        .size:           4
        .value_kind:     hidden_block_count_y
      - .offset:         232
        .size:           4
        .value_kind:     hidden_block_count_z
      - .offset:         236
        .size:           2
        .value_kind:     hidden_group_size_x
      - .offset:         238
        .size:           2
        .value_kind:     hidden_group_size_y
      - .offset:         240
        .size:           2
        .value_kind:     hidden_group_size_z
      - .offset:         242
        .size:           2
        .value_kind:     hidden_remainder_x
      - .offset:         244
        .size:           2
        .value_kind:     hidden_remainder_y
      - .offset:         246
        .size:           2
        .value_kind:     hidden_remainder_z
      - .offset:         264
        .size:           8
        .value_kind:     hidden_global_offset_x
      - .offset:         272
        .size:           8
        .value_kind:     hidden_global_offset_y
      - .offset:         280
        .size:           8
        .value_kind:     hidden_global_offset_z
      - .offset:         288
        .size:           2
        .value_kind:     hidden_grid_dims
    .group_segment_fixed_size: 0
    .kernarg_segment_align: 8
    .kernarg_segment_size: 480
    .language:       OpenCL C
    .language_version:
      - 2
      - 0
    .max_flat_workgroup_size: 1024
    .name:           naive_conv_ab_packed_wrw_nchw_float_double_float_1
    .private_segment_fixed_size: 0
    .sgpr_count:     62
    .sgpr_spill_count: 0
    .symbol:         naive_conv_ab_packed_wrw_nchw_float_double_float_1.kd
    .uniform_work_group_size: 1
    .uses_dynamic_stack: false
    .vgpr_count:     19
    .vgpr_spill_count: 0
    .wavefront_size: 32
    .workgroup_processor_mode: 1
  - .args:
      - .actual_access:  read_only
        .address_space:  global
        .offset:         0
        .size:           8
        .value_kind:     global_buffer
      - .address_space:  global
        .offset:         8
        .size:           8
        .value_kind:     global_buffer
      - .offset:         16
        .size:           8
        .value_kind:     by_value
      - .offset:         24
        .size:           8
        .value_kind:     by_value
      - .actual_access:  read_only
        .address_space:  global
        .offset:         32
        .size:           8
        .value_kind:     global_buffer
      - .offset:         40
        .size:           40
        .value_kind:     by_value
      - .offset:         80
        .size:           40
        .value_kind:     by_value
      - .offset:         120
        .size:           40
        .value_kind:     by_value
      - .offset:         160
        .size:           4
        .value_kind:     by_value
      - .offset:         164
        .size:           4
        .value_kind:     by_value
      - .offset:         168
        .size:           4
        .value_kind:     by_value
      - .offset:         172
        .size:           4
        .value_kind:     by_value
      - .offset:         176
        .size:           4
        .value_kind:     by_value
      - .offset:         180
        .size:           4
        .value_kind:     by_value
      - .offset:         184
        .size:           4
        .value_kind:     by_value
      - .offset:         188
        .size:           4
        .value_kind:     by_value
      - .offset:         192
        .size:           4
        .value_kind:     by_value
      - .offset:         196
        .size:           4
        .value_kind:     by_value
      - .offset:         200
        .size:           4
        .value_kind:     by_value
      - .offset:         204
        .size:           4
        .value_kind:     by_value
      - .offset:         208
        .size:           4
        .value_kind:     by_value
      - .offset:         212
        .size:           4
        .value_kind:     by_value
      - .offset:         216
        .size:           4
        .value_kind:     by_value
      - .offset:         220
        .size:           4
        .value_kind:     by_value
      - .offset:         224
        .size:           4
        .value_kind:     hidden_block_count_x
      - .offset:         228
        .size:           4
        .value_kind:     hidden_block_count_y
      - .offset:         232
        .size:           4
        .value_kind:     hidden_block_count_z
      - .offset:         236
        .size:           2
        .value_kind:     hidden_group_size_x
      - .offset:         238
        .size:           2
        .value_kind:     hidden_group_size_y
      - .offset:         240
        .size:           2
        .value_kind:     hidden_group_size_z
      - .offset:         242
        .size:           2
        .value_kind:     hidden_remainder_x
      - .offset:         244
        .size:           2
        .value_kind:     hidden_remainder_y
      - .offset:         246
        .size:           2
        .value_kind:     hidden_remainder_z
      - .offset:         264
        .size:           8
        .value_kind:     hidden_global_offset_x
      - .offset:         272
        .size:           8
        .value_kind:     hidden_global_offset_y
      - .offset:         280
        .size:           8
        .value_kind:     hidden_global_offset_z
      - .offset:         288
        .size:           2
        .value_kind:     hidden_grid_dims
    .group_segment_fixed_size: 0
    .kernarg_segment_align: 8
    .kernarg_segment_size: 480
    .language:       OpenCL C
    .language_version:
      - 2
      - 0
    .max_flat_workgroup_size: 1024
    .name:           naive_conv_ab_nonpacked_wrw_nchw_float_double_float_1
    .private_segment_fixed_size: 0
    .sgpr_count:     73
    .sgpr_spill_count: 0
    .symbol:         naive_conv_ab_nonpacked_wrw_nchw_float_double_float_1.kd
    .uniform_work_group_size: 1
    .uses_dynamic_stack: false
    .vgpr_count:     20
    .vgpr_spill_count: 0
    .wavefront_size: 32
    .workgroup_processor_mode: 1
  - .args:
      - .actual_access:  read_only
        .address_space:  global
        .offset:         0
        .size:           8
        .value_kind:     global_buffer
      - .address_space:  global
        .offset:         8
        .size:           8
        .value_kind:     global_buffer
      - .offset:         16
        .size:           8
        .value_kind:     by_value
      - .offset:         24
        .size:           8
        .value_kind:     by_value
      - .actual_access:  read_only
        .address_space:  global
        .offset:         32
        .size:           8
        .value_kind:     global_buffer
      - .offset:         40
        .size:           40
        .value_kind:     by_value
      - .offset:         80
        .size:           40
        .value_kind:     by_value
      - .offset:         120
        .size:           40
        .value_kind:     by_value
      - .offset:         160
        .size:           4
        .value_kind:     by_value
      - .offset:         164
        .size:           4
        .value_kind:     by_value
      - .offset:         168
        .size:           4
        .value_kind:     by_value
      - .offset:         172
        .size:           4
        .value_kind:     by_value
      - .offset:         176
        .size:           4
        .value_kind:     by_value
      - .offset:         180
        .size:           4
        .value_kind:     by_value
      - .offset:         184
        .size:           4
        .value_kind:     by_value
      - .offset:         188
        .size:           4
        .value_kind:     by_value
      - .offset:         192
        .size:           4
        .value_kind:     by_value
      - .offset:         196
        .size:           4
        .value_kind:     by_value
      - .offset:         200
        .size:           4
        .value_kind:     by_value
      - .offset:         204
        .size:           4
        .value_kind:     by_value
      - .offset:         208
        .size:           4
        .value_kind:     by_value
      - .offset:         212
        .size:           4
        .value_kind:     by_value
      - .offset:         216
        .size:           4
        .value_kind:     by_value
      - .offset:         220
        .size:           4
        .value_kind:     by_value
      - .offset:         224
        .size:           4
        .value_kind:     hidden_block_count_x
      - .offset:         228
        .size:           4
        .value_kind:     hidden_block_count_y
      - .offset:         232
        .size:           4
        .value_kind:     hidden_block_count_z
      - .offset:         236
        .size:           2
        .value_kind:     hidden_group_size_x
      - .offset:         238
        .size:           2
        .value_kind:     hidden_group_size_y
      - .offset:         240
        .size:           2
        .value_kind:     hidden_group_size_z
      - .offset:         242
        .size:           2
        .value_kind:     hidden_remainder_x
      - .offset:         244
        .size:           2
        .value_kind:     hidden_remainder_y
      - .offset:         246
        .size:           2
        .value_kind:     hidden_remainder_z
      - .offset:         264
        .size:           8
        .value_kind:     hidden_global_offset_x
      - .offset:         272
        .size:           8
        .value_kind:     hidden_global_offset_y
      - .offset:         280
        .size:           8
        .value_kind:     hidden_global_offset_z
      - .offset:         288
        .size:           2
        .value_kind:     hidden_grid_dims
    .group_segment_fixed_size: 0
    .kernarg_segment_align: 8
    .kernarg_segment_size: 480
    .language:       OpenCL C
    .language_version:
      - 2
      - 0
    .max_flat_workgroup_size: 1024
    .name:           naive_conv_ab_packed_wrw_nchw_half_double_half_0
    .private_segment_fixed_size: 0
    .sgpr_count:     62
    .sgpr_spill_count: 0
    .symbol:         naive_conv_ab_packed_wrw_nchw_half_double_half_0.kd
    .uniform_work_group_size: 1
    .uses_dynamic_stack: false
    .vgpr_count:     20
    .vgpr_spill_count: 0
    .wavefront_size: 32
    .workgroup_processor_mode: 1
  - .args:
      - .actual_access:  read_only
        .address_space:  global
        .offset:         0
        .size:           8
        .value_kind:     global_buffer
      - .address_space:  global
        .offset:         8
        .size:           8
        .value_kind:     global_buffer
      - .offset:         16
        .size:           8
        .value_kind:     by_value
      - .offset:         24
        .size:           8
        .value_kind:     by_value
      - .actual_access:  read_only
        .address_space:  global
        .offset:         32
        .size:           8
        .value_kind:     global_buffer
      - .offset:         40
        .size:           40
        .value_kind:     by_value
      - .offset:         80
        .size:           40
        .value_kind:     by_value
      - .offset:         120
        .size:           40
        .value_kind:     by_value
      - .offset:         160
        .size:           4
        .value_kind:     by_value
      - .offset:         164
        .size:           4
        .value_kind:     by_value
      - .offset:         168
        .size:           4
        .value_kind:     by_value
      - .offset:         172
        .size:           4
        .value_kind:     by_value
      - .offset:         176
        .size:           4
        .value_kind:     by_value
      - .offset:         180
        .size:           4
        .value_kind:     by_value
      - .offset:         184
        .size:           4
        .value_kind:     by_value
      - .offset:         188
        .size:           4
        .value_kind:     by_value
      - .offset:         192
        .size:           4
        .value_kind:     by_value
      - .offset:         196
        .size:           4
        .value_kind:     by_value
      - .offset:         200
        .size:           4
        .value_kind:     by_value
      - .offset:         204
        .size:           4
        .value_kind:     by_value
      - .offset:         208
        .size:           4
        .value_kind:     by_value
      - .offset:         212
        .size:           4
        .value_kind:     by_value
      - .offset:         216
        .size:           4
        .value_kind:     by_value
      - .offset:         220
        .size:           4
        .value_kind:     by_value
      - .offset:         224
        .size:           4
        .value_kind:     hidden_block_count_x
      - .offset:         228
        .size:           4
        .value_kind:     hidden_block_count_y
      - .offset:         232
        .size:           4
        .value_kind:     hidden_block_count_z
      - .offset:         236
        .size:           2
        .value_kind:     hidden_group_size_x
      - .offset:         238
        .size:           2
        .value_kind:     hidden_group_size_y
      - .offset:         240
        .size:           2
        .value_kind:     hidden_group_size_z
      - .offset:         242
        .size:           2
        .value_kind:     hidden_remainder_x
      - .offset:         244
        .size:           2
        .value_kind:     hidden_remainder_y
      - .offset:         246
        .size:           2
        .value_kind:     hidden_remainder_z
      - .offset:         264
        .size:           8
        .value_kind:     hidden_global_offset_x
      - .offset:         272
        .size:           8
        .value_kind:     hidden_global_offset_y
      - .offset:         280
        .size:           8
        .value_kind:     hidden_global_offset_z
      - .offset:         288
        .size:           2
        .value_kind:     hidden_grid_dims
    .group_segment_fixed_size: 0
    .kernarg_segment_align: 8
    .kernarg_segment_size: 480
    .language:       OpenCL C
    .language_version:
      - 2
      - 0
    .max_flat_workgroup_size: 1024
    .name:           naive_conv_ab_nonpacked_wrw_nchw_half_double_half_0
    .private_segment_fixed_size: 0
    .sgpr_count:     73
    .sgpr_spill_count: 0
    .symbol:         naive_conv_ab_nonpacked_wrw_nchw_half_double_half_0.kd
    .uniform_work_group_size: 1
    .uses_dynamic_stack: false
    .vgpr_count:     22
    .vgpr_spill_count: 0
    .wavefront_size: 32
    .workgroup_processor_mode: 1
  - .args:
      - .actual_access:  read_only
        .address_space:  global
        .offset:         0
        .size:           8
        .value_kind:     global_buffer
      - .address_space:  global
        .offset:         8
        .size:           8
        .value_kind:     global_buffer
      - .offset:         16
        .size:           8
        .value_kind:     by_value
      - .offset:         24
        .size:           8
        .value_kind:     by_value
      - .actual_access:  read_only
        .address_space:  global
        .offset:         32
        .size:           8
        .value_kind:     global_buffer
      - .offset:         40
        .size:           40
        .value_kind:     by_value
      - .offset:         80
        .size:           40
        .value_kind:     by_value
      - .offset:         120
        .size:           40
        .value_kind:     by_value
      - .offset:         160
        .size:           4
        .value_kind:     by_value
      - .offset:         164
        .size:           4
        .value_kind:     by_value
      - .offset:         168
        .size:           4
        .value_kind:     by_value
      - .offset:         172
        .size:           4
        .value_kind:     by_value
      - .offset:         176
        .size:           4
        .value_kind:     by_value
      - .offset:         180
        .size:           4
        .value_kind:     by_value
      - .offset:         184
        .size:           4
        .value_kind:     by_value
      - .offset:         188
        .size:           4
        .value_kind:     by_value
      - .offset:         192
        .size:           4
        .value_kind:     by_value
      - .offset:         196
        .size:           4
        .value_kind:     by_value
      - .offset:         200
        .size:           4
        .value_kind:     by_value
      - .offset:         204
        .size:           4
        .value_kind:     by_value
      - .offset:         208
        .size:           4
        .value_kind:     by_value
      - .offset:         212
        .size:           4
        .value_kind:     by_value
      - .offset:         216
        .size:           4
        .value_kind:     by_value
      - .offset:         220
        .size:           4
        .value_kind:     by_value
      - .offset:         224
        .size:           4
        .value_kind:     hidden_block_count_x
      - .offset:         228
        .size:           4
        .value_kind:     hidden_block_count_y
      - .offset:         232
        .size:           4
        .value_kind:     hidden_block_count_z
      - .offset:         236
        .size:           2
        .value_kind:     hidden_group_size_x
      - .offset:         238
        .size:           2
        .value_kind:     hidden_group_size_y
      - .offset:         240
        .size:           2
        .value_kind:     hidden_group_size_z
      - .offset:         242
        .size:           2
        .value_kind:     hidden_remainder_x
      - .offset:         244
        .size:           2
        .value_kind:     hidden_remainder_y
      - .offset:         246
        .size:           2
        .value_kind:     hidden_remainder_z
      - .offset:         264
        .size:           8
        .value_kind:     hidden_global_offset_x
      - .offset:         272
        .size:           8
        .value_kind:     hidden_global_offset_y
      - .offset:         280
        .size:           8
        .value_kind:     hidden_global_offset_z
      - .offset:         288
        .size:           2
        .value_kind:     hidden_grid_dims
    .group_segment_fixed_size: 0
    .kernarg_segment_align: 8
    .kernarg_segment_size: 480
    .language:       OpenCL C
    .language_version:
      - 2
      - 0
    .max_flat_workgroup_size: 1024
    .name:           naive_conv_ab_packed_wrw_nchw_ushort_double_ushort_0
    .private_segment_fixed_size: 0
    .sgpr_count:     62
    .sgpr_spill_count: 0
    .symbol:         naive_conv_ab_packed_wrw_nchw_ushort_double_ushort_0.kd
    .uniform_work_group_size: 1
    .uses_dynamic_stack: false
    .vgpr_count:     19
    .vgpr_spill_count: 0
    .wavefront_size: 32
    .workgroup_processor_mode: 1
  - .args:
      - .actual_access:  read_only
        .address_space:  global
        .offset:         0
        .size:           8
        .value_kind:     global_buffer
      - .address_space:  global
        .offset:         8
        .size:           8
        .value_kind:     global_buffer
      - .offset:         16
        .size:           8
        .value_kind:     by_value
      - .offset:         24
        .size:           8
        .value_kind:     by_value
      - .actual_access:  read_only
        .address_space:  global
        .offset:         32
        .size:           8
        .value_kind:     global_buffer
      - .offset:         40
        .size:           40
        .value_kind:     by_value
      - .offset:         80
        .size:           40
        .value_kind:     by_value
      - .offset:         120
        .size:           40
        .value_kind:     by_value
      - .offset:         160
        .size:           4
        .value_kind:     by_value
      - .offset:         164
        .size:           4
        .value_kind:     by_value
      - .offset:         168
        .size:           4
        .value_kind:     by_value
      - .offset:         172
        .size:           4
        .value_kind:     by_value
      - .offset:         176
        .size:           4
        .value_kind:     by_value
      - .offset:         180
        .size:           4
        .value_kind:     by_value
      - .offset:         184
        .size:           4
        .value_kind:     by_value
      - .offset:         188
        .size:           4
        .value_kind:     by_value
      - .offset:         192
        .size:           4
        .value_kind:     by_value
      - .offset:         196
        .size:           4
        .value_kind:     by_value
      - .offset:         200
        .size:           4
        .value_kind:     by_value
      - .offset:         204
        .size:           4
        .value_kind:     by_value
      - .offset:         208
        .size:           4
        .value_kind:     by_value
      - .offset:         212
        .size:           4
        .value_kind:     by_value
      - .offset:         216
        .size:           4
        .value_kind:     by_value
      - .offset:         220
        .size:           4
        .value_kind:     by_value
      - .offset:         224
        .size:           4
        .value_kind:     hidden_block_count_x
      - .offset:         228
        .size:           4
        .value_kind:     hidden_block_count_y
      - .offset:         232
        .size:           4
        .value_kind:     hidden_block_count_z
      - .offset:         236
        .size:           2
        .value_kind:     hidden_group_size_x
      - .offset:         238
        .size:           2
        .value_kind:     hidden_group_size_y
      - .offset:         240
        .size:           2
        .value_kind:     hidden_group_size_z
      - .offset:         242
        .size:           2
        .value_kind:     hidden_remainder_x
      - .offset:         244
        .size:           2
        .value_kind:     hidden_remainder_y
      - .offset:         246
        .size:           2
        .value_kind:     hidden_remainder_z
      - .offset:         264
        .size:           8
        .value_kind:     hidden_global_offset_x
      - .offset:         272
        .size:           8
        .value_kind:     hidden_global_offset_y
      - .offset:         280
        .size:           8
        .value_kind:     hidden_global_offset_z
      - .offset:         288
        .size:           2
        .value_kind:     hidden_grid_dims
    .group_segment_fixed_size: 0
    .kernarg_segment_align: 8
    .kernarg_segment_size: 480
    .language:       OpenCL C
    .language_version:
      - 2
      - 0
    .max_flat_workgroup_size: 1024
    .name:           naive_conv_ab_nonpacked_wrw_nchw_ushort_double_ushort_0
    .private_segment_fixed_size: 0
    .sgpr_count:     73
    .sgpr_spill_count: 0
    .symbol:         naive_conv_ab_nonpacked_wrw_nchw_ushort_double_ushort_0.kd
    .uniform_work_group_size: 1
    .uses_dynamic_stack: false
    .vgpr_count:     20
    .vgpr_spill_count: 0
    .wavefront_size: 32
    .workgroup_processor_mode: 1
  - .args:
      - .actual_access:  read_only
        .address_space:  global
        .offset:         0
        .size:           8
        .value_kind:     global_buffer
      - .address_space:  global
        .offset:         8
        .size:           8
        .value_kind:     global_buffer
      - .offset:         16
        .size:           8
        .value_kind:     by_value
      - .offset:         24
        .size:           8
        .value_kind:     by_value
      - .actual_access:  read_only
        .address_space:  global
        .offset:         32
        .size:           8
        .value_kind:     global_buffer
      - .offset:         40
        .size:           40
        .value_kind:     by_value
      - .offset:         80
        .size:           40
        .value_kind:     by_value
      - .offset:         120
        .size:           40
        .value_kind:     by_value
      - .offset:         160
        .size:           4
        .value_kind:     by_value
      - .offset:         164
        .size:           4
        .value_kind:     by_value
      - .offset:         168
        .size:           4
        .value_kind:     by_value
      - .offset:         172
        .size:           4
        .value_kind:     by_value
      - .offset:         176
        .size:           4
        .value_kind:     by_value
      - .offset:         180
        .size:           4
        .value_kind:     by_value
      - .offset:         184
        .size:           4
        .value_kind:     by_value
      - .offset:         188
        .size:           4
        .value_kind:     by_value
      - .offset:         192
        .size:           4
        .value_kind:     by_value
      - .offset:         196
        .size:           4
        .value_kind:     by_value
      - .offset:         200
        .size:           4
        .value_kind:     by_value
      - .offset:         204
        .size:           4
        .value_kind:     by_value
      - .offset:         208
        .size:           4
        .value_kind:     by_value
      - .offset:         212
        .size:           4
        .value_kind:     by_value
      - .offset:         216
        .size:           4
        .value_kind:     by_value
      - .offset:         220
        .size:           4
        .value_kind:     by_value
      - .offset:         224
        .size:           4
        .value_kind:     hidden_block_count_x
      - .offset:         228
        .size:           4
        .value_kind:     hidden_block_count_y
      - .offset:         232
        .size:           4
        .value_kind:     hidden_block_count_z
      - .offset:         236
        .size:           2
        .value_kind:     hidden_group_size_x
      - .offset:         238
        .size:           2
        .value_kind:     hidden_group_size_y
      - .offset:         240
        .size:           2
        .value_kind:     hidden_group_size_z
      - .offset:         242
        .size:           2
        .value_kind:     hidden_remainder_x
      - .offset:         244
        .size:           2
        .value_kind:     hidden_remainder_y
      - .offset:         246
        .size:           2
        .value_kind:     hidden_remainder_z
      - .offset:         264
        .size:           8
        .value_kind:     hidden_global_offset_x
      - .offset:         272
        .size:           8
        .value_kind:     hidden_global_offset_y
      - .offset:         280
        .size:           8
        .value_kind:     hidden_global_offset_z
      - .offset:         288
        .size:           2
        .value_kind:     hidden_grid_dims
    .group_segment_fixed_size: 0
    .kernarg_segment_align: 8
    .kernarg_segment_size: 480
    .language:       OpenCL C
    .language_version:
      - 2
      - 0
    .max_flat_workgroup_size: 1024
    .name:           naive_conv_ab_packed_wrw_nhwc_float_double_float_0
    .private_segment_fixed_size: 0
    .sgpr_count:     68
    .sgpr_spill_count: 0
    .symbol:         naive_conv_ab_packed_wrw_nhwc_float_double_float_0.kd
    .uniform_work_group_size: 1
    .uses_dynamic_stack: false
    .vgpr_count:     18
    .vgpr_spill_count: 0
    .wavefront_size: 32
    .workgroup_processor_mode: 1
  - .args:
      - .actual_access:  read_only
        .address_space:  global
        .offset:         0
        .size:           8
        .value_kind:     global_buffer
      - .address_space:  global
        .offset:         8
        .size:           8
        .value_kind:     global_buffer
      - .offset:         16
        .size:           8
        .value_kind:     by_value
      - .offset:         24
        .size:           8
        .value_kind:     by_value
      - .actual_access:  read_only
        .address_space:  global
        .offset:         32
        .size:           8
        .value_kind:     global_buffer
      - .offset:         40
        .size:           40
        .value_kind:     by_value
      - .offset:         80
        .size:           40
        .value_kind:     by_value
      - .offset:         120
        .size:           40
        .value_kind:     by_value
      - .offset:         160
        .size:           4
        .value_kind:     by_value
      - .offset:         164
        .size:           4
        .value_kind:     by_value
      - .offset:         168
        .size:           4
        .value_kind:     by_value
      - .offset:         172
        .size:           4
        .value_kind:     by_value
      - .offset:         176
        .size:           4
        .value_kind:     by_value
      - .offset:         180
        .size:           4
        .value_kind:     by_value
      - .offset:         184
        .size:           4
        .value_kind:     by_value
      - .offset:         188
        .size:           4
        .value_kind:     by_value
      - .offset:         192
        .size:           4
        .value_kind:     by_value
      - .offset:         196
        .size:           4
        .value_kind:     by_value
      - .offset:         200
        .size:           4
        .value_kind:     by_value
      - .offset:         204
        .size:           4
        .value_kind:     by_value
      - .offset:         208
        .size:           4
        .value_kind:     by_value
      - .offset:         212
        .size:           4
        .value_kind:     by_value
      - .offset:         216
        .size:           4
        .value_kind:     by_value
      - .offset:         220
        .size:           4
        .value_kind:     by_value
      - .offset:         224
        .size:           4
        .value_kind:     hidden_block_count_x
      - .offset:         228
        .size:           4
        .value_kind:     hidden_block_count_y
      - .offset:         232
        .size:           4
        .value_kind:     hidden_block_count_z
      - .offset:         236
        .size:           2
        .value_kind:     hidden_group_size_x
      - .offset:         238
        .size:           2
        .value_kind:     hidden_group_size_y
      - .offset:         240
        .size:           2
        .value_kind:     hidden_group_size_z
      - .offset:         242
        .size:           2
        .value_kind:     hidden_remainder_x
      - .offset:         244
        .size:           2
        .value_kind:     hidden_remainder_y
      - .offset:         246
        .size:           2
        .value_kind:     hidden_remainder_z
      - .offset:         264
        .size:           8
        .value_kind:     hidden_global_offset_x
      - .offset:         272
        .size:           8
        .value_kind:     hidden_global_offset_y
      - .offset:         280
        .size:           8
        .value_kind:     hidden_global_offset_z
      - .offset:         288
        .size:           2
        .value_kind:     hidden_grid_dims
    .group_segment_fixed_size: 0
    .kernarg_segment_align: 8
    .kernarg_segment_size: 480
    .language:       OpenCL C
    .language_version:
      - 2
      - 0
    .max_flat_workgroup_size: 1024
    .name:           naive_conv_ab_nonpacked_wrw_nhwc_float_double_float_0
    .private_segment_fixed_size: 0
    .sgpr_count:     74
    .sgpr_spill_count: 0
    .symbol:         naive_conv_ab_nonpacked_wrw_nhwc_float_double_float_0.kd
    .uniform_work_group_size: 1
    .uses_dynamic_stack: false
    .vgpr_count:     20
    .vgpr_spill_count: 0
    .wavefront_size: 32
    .workgroup_processor_mode: 1
  - .args:
      - .actual_access:  read_only
        .address_space:  global
        .offset:         0
        .size:           8
        .value_kind:     global_buffer
      - .address_space:  global
        .offset:         8
        .size:           8
        .value_kind:     global_buffer
      - .offset:         16
        .size:           8
        .value_kind:     by_value
      - .offset:         24
        .size:           8
        .value_kind:     by_value
      - .actual_access:  read_only
        .address_space:  global
        .offset:         32
        .size:           8
        .value_kind:     global_buffer
      - .offset:         40
        .size:           40
        .value_kind:     by_value
      - .offset:         80
        .size:           40
        .value_kind:     by_value
      - .offset:         120
        .size:           40
        .value_kind:     by_value
      - .offset:         160
        .size:           4
        .value_kind:     by_value
      - .offset:         164
        .size:           4
        .value_kind:     by_value
      - .offset:         168
        .size:           4
        .value_kind:     by_value
      - .offset:         172
        .size:           4
        .value_kind:     by_value
      - .offset:         176
        .size:           4
        .value_kind:     by_value
      - .offset:         180
        .size:           4
        .value_kind:     by_value
      - .offset:         184
        .size:           4
        .value_kind:     by_value
      - .offset:         188
        .size:           4
        .value_kind:     by_value
      - .offset:         192
        .size:           4
        .value_kind:     by_value
      - .offset:         196
        .size:           4
        .value_kind:     by_value
      - .offset:         200
        .size:           4
        .value_kind:     by_value
      - .offset:         204
        .size:           4
        .value_kind:     by_value
      - .offset:         208
        .size:           4
        .value_kind:     by_value
      - .offset:         212
        .size:           4
        .value_kind:     by_value
      - .offset:         216
        .size:           4
        .value_kind:     by_value
      - .offset:         220
        .size:           4
        .value_kind:     by_value
      - .offset:         224
        .size:           4
        .value_kind:     hidden_block_count_x
      - .offset:         228
        .size:           4
        .value_kind:     hidden_block_count_y
      - .offset:         232
        .size:           4
        .value_kind:     hidden_block_count_z
      - .offset:         236
        .size:           2
        .value_kind:     hidden_group_size_x
      - .offset:         238
        .size:           2
        .value_kind:     hidden_group_size_y
      - .offset:         240
        .size:           2
        .value_kind:     hidden_group_size_z
      - .offset:         242
        .size:           2
        .value_kind:     hidden_remainder_x
      - .offset:         244
        .size:           2
        .value_kind:     hidden_remainder_y
      - .offset:         246
        .size:           2
        .value_kind:     hidden_remainder_z
      - .offset:         264
        .size:           8
        .value_kind:     hidden_global_offset_x
      - .offset:         272
        .size:           8
        .value_kind:     hidden_global_offset_y
      - .offset:         280
        .size:           8
        .value_kind:     hidden_global_offset_z
      - .offset:         288
        .size:           2
        .value_kind:     hidden_grid_dims
    .group_segment_fixed_size: 0
    .kernarg_segment_align: 8
    .kernarg_segment_size: 480
    .language:       OpenCL C
    .language_version:
      - 2
      - 0
    .max_flat_workgroup_size: 1024
    .name:           naive_conv_ab_packed_wrw_nhwc_float_double_float_1
    .private_segment_fixed_size: 0
    .sgpr_count:     68
    .sgpr_spill_count: 0
    .symbol:         naive_conv_ab_packed_wrw_nhwc_float_double_float_1.kd
    .uniform_work_group_size: 1
    .uses_dynamic_stack: false
    .vgpr_count:     18
    .vgpr_spill_count: 0
    .wavefront_size: 32
    .workgroup_processor_mode: 1
  - .args:
      - .actual_access:  read_only
        .address_space:  global
        .offset:         0
        .size:           8
        .value_kind:     global_buffer
      - .address_space:  global
        .offset:         8
        .size:           8
        .value_kind:     global_buffer
      - .offset:         16
        .size:           8
        .value_kind:     by_value
      - .offset:         24
        .size:           8
        .value_kind:     by_value
      - .actual_access:  read_only
        .address_space:  global
        .offset:         32
        .size:           8
        .value_kind:     global_buffer
      - .offset:         40
        .size:           40
        .value_kind:     by_value
      - .offset:         80
        .size:           40
        .value_kind:     by_value
      - .offset:         120
        .size:           40
        .value_kind:     by_value
      - .offset:         160
        .size:           4
        .value_kind:     by_value
      - .offset:         164
        .size:           4
        .value_kind:     by_value
      - .offset:         168
        .size:           4
        .value_kind:     by_value
      - .offset:         172
        .size:           4
        .value_kind:     by_value
      - .offset:         176
        .size:           4
        .value_kind:     by_value
      - .offset:         180
        .size:           4
        .value_kind:     by_value
      - .offset:         184
        .size:           4
        .value_kind:     by_value
      - .offset:         188
        .size:           4
        .value_kind:     by_value
      - .offset:         192
        .size:           4
        .value_kind:     by_value
      - .offset:         196
        .size:           4
        .value_kind:     by_value
      - .offset:         200
        .size:           4
        .value_kind:     by_value
      - .offset:         204
        .size:           4
        .value_kind:     by_value
      - .offset:         208
        .size:           4
        .value_kind:     by_value
      - .offset:         212
        .size:           4
        .value_kind:     by_value
      - .offset:         216
        .size:           4
        .value_kind:     by_value
      - .offset:         220
        .size:           4
        .value_kind:     by_value
      - .offset:         224
        .size:           4
        .value_kind:     hidden_block_count_x
      - .offset:         228
        .size:           4
        .value_kind:     hidden_block_count_y
      - .offset:         232
        .size:           4
        .value_kind:     hidden_block_count_z
      - .offset:         236
        .size:           2
        .value_kind:     hidden_group_size_x
      - .offset:         238
        .size:           2
        .value_kind:     hidden_group_size_y
      - .offset:         240
        .size:           2
        .value_kind:     hidden_group_size_z
      - .offset:         242
        .size:           2
        .value_kind:     hidden_remainder_x
      - .offset:         244
        .size:           2
        .value_kind:     hidden_remainder_y
      - .offset:         246
        .size:           2
        .value_kind:     hidden_remainder_z
      - .offset:         264
        .size:           8
        .value_kind:     hidden_global_offset_x
      - .offset:         272
        .size:           8
        .value_kind:     hidden_global_offset_y
      - .offset:         280
        .size:           8
        .value_kind:     hidden_global_offset_z
      - .offset:         288
        .size:           2
        .value_kind:     hidden_grid_dims
    .group_segment_fixed_size: 0
    .kernarg_segment_align: 8
    .kernarg_segment_size: 480
    .language:       OpenCL C
    .language_version:
      - 2
      - 0
    .max_flat_workgroup_size: 1024
    .name:           naive_conv_ab_nonpacked_wrw_nhwc_float_double_float_1
    .private_segment_fixed_size: 0
    .sgpr_count:     74
    .sgpr_spill_count: 0
    .symbol:         naive_conv_ab_nonpacked_wrw_nhwc_float_double_float_1.kd
    .uniform_work_group_size: 1
    .uses_dynamic_stack: false
    .vgpr_count:     20
    .vgpr_spill_count: 0
    .wavefront_size: 32
    .workgroup_processor_mode: 1
  - .args:
      - .actual_access:  read_only
        .address_space:  global
        .offset:         0
        .size:           8
        .value_kind:     global_buffer
      - .address_space:  global
        .offset:         8
        .size:           8
        .value_kind:     global_buffer
      - .offset:         16
        .size:           8
        .value_kind:     by_value
      - .offset:         24
        .size:           8
        .value_kind:     by_value
      - .actual_access:  read_only
        .address_space:  global
        .offset:         32
        .size:           8
        .value_kind:     global_buffer
      - .offset:         40
        .size:           40
        .value_kind:     by_value
      - .offset:         80
        .size:           40
        .value_kind:     by_value
      - .offset:         120
        .size:           40
        .value_kind:     by_value
      - .offset:         160
        .size:           4
        .value_kind:     by_value
      - .offset:         164
        .size:           4
        .value_kind:     by_value
      - .offset:         168
        .size:           4
        .value_kind:     by_value
      - .offset:         172
        .size:           4
        .value_kind:     by_value
      - .offset:         176
        .size:           4
        .value_kind:     by_value
      - .offset:         180
        .size:           4
        .value_kind:     by_value
      - .offset:         184
        .size:           4
        .value_kind:     by_value
      - .offset:         188
        .size:           4
        .value_kind:     by_value
      - .offset:         192
        .size:           4
        .value_kind:     by_value
      - .offset:         196
        .size:           4
        .value_kind:     by_value
      - .offset:         200
        .size:           4
        .value_kind:     by_value
      - .offset:         204
        .size:           4
        .value_kind:     by_value
      - .offset:         208
        .size:           4
        .value_kind:     by_value
      - .offset:         212
        .size:           4
        .value_kind:     by_value
      - .offset:         216
        .size:           4
        .value_kind:     by_value
      - .offset:         220
        .size:           4
        .value_kind:     by_value
      - .offset:         224
        .size:           4
        .value_kind:     hidden_block_count_x
      - .offset:         228
        .size:           4
        .value_kind:     hidden_block_count_y
      - .offset:         232
        .size:           4
        .value_kind:     hidden_block_count_z
      - .offset:         236
        .size:           2
        .value_kind:     hidden_group_size_x
      - .offset:         238
        .size:           2
        .value_kind:     hidden_group_size_y
      - .offset:         240
        .size:           2
        .value_kind:     hidden_group_size_z
      - .offset:         242
        .size:           2
        .value_kind:     hidden_remainder_x
      - .offset:         244
        .size:           2
        .value_kind:     hidden_remainder_y
      - .offset:         246
        .size:           2
        .value_kind:     hidden_remainder_z
      - .offset:         264
        .size:           8
        .value_kind:     hidden_global_offset_x
      - .offset:         272
        .size:           8
        .value_kind:     hidden_global_offset_y
      - .offset:         280
        .size:           8
        .value_kind:     hidden_global_offset_z
      - .offset:         288
        .size:           2
        .value_kind:     hidden_grid_dims
    .group_segment_fixed_size: 0
    .kernarg_segment_align: 8
    .kernarg_segment_size: 480
    .language:       OpenCL C
    .language_version:
      - 2
      - 0
    .max_flat_workgroup_size: 1024
    .name:           naive_conv_ab_packed_wrw_nhwc_half_double_half_0
    .private_segment_fixed_size: 0
    .sgpr_count:     68
    .sgpr_spill_count: 0
    .symbol:         naive_conv_ab_packed_wrw_nhwc_half_double_half_0.kd
    .uniform_work_group_size: 1
    .uses_dynamic_stack: false
    .vgpr_count:     20
    .vgpr_spill_count: 0
    .wavefront_size: 32
    .workgroup_processor_mode: 1
  - .args:
      - .actual_access:  read_only
        .address_space:  global
        .offset:         0
        .size:           8
        .value_kind:     global_buffer
      - .address_space:  global
        .offset:         8
        .size:           8
        .value_kind:     global_buffer
      - .offset:         16
        .size:           8
        .value_kind:     by_value
      - .offset:         24
        .size:           8
        .value_kind:     by_value
      - .actual_access:  read_only
        .address_space:  global
        .offset:         32
        .size:           8
        .value_kind:     global_buffer
      - .offset:         40
        .size:           40
        .value_kind:     by_value
      - .offset:         80
        .size:           40
        .value_kind:     by_value
      - .offset:         120
        .size:           40
        .value_kind:     by_value
      - .offset:         160
        .size:           4
        .value_kind:     by_value
      - .offset:         164
        .size:           4
        .value_kind:     by_value
      - .offset:         168
        .size:           4
        .value_kind:     by_value
      - .offset:         172
        .size:           4
        .value_kind:     by_value
      - .offset:         176
        .size:           4
        .value_kind:     by_value
      - .offset:         180
        .size:           4
        .value_kind:     by_value
      - .offset:         184
        .size:           4
        .value_kind:     by_value
      - .offset:         188
        .size:           4
        .value_kind:     by_value
      - .offset:         192
        .size:           4
        .value_kind:     by_value
      - .offset:         196
        .size:           4
        .value_kind:     by_value
      - .offset:         200
        .size:           4
        .value_kind:     by_value
      - .offset:         204
        .size:           4
        .value_kind:     by_value
      - .offset:         208
        .size:           4
        .value_kind:     by_value
      - .offset:         212
        .size:           4
        .value_kind:     by_value
      - .offset:         216
        .size:           4
        .value_kind:     by_value
      - .offset:         220
        .size:           4
        .value_kind:     by_value
      - .offset:         224
        .size:           4
        .value_kind:     hidden_block_count_x
      - .offset:         228
        .size:           4
        .value_kind:     hidden_block_count_y
      - .offset:         232
        .size:           4
        .value_kind:     hidden_block_count_z
      - .offset:         236
        .size:           2
        .value_kind:     hidden_group_size_x
      - .offset:         238
        .size:           2
        .value_kind:     hidden_group_size_y
      - .offset:         240
        .size:           2
        .value_kind:     hidden_group_size_z
      - .offset:         242
        .size:           2
        .value_kind:     hidden_remainder_x
      - .offset:         244
        .size:           2
        .value_kind:     hidden_remainder_y
      - .offset:         246
        .size:           2
        .value_kind:     hidden_remainder_z
      - .offset:         264
        .size:           8
        .value_kind:     hidden_global_offset_x
      - .offset:         272
        .size:           8
        .value_kind:     hidden_global_offset_y
      - .offset:         280
        .size:           8
        .value_kind:     hidden_global_offset_z
      - .offset:         288
        .size:           2
        .value_kind:     hidden_grid_dims
    .group_segment_fixed_size: 0
    .kernarg_segment_align: 8
    .kernarg_segment_size: 480
    .language:       OpenCL C
    .language_version:
      - 2
      - 0
    .max_flat_workgroup_size: 1024
    .name:           naive_conv_ab_nonpacked_wrw_nhwc_half_double_half_0
    .private_segment_fixed_size: 0
    .sgpr_count:     76
    .sgpr_spill_count: 0
    .symbol:         naive_conv_ab_nonpacked_wrw_nhwc_half_double_half_0.kd
    .uniform_work_group_size: 1
    .uses_dynamic_stack: false
    .vgpr_count:     22
    .vgpr_spill_count: 0
    .wavefront_size: 32
    .workgroup_processor_mode: 1
  - .args:
      - .actual_access:  read_only
        .address_space:  global
        .offset:         0
        .size:           8
        .value_kind:     global_buffer
      - .address_space:  global
        .offset:         8
        .size:           8
        .value_kind:     global_buffer
      - .offset:         16
        .size:           8
        .value_kind:     by_value
      - .offset:         24
        .size:           8
        .value_kind:     by_value
      - .actual_access:  read_only
        .address_space:  global
        .offset:         32
        .size:           8
        .value_kind:     global_buffer
      - .offset:         40
        .size:           40
        .value_kind:     by_value
      - .offset:         80
        .size:           40
        .value_kind:     by_value
      - .offset:         120
        .size:           40
        .value_kind:     by_value
      - .offset:         160
        .size:           4
        .value_kind:     by_value
      - .offset:         164
        .size:           4
        .value_kind:     by_value
      - .offset:         168
        .size:           4
        .value_kind:     by_value
      - .offset:         172
        .size:           4
        .value_kind:     by_value
      - .offset:         176
        .size:           4
        .value_kind:     by_value
      - .offset:         180
        .size:           4
        .value_kind:     by_value
      - .offset:         184
        .size:           4
        .value_kind:     by_value
      - .offset:         188
        .size:           4
        .value_kind:     by_value
      - .offset:         192
        .size:           4
        .value_kind:     by_value
      - .offset:         196
        .size:           4
        .value_kind:     by_value
      - .offset:         200
        .size:           4
        .value_kind:     by_value
      - .offset:         204
        .size:           4
        .value_kind:     by_value
      - .offset:         208
        .size:           4
        .value_kind:     by_value
      - .offset:         212
        .size:           4
        .value_kind:     by_value
      - .offset:         216
        .size:           4
        .value_kind:     by_value
      - .offset:         220
        .size:           4
        .value_kind:     by_value
      - .offset:         224
        .size:           4
        .value_kind:     hidden_block_count_x
      - .offset:         228
        .size:           4
        .value_kind:     hidden_block_count_y
      - .offset:         232
        .size:           4
        .value_kind:     hidden_block_count_z
      - .offset:         236
        .size:           2
        .value_kind:     hidden_group_size_x
      - .offset:         238
        .size:           2
        .value_kind:     hidden_group_size_y
      - .offset:         240
        .size:           2
        .value_kind:     hidden_group_size_z
      - .offset:         242
        .size:           2
        .value_kind:     hidden_remainder_x
      - .offset:         244
        .size:           2
        .value_kind:     hidden_remainder_y
      - .offset:         246
        .size:           2
        .value_kind:     hidden_remainder_z
      - .offset:         264
        .size:           8
        .value_kind:     hidden_global_offset_x
      - .offset:         272
        .size:           8
        .value_kind:     hidden_global_offset_y
      - .offset:         280
        .size:           8
        .value_kind:     hidden_global_offset_z
      - .offset:         288
        .size:           2
        .value_kind:     hidden_grid_dims
    .group_segment_fixed_size: 0
    .kernarg_segment_align: 8
    .kernarg_segment_size: 480
    .language:       OpenCL C
    .language_version:
      - 2
      - 0
    .max_flat_workgroup_size: 1024
    .name:           naive_conv_ab_packed_wrw_nhwc_ushort_double_ushort_0
    .private_segment_fixed_size: 0
    .sgpr_count:     68
    .sgpr_spill_count: 0
    .symbol:         naive_conv_ab_packed_wrw_nhwc_ushort_double_ushort_0.kd
    .uniform_work_group_size: 1
    .uses_dynamic_stack: false
    .vgpr_count:     18
    .vgpr_spill_count: 0
    .wavefront_size: 32
    .workgroup_processor_mode: 1
  - .args:
      - .actual_access:  read_only
        .address_space:  global
        .offset:         0
        .size:           8
        .value_kind:     global_buffer
      - .address_space:  global
        .offset:         8
        .size:           8
        .value_kind:     global_buffer
      - .offset:         16
        .size:           8
        .value_kind:     by_value
      - .offset:         24
        .size:           8
        .value_kind:     by_value
      - .actual_access:  read_only
        .address_space:  global
        .offset:         32
        .size:           8
        .value_kind:     global_buffer
      - .offset:         40
        .size:           40
        .value_kind:     by_value
      - .offset:         80
        .size:           40
        .value_kind:     by_value
      - .offset:         120
        .size:           40
        .value_kind:     by_value
      - .offset:         160
        .size:           4
        .value_kind:     by_value
      - .offset:         164
        .size:           4
        .value_kind:     by_value
      - .offset:         168
        .size:           4
        .value_kind:     by_value
      - .offset:         172
        .size:           4
        .value_kind:     by_value
      - .offset:         176
        .size:           4
        .value_kind:     by_value
      - .offset:         180
        .size:           4
        .value_kind:     by_value
      - .offset:         184
        .size:           4
        .value_kind:     by_value
      - .offset:         188
        .size:           4
        .value_kind:     by_value
      - .offset:         192
        .size:           4
        .value_kind:     by_value
      - .offset:         196
        .size:           4
        .value_kind:     by_value
      - .offset:         200
        .size:           4
        .value_kind:     by_value
      - .offset:         204
        .size:           4
        .value_kind:     by_value
      - .offset:         208
        .size:           4
        .value_kind:     by_value
      - .offset:         212
        .size:           4
        .value_kind:     by_value
      - .offset:         216
        .size:           4
        .value_kind:     by_value
      - .offset:         220
        .size:           4
        .value_kind:     by_value
      - .offset:         224
        .size:           4
        .value_kind:     hidden_block_count_x
      - .offset:         228
        .size:           4
        .value_kind:     hidden_block_count_y
      - .offset:         232
        .size:           4
        .value_kind:     hidden_block_count_z
      - .offset:         236
        .size:           2
        .value_kind:     hidden_group_size_x
      - .offset:         238
        .size:           2
        .value_kind:     hidden_group_size_y
      - .offset:         240
        .size:           2
        .value_kind:     hidden_group_size_z
      - .offset:         242
        .size:           2
        .value_kind:     hidden_remainder_x
      - .offset:         244
        .size:           2
        .value_kind:     hidden_remainder_y
      - .offset:         246
        .size:           2
        .value_kind:     hidden_remainder_z
      - .offset:         264
        .size:           8
        .value_kind:     hidden_global_offset_x
      - .offset:         272
        .size:           8
        .value_kind:     hidden_global_offset_y
      - .offset:         280
        .size:           8
        .value_kind:     hidden_global_offset_z
      - .offset:         288
        .size:           2
        .value_kind:     hidden_grid_dims
    .group_segment_fixed_size: 0
    .kernarg_segment_align: 8
    .kernarg_segment_size: 480
    .language:       OpenCL C
    .language_version:
      - 2
      - 0
    .max_flat_workgroup_size: 1024
    .name:           naive_conv_ab_nonpacked_wrw_nhwc_ushort_double_ushort_0
    .private_segment_fixed_size: 0
    .sgpr_count:     76
    .sgpr_spill_count: 0
    .symbol:         naive_conv_ab_nonpacked_wrw_nhwc_ushort_double_ushort_0.kd
    .uniform_work_group_size: 1
    .uses_dynamic_stack: false
    .vgpr_count:     20
    .vgpr_spill_count: 0
    .wavefront_size: 32
    .workgroup_processor_mode: 1
  - .args:
      - .actual_access:  read_only
        .address_space:  global
        .offset:         0
        .size:           8
        .value_kind:     global_buffer
      - .actual_access:  read_only
        .address_space:  global
        .offset:         8
        .size:           8
        .value_kind:     global_buffer
      - .offset:         16
        .size:           8
        .value_kind:     by_value
      - .offset:         24
        .size:           8
        .value_kind:     by_value
      - .address_space:  global
        .offset:         32
        .size:           8
        .value_kind:     global_buffer
      - .offset:         40
        .size:           48
        .value_kind:     by_value
      - .offset:         88
        .size:           48
        .value_kind:     by_value
      - .offset:         136
        .size:           48
        .value_kind:     by_value
      - .offset:         184
        .size:           4
        .value_kind:     by_value
      - .offset:         188
        .size:           4
        .value_kind:     by_value
      - .offset:         192
        .size:           4
        .value_kind:     by_value
      - .offset:         196
        .size:           4
        .value_kind:     by_value
      - .offset:         200
        .size:           4
        .value_kind:     by_value
      - .offset:         204
        .size:           4
        .value_kind:     by_value
      - .offset:         208
        .size:           4
        .value_kind:     by_value
      - .offset:         212
        .size:           4
        .value_kind:     by_value
      - .offset:         216
        .size:           4
        .value_kind:     by_value
      - .offset:         220
        .size:           4
        .value_kind:     by_value
      - .offset:         224
        .size:           4
        .value_kind:     by_value
      - .offset:         228
        .size:           4
        .value_kind:     by_value
      - .offset:         232
        .size:           4
        .value_kind:     by_value
      - .offset:         236
        .size:           4
        .value_kind:     by_value
      - .offset:         240
        .size:           4
        .value_kind:     by_value
      - .offset:         244
        .size:           4
        .value_kind:     by_value
      - .offset:         248
        .size:           4
        .value_kind:     by_value
      - .offset:         252
        .size:           4
        .value_kind:     by_value
      - .offset:         256
        .size:           4
        .value_kind:     by_value
      - .offset:         260
        .size:           4
        .value_kind:     by_value
      - .offset:         264
        .size:           4
        .value_kind:     by_value
      - .offset:         268
        .size:           4
        .value_kind:     by_value
      - .offset:         272
        .size:           4
        .value_kind:     hidden_block_count_x
      - .offset:         276
        .size:           4
        .value_kind:     hidden_block_count_y
      - .offset:         280
        .size:           4
        .value_kind:     hidden_block_count_z
      - .offset:         284
        .size:           2
        .value_kind:     hidden_group_size_x
      - .offset:         286
        .size:           2
        .value_kind:     hidden_group_size_y
      - .offset:         288
        .size:           2
        .value_kind:     hidden_group_size_z
      - .offset:         290
        .size:           2
        .value_kind:     hidden_remainder_x
      - .offset:         292
        .size:           2
        .value_kind:     hidden_remainder_y
      - .offset:         294
        .size:           2
        .value_kind:     hidden_remainder_z
      - .offset:         312
        .size:           8
        .value_kind:     hidden_global_offset_x
      - .offset:         320
        .size:           8
        .value_kind:     hidden_global_offset_y
      - .offset:         328
        .size:           8
        .value_kind:     hidden_global_offset_z
      - .offset:         336
        .size:           2
        .value_kind:     hidden_grid_dims
    .group_segment_fixed_size: 0
    .kernarg_segment_align: 8
    .kernarg_segment_size: 528
    .language:       OpenCL C
    .language_version:
      - 2
      - 0
    .max_flat_workgroup_size: 1024
    .name:           naive_conv_ab_packed_fwd_ncdhw_float_double_float_0
    .private_segment_fixed_size: 0
    .sgpr_count:     75
    .sgpr_spill_count: 0
    .symbol:         naive_conv_ab_packed_fwd_ncdhw_float_double_float_0.kd
    .uniform_work_group_size: 1
    .uses_dynamic_stack: false
    .vgpr_count:     19
    .vgpr_spill_count: 0
    .wavefront_size: 32
    .workgroup_processor_mode: 1
  - .args:
      - .actual_access:  read_only
        .address_space:  global
        .offset:         0
        .size:           8
        .value_kind:     global_buffer
      - .actual_access:  read_only
        .address_space:  global
        .offset:         8
        .size:           8
        .value_kind:     global_buffer
      - .offset:         16
        .size:           8
        .value_kind:     by_value
      - .offset:         24
        .size:           8
        .value_kind:     by_value
      - .address_space:  global
        .offset:         32
        .size:           8
        .value_kind:     global_buffer
      - .offset:         40
        .size:           48
        .value_kind:     by_value
      - .offset:         88
        .size:           48
        .value_kind:     by_value
      - .offset:         136
        .size:           48
        .value_kind:     by_value
      - .offset:         184
        .size:           4
        .value_kind:     by_value
      - .offset:         188
        .size:           4
        .value_kind:     by_value
      - .offset:         192
        .size:           4
        .value_kind:     by_value
      - .offset:         196
        .size:           4
        .value_kind:     by_value
      - .offset:         200
        .size:           4
        .value_kind:     by_value
      - .offset:         204
        .size:           4
        .value_kind:     by_value
      - .offset:         208
        .size:           4
        .value_kind:     by_value
      - .offset:         212
        .size:           4
        .value_kind:     by_value
      - .offset:         216
        .size:           4
        .value_kind:     by_value
      - .offset:         220
        .size:           4
        .value_kind:     by_value
      - .offset:         224
        .size:           4
        .value_kind:     by_value
      - .offset:         228
        .size:           4
        .value_kind:     by_value
      - .offset:         232
        .size:           4
        .value_kind:     by_value
      - .offset:         236
        .size:           4
        .value_kind:     by_value
      - .offset:         240
        .size:           4
        .value_kind:     by_value
      - .offset:         244
        .size:           4
        .value_kind:     by_value
      - .offset:         248
        .size:           4
        .value_kind:     by_value
      - .offset:         252
        .size:           4
        .value_kind:     by_value
      - .offset:         256
        .size:           4
        .value_kind:     by_value
      - .offset:         260
        .size:           4
        .value_kind:     by_value
      - .offset:         264
        .size:           4
        .value_kind:     by_value
      - .offset:         268
        .size:           4
        .value_kind:     by_value
      - .offset:         272
        .size:           4
        .value_kind:     hidden_block_count_x
      - .offset:         276
        .size:           4
        .value_kind:     hidden_block_count_y
      - .offset:         280
        .size:           4
        .value_kind:     hidden_block_count_z
      - .offset:         284
        .size:           2
        .value_kind:     hidden_group_size_x
      - .offset:         286
        .size:           2
        .value_kind:     hidden_group_size_y
      - .offset:         288
        .size:           2
        .value_kind:     hidden_group_size_z
      - .offset:         290
        .size:           2
        .value_kind:     hidden_remainder_x
      - .offset:         292
        .size:           2
        .value_kind:     hidden_remainder_y
      - .offset:         294
        .size:           2
        .value_kind:     hidden_remainder_z
      - .offset:         312
        .size:           8
        .value_kind:     hidden_global_offset_x
      - .offset:         320
        .size:           8
        .value_kind:     hidden_global_offset_y
      - .offset:         328
        .size:           8
        .value_kind:     hidden_global_offset_z
      - .offset:         336
        .size:           2
        .value_kind:     hidden_grid_dims
    .group_segment_fixed_size: 0
    .kernarg_segment_align: 8
    .kernarg_segment_size: 528
    .language:       OpenCL C
    .language_version:
      - 2
      - 0
    .max_flat_workgroup_size: 1024
    .name:           naive_conv_ab_nonpacked_fwd_ncdhw_float_double_float_0
    .private_segment_fixed_size: 0
    .sgpr_count:     87
    .sgpr_spill_count: 0
    .symbol:         naive_conv_ab_nonpacked_fwd_ncdhw_float_double_float_0.kd
    .uniform_work_group_size: 1
    .uses_dynamic_stack: false
    .vgpr_count:     18
    .vgpr_spill_count: 0
    .wavefront_size: 32
    .workgroup_processor_mode: 1
  - .args:
      - .actual_access:  read_only
        .address_space:  global
        .offset:         0
        .size:           8
        .value_kind:     global_buffer
      - .actual_access:  read_only
        .address_space:  global
        .offset:         8
        .size:           8
        .value_kind:     global_buffer
      - .offset:         16
        .size:           8
        .value_kind:     by_value
      - .offset:         24
        .size:           8
        .value_kind:     by_value
      - .address_space:  global
        .offset:         32
        .size:           8
        .value_kind:     global_buffer
      - .offset:         40
        .size:           48
        .value_kind:     by_value
      - .offset:         88
        .size:           48
        .value_kind:     by_value
      - .offset:         136
        .size:           48
        .value_kind:     by_value
      - .offset:         184
        .size:           4
        .value_kind:     by_value
      - .offset:         188
        .size:           4
        .value_kind:     by_value
      - .offset:         192
        .size:           4
        .value_kind:     by_value
      - .offset:         196
        .size:           4
        .value_kind:     by_value
      - .offset:         200
        .size:           4
        .value_kind:     by_value
      - .offset:         204
        .size:           4
        .value_kind:     by_value
      - .offset:         208
        .size:           4
        .value_kind:     by_value
      - .offset:         212
        .size:           4
        .value_kind:     by_value
      - .offset:         216
        .size:           4
        .value_kind:     by_value
      - .offset:         220
        .size:           4
        .value_kind:     by_value
      - .offset:         224
        .size:           4
        .value_kind:     by_value
      - .offset:         228
        .size:           4
        .value_kind:     by_value
      - .offset:         232
        .size:           4
        .value_kind:     by_value
      - .offset:         236
        .size:           4
        .value_kind:     by_value
      - .offset:         240
        .size:           4
        .value_kind:     by_value
      - .offset:         244
        .size:           4
        .value_kind:     by_value
      - .offset:         248
        .size:           4
        .value_kind:     by_value
      - .offset:         252
        .size:           4
        .value_kind:     by_value
      - .offset:         256
        .size:           4
        .value_kind:     by_value
      - .offset:         260
        .size:           4
        .value_kind:     by_value
      - .offset:         264
        .size:           4
        .value_kind:     by_value
      - .offset:         268
        .size:           4
        .value_kind:     by_value
      - .offset:         272
        .size:           4
        .value_kind:     hidden_block_count_x
      - .offset:         276
        .size:           4
        .value_kind:     hidden_block_count_y
      - .offset:         280
        .size:           4
        .value_kind:     hidden_block_count_z
      - .offset:         284
        .size:           2
        .value_kind:     hidden_group_size_x
      - .offset:         286
        .size:           2
        .value_kind:     hidden_group_size_y
      - .offset:         288
        .size:           2
        .value_kind:     hidden_group_size_z
      - .offset:         290
        .size:           2
        .value_kind:     hidden_remainder_x
      - .offset:         292
        .size:           2
        .value_kind:     hidden_remainder_y
      - .offset:         294
        .size:           2
        .value_kind:     hidden_remainder_z
      - .offset:         312
        .size:           8
        .value_kind:     hidden_global_offset_x
      - .offset:         320
        .size:           8
        .value_kind:     hidden_global_offset_y
      - .offset:         328
        .size:           8
        .value_kind:     hidden_global_offset_z
      - .offset:         336
        .size:           2
        .value_kind:     hidden_grid_dims
    .group_segment_fixed_size: 0
    .kernarg_segment_align: 8
    .kernarg_segment_size: 528
    .language:       OpenCL C
    .language_version:
      - 2
      - 0
    .max_flat_workgroup_size: 1024
    .name:           naive_conv_ab_packed_fwd_ncdhw_float_double_float_1
    .private_segment_fixed_size: 0
    .sgpr_count:     75
    .sgpr_spill_count: 0
    .symbol:         naive_conv_ab_packed_fwd_ncdhw_float_double_float_1.kd
    .uniform_work_group_size: 1
    .uses_dynamic_stack: false
    .vgpr_count:     19
    .vgpr_spill_count: 0
    .wavefront_size: 32
    .workgroup_processor_mode: 1
  - .args:
      - .actual_access:  read_only
        .address_space:  global
        .offset:         0
        .size:           8
        .value_kind:     global_buffer
      - .actual_access:  read_only
        .address_space:  global
        .offset:         8
        .size:           8
        .value_kind:     global_buffer
      - .offset:         16
        .size:           8
        .value_kind:     by_value
      - .offset:         24
        .size:           8
        .value_kind:     by_value
      - .address_space:  global
        .offset:         32
        .size:           8
        .value_kind:     global_buffer
      - .offset:         40
        .size:           48
        .value_kind:     by_value
      - .offset:         88
        .size:           48
        .value_kind:     by_value
      - .offset:         136
        .size:           48
        .value_kind:     by_value
      - .offset:         184
        .size:           4
        .value_kind:     by_value
      - .offset:         188
        .size:           4
        .value_kind:     by_value
      - .offset:         192
        .size:           4
        .value_kind:     by_value
      - .offset:         196
        .size:           4
        .value_kind:     by_value
      - .offset:         200
        .size:           4
        .value_kind:     by_value
      - .offset:         204
        .size:           4
        .value_kind:     by_value
      - .offset:         208
        .size:           4
        .value_kind:     by_value
      - .offset:         212
        .size:           4
        .value_kind:     by_value
      - .offset:         216
        .size:           4
        .value_kind:     by_value
      - .offset:         220
        .size:           4
        .value_kind:     by_value
      - .offset:         224
        .size:           4
        .value_kind:     by_value
      - .offset:         228
        .size:           4
        .value_kind:     by_value
      - .offset:         232
        .size:           4
        .value_kind:     by_value
      - .offset:         236
        .size:           4
        .value_kind:     by_value
      - .offset:         240
        .size:           4
        .value_kind:     by_value
      - .offset:         244
        .size:           4
        .value_kind:     by_value
      - .offset:         248
        .size:           4
        .value_kind:     by_value
      - .offset:         252
        .size:           4
        .value_kind:     by_value
      - .offset:         256
        .size:           4
        .value_kind:     by_value
      - .offset:         260
        .size:           4
        .value_kind:     by_value
      - .offset:         264
        .size:           4
        .value_kind:     by_value
      - .offset:         268
        .size:           4
        .value_kind:     by_value
      - .offset:         272
        .size:           4
        .value_kind:     hidden_block_count_x
      - .offset:         276
        .size:           4
        .value_kind:     hidden_block_count_y
      - .offset:         280
        .size:           4
        .value_kind:     hidden_block_count_z
      - .offset:         284
        .size:           2
        .value_kind:     hidden_group_size_x
      - .offset:         286
        .size:           2
        .value_kind:     hidden_group_size_y
      - .offset:         288
        .size:           2
        .value_kind:     hidden_group_size_z
      - .offset:         290
        .size:           2
        .value_kind:     hidden_remainder_x
      - .offset:         292
        .size:           2
        .value_kind:     hidden_remainder_y
      - .offset:         294
        .size:           2
        .value_kind:     hidden_remainder_z
      - .offset:         312
        .size:           8
        .value_kind:     hidden_global_offset_x
      - .offset:         320
        .size:           8
        .value_kind:     hidden_global_offset_y
      - .offset:         328
        .size:           8
        .value_kind:     hidden_global_offset_z
      - .offset:         336
        .size:           2
        .value_kind:     hidden_grid_dims
    .group_segment_fixed_size: 0
    .kernarg_segment_align: 8
    .kernarg_segment_size: 528
    .language:       OpenCL C
    .language_version:
      - 2
      - 0
    .max_flat_workgroup_size: 1024
    .name:           naive_conv_ab_nonpacked_fwd_ncdhw_float_double_float_1
    .private_segment_fixed_size: 0
    .sgpr_count:     87
    .sgpr_spill_count: 0
    .symbol:         naive_conv_ab_nonpacked_fwd_ncdhw_float_double_float_1.kd
    .uniform_work_group_size: 1
    .uses_dynamic_stack: false
    .vgpr_count:     18
    .vgpr_spill_count: 0
    .wavefront_size: 32
    .workgroup_processor_mode: 1
  - .args:
      - .actual_access:  read_only
        .address_space:  global
        .offset:         0
        .size:           8
        .value_kind:     global_buffer
      - .actual_access:  read_only
        .address_space:  global
        .offset:         8
        .size:           8
        .value_kind:     global_buffer
      - .offset:         16
        .size:           8
        .value_kind:     by_value
      - .offset:         24
        .size:           8
        .value_kind:     by_value
      - .address_space:  global
        .offset:         32
        .size:           8
        .value_kind:     global_buffer
      - .offset:         40
        .size:           48
        .value_kind:     by_value
      - .offset:         88
        .size:           48
        .value_kind:     by_value
      - .offset:         136
        .size:           48
        .value_kind:     by_value
      - .offset:         184
        .size:           4
        .value_kind:     by_value
      - .offset:         188
        .size:           4
        .value_kind:     by_value
      - .offset:         192
        .size:           4
        .value_kind:     by_value
      - .offset:         196
        .size:           4
        .value_kind:     by_value
      - .offset:         200
        .size:           4
        .value_kind:     by_value
      - .offset:         204
        .size:           4
        .value_kind:     by_value
      - .offset:         208
        .size:           4
        .value_kind:     by_value
      - .offset:         212
        .size:           4
        .value_kind:     by_value
      - .offset:         216
        .size:           4
        .value_kind:     by_value
      - .offset:         220
        .size:           4
        .value_kind:     by_value
      - .offset:         224
        .size:           4
        .value_kind:     by_value
      - .offset:         228
        .size:           4
        .value_kind:     by_value
      - .offset:         232
        .size:           4
        .value_kind:     by_value
      - .offset:         236
        .size:           4
        .value_kind:     by_value
      - .offset:         240
        .size:           4
        .value_kind:     by_value
      - .offset:         244
        .size:           4
        .value_kind:     by_value
      - .offset:         248
        .size:           4
        .value_kind:     by_value
      - .offset:         252
        .size:           4
        .value_kind:     by_value
      - .offset:         256
        .size:           4
        .value_kind:     by_value
      - .offset:         260
        .size:           4
        .value_kind:     by_value
      - .offset:         264
        .size:           4
        .value_kind:     by_value
      - .offset:         268
        .size:           4
        .value_kind:     by_value
      - .offset:         272
        .size:           4
        .value_kind:     hidden_block_count_x
      - .offset:         276
        .size:           4
        .value_kind:     hidden_block_count_y
      - .offset:         280
        .size:           4
        .value_kind:     hidden_block_count_z
      - .offset:         284
        .size:           2
        .value_kind:     hidden_group_size_x
      - .offset:         286
        .size:           2
        .value_kind:     hidden_group_size_y
      - .offset:         288
        .size:           2
        .value_kind:     hidden_group_size_z
      - .offset:         290
        .size:           2
        .value_kind:     hidden_remainder_x
      - .offset:         292
        .size:           2
        .value_kind:     hidden_remainder_y
      - .offset:         294
        .size:           2
        .value_kind:     hidden_remainder_z
      - .offset:         312
        .size:           8
        .value_kind:     hidden_global_offset_x
      - .offset:         320
        .size:           8
        .value_kind:     hidden_global_offset_y
      - .offset:         328
        .size:           8
        .value_kind:     hidden_global_offset_z
      - .offset:         336
        .size:           2
        .value_kind:     hidden_grid_dims
    .group_segment_fixed_size: 0
    .kernarg_segment_align: 8
    .kernarg_segment_size: 528
    .language:       OpenCL C
    .language_version:
      - 2
      - 0
    .max_flat_workgroup_size: 1024
    .name:           naive_conv_ab_packed_fwd_ncdhw_half_double_half_0
    .private_segment_fixed_size: 0
    .sgpr_count:     75
    .sgpr_spill_count: 0
    .symbol:         naive_conv_ab_packed_fwd_ncdhw_half_double_half_0.kd
    .uniform_work_group_size: 1
    .uses_dynamic_stack: false
    .vgpr_count:     20
    .vgpr_spill_count: 0
    .wavefront_size: 32
    .workgroup_processor_mode: 1
  - .args:
      - .actual_access:  read_only
        .address_space:  global
        .offset:         0
        .size:           8
        .value_kind:     global_buffer
      - .actual_access:  read_only
        .address_space:  global
        .offset:         8
        .size:           8
        .value_kind:     global_buffer
      - .offset:         16
        .size:           8
        .value_kind:     by_value
      - .offset:         24
        .size:           8
        .value_kind:     by_value
      - .address_space:  global
        .offset:         32
        .size:           8
        .value_kind:     global_buffer
      - .offset:         40
        .size:           48
        .value_kind:     by_value
      - .offset:         88
        .size:           48
        .value_kind:     by_value
      - .offset:         136
        .size:           48
        .value_kind:     by_value
      - .offset:         184
        .size:           4
        .value_kind:     by_value
      - .offset:         188
        .size:           4
        .value_kind:     by_value
      - .offset:         192
        .size:           4
        .value_kind:     by_value
      - .offset:         196
        .size:           4
        .value_kind:     by_value
      - .offset:         200
        .size:           4
        .value_kind:     by_value
      - .offset:         204
        .size:           4
        .value_kind:     by_value
      - .offset:         208
        .size:           4
        .value_kind:     by_value
      - .offset:         212
        .size:           4
        .value_kind:     by_value
      - .offset:         216
        .size:           4
        .value_kind:     by_value
      - .offset:         220
        .size:           4
        .value_kind:     by_value
      - .offset:         224
        .size:           4
        .value_kind:     by_value
      - .offset:         228
        .size:           4
        .value_kind:     by_value
      - .offset:         232
        .size:           4
        .value_kind:     by_value
      - .offset:         236
        .size:           4
        .value_kind:     by_value
      - .offset:         240
        .size:           4
        .value_kind:     by_value
      - .offset:         244
        .size:           4
        .value_kind:     by_value
      - .offset:         248
        .size:           4
        .value_kind:     by_value
      - .offset:         252
        .size:           4
        .value_kind:     by_value
      - .offset:         256
        .size:           4
        .value_kind:     by_value
      - .offset:         260
        .size:           4
        .value_kind:     by_value
      - .offset:         264
        .size:           4
        .value_kind:     by_value
      - .offset:         268
        .size:           4
        .value_kind:     by_value
      - .offset:         272
        .size:           4
        .value_kind:     hidden_block_count_x
      - .offset:         276
        .size:           4
        .value_kind:     hidden_block_count_y
      - .offset:         280
        .size:           4
        .value_kind:     hidden_block_count_z
      - .offset:         284
        .size:           2
        .value_kind:     hidden_group_size_x
      - .offset:         286
        .size:           2
        .value_kind:     hidden_group_size_y
      - .offset:         288
        .size:           2
        .value_kind:     hidden_group_size_z
      - .offset:         290
        .size:           2
        .value_kind:     hidden_remainder_x
      - .offset:         292
        .size:           2
        .value_kind:     hidden_remainder_y
      - .offset:         294
        .size:           2
        .value_kind:     hidden_remainder_z
      - .offset:         312
        .size:           8
        .value_kind:     hidden_global_offset_x
      - .offset:         320
        .size:           8
        .value_kind:     hidden_global_offset_y
      - .offset:         328
        .size:           8
        .value_kind:     hidden_global_offset_z
      - .offset:         336
        .size:           2
        .value_kind:     hidden_grid_dims
    .group_segment_fixed_size: 0
    .kernarg_segment_align: 8
    .kernarg_segment_size: 528
    .language:       OpenCL C
    .language_version:
      - 2
      - 0
    .max_flat_workgroup_size: 1024
    .name:           naive_conv_ab_nonpacked_fwd_ncdhw_half_double_half_0
    .private_segment_fixed_size: 0
    .sgpr_count:     87
    .sgpr_spill_count: 0
    .symbol:         naive_conv_ab_nonpacked_fwd_ncdhw_half_double_half_0.kd
    .uniform_work_group_size: 1
    .uses_dynamic_stack: false
    .vgpr_count:     20
    .vgpr_spill_count: 0
    .wavefront_size: 32
    .workgroup_processor_mode: 1
  - .args:
      - .actual_access:  read_only
        .address_space:  global
        .offset:         0
        .size:           8
        .value_kind:     global_buffer
      - .actual_access:  read_only
        .address_space:  global
        .offset:         8
        .size:           8
        .value_kind:     global_buffer
      - .offset:         16
        .size:           8
        .value_kind:     by_value
      - .offset:         24
        .size:           8
        .value_kind:     by_value
      - .address_space:  global
        .offset:         32
        .size:           8
        .value_kind:     global_buffer
      - .offset:         40
        .size:           48
        .value_kind:     by_value
      - .offset:         88
        .size:           48
        .value_kind:     by_value
      - .offset:         136
        .size:           48
        .value_kind:     by_value
      - .offset:         184
        .size:           4
        .value_kind:     by_value
      - .offset:         188
        .size:           4
        .value_kind:     by_value
      - .offset:         192
        .size:           4
        .value_kind:     by_value
      - .offset:         196
        .size:           4
        .value_kind:     by_value
      - .offset:         200
        .size:           4
        .value_kind:     by_value
      - .offset:         204
        .size:           4
        .value_kind:     by_value
      - .offset:         208
        .size:           4
        .value_kind:     by_value
      - .offset:         212
        .size:           4
        .value_kind:     by_value
      - .offset:         216
        .size:           4
        .value_kind:     by_value
      - .offset:         220
        .size:           4
        .value_kind:     by_value
      - .offset:         224
        .size:           4
        .value_kind:     by_value
      - .offset:         228
        .size:           4
        .value_kind:     by_value
      - .offset:         232
        .size:           4
        .value_kind:     by_value
      - .offset:         236
        .size:           4
        .value_kind:     by_value
      - .offset:         240
        .size:           4
        .value_kind:     by_value
      - .offset:         244
        .size:           4
        .value_kind:     by_value
      - .offset:         248
        .size:           4
        .value_kind:     by_value
      - .offset:         252
        .size:           4
        .value_kind:     by_value
      - .offset:         256
        .size:           4
        .value_kind:     by_value
      - .offset:         260
        .size:           4
        .value_kind:     by_value
      - .offset:         264
        .size:           4
        .value_kind:     by_value
      - .offset:         268
        .size:           4
        .value_kind:     by_value
      - .offset:         272
        .size:           4
        .value_kind:     hidden_block_count_x
      - .offset:         276
        .size:           4
        .value_kind:     hidden_block_count_y
      - .offset:         280
        .size:           4
        .value_kind:     hidden_block_count_z
      - .offset:         284
        .size:           2
        .value_kind:     hidden_group_size_x
      - .offset:         286
        .size:           2
        .value_kind:     hidden_group_size_y
      - .offset:         288
        .size:           2
        .value_kind:     hidden_group_size_z
      - .offset:         290
        .size:           2
        .value_kind:     hidden_remainder_x
      - .offset:         292
        .size:           2
        .value_kind:     hidden_remainder_y
      - .offset:         294
        .size:           2
        .value_kind:     hidden_remainder_z
      - .offset:         312
        .size:           8
        .value_kind:     hidden_global_offset_x
      - .offset:         320
        .size:           8
        .value_kind:     hidden_global_offset_y
      - .offset:         328
        .size:           8
        .value_kind:     hidden_global_offset_z
      - .offset:         336
        .size:           2
        .value_kind:     hidden_grid_dims
    .group_segment_fixed_size: 0
    .kernarg_segment_align: 8
    .kernarg_segment_size: 528
    .language:       OpenCL C
    .language_version:
      - 2
      - 0
    .max_flat_workgroup_size: 1024
    .name:           naive_conv_ab_packed_fwd_ncdhw_ushort_double_ushort_0
    .private_segment_fixed_size: 0
    .sgpr_count:     75
    .sgpr_spill_count: 0
    .symbol:         naive_conv_ab_packed_fwd_ncdhw_ushort_double_ushort_0.kd
    .uniform_work_group_size: 1
    .uses_dynamic_stack: false
    .vgpr_count:     19
    .vgpr_spill_count: 0
    .wavefront_size: 32
    .workgroup_processor_mode: 1
  - .args:
      - .actual_access:  read_only
        .address_space:  global
        .offset:         0
        .size:           8
        .value_kind:     global_buffer
      - .actual_access:  read_only
        .address_space:  global
        .offset:         8
        .size:           8
        .value_kind:     global_buffer
      - .offset:         16
        .size:           8
        .value_kind:     by_value
      - .offset:         24
        .size:           8
        .value_kind:     by_value
      - .address_space:  global
        .offset:         32
        .size:           8
        .value_kind:     global_buffer
      - .offset:         40
        .size:           48
        .value_kind:     by_value
      - .offset:         88
        .size:           48
        .value_kind:     by_value
      - .offset:         136
        .size:           48
        .value_kind:     by_value
      - .offset:         184
        .size:           4
        .value_kind:     by_value
      - .offset:         188
        .size:           4
        .value_kind:     by_value
      - .offset:         192
        .size:           4
        .value_kind:     by_value
      - .offset:         196
        .size:           4
        .value_kind:     by_value
      - .offset:         200
        .size:           4
        .value_kind:     by_value
      - .offset:         204
        .size:           4
        .value_kind:     by_value
      - .offset:         208
        .size:           4
        .value_kind:     by_value
      - .offset:         212
        .size:           4
        .value_kind:     by_value
      - .offset:         216
        .size:           4
        .value_kind:     by_value
      - .offset:         220
        .size:           4
        .value_kind:     by_value
      - .offset:         224
        .size:           4
        .value_kind:     by_value
      - .offset:         228
        .size:           4
        .value_kind:     by_value
      - .offset:         232
        .size:           4
        .value_kind:     by_value
      - .offset:         236
        .size:           4
        .value_kind:     by_value
      - .offset:         240
        .size:           4
        .value_kind:     by_value
      - .offset:         244
        .size:           4
        .value_kind:     by_value
      - .offset:         248
        .size:           4
        .value_kind:     by_value
      - .offset:         252
        .size:           4
        .value_kind:     by_value
      - .offset:         256
        .size:           4
        .value_kind:     by_value
      - .offset:         260
        .size:           4
        .value_kind:     by_value
      - .offset:         264
        .size:           4
        .value_kind:     by_value
      - .offset:         268
        .size:           4
        .value_kind:     by_value
      - .offset:         272
        .size:           4
        .value_kind:     hidden_block_count_x
      - .offset:         276
        .size:           4
        .value_kind:     hidden_block_count_y
      - .offset:         280
        .size:           4
        .value_kind:     hidden_block_count_z
      - .offset:         284
        .size:           2
        .value_kind:     hidden_group_size_x
      - .offset:         286
        .size:           2
        .value_kind:     hidden_group_size_y
      - .offset:         288
        .size:           2
        .value_kind:     hidden_group_size_z
      - .offset:         290
        .size:           2
        .value_kind:     hidden_remainder_x
      - .offset:         292
        .size:           2
        .value_kind:     hidden_remainder_y
      - .offset:         294
        .size:           2
        .value_kind:     hidden_remainder_z
      - .offset:         312
        .size:           8
        .value_kind:     hidden_global_offset_x
      - .offset:         320
        .size:           8
        .value_kind:     hidden_global_offset_y
      - .offset:         328
        .size:           8
        .value_kind:     hidden_global_offset_z
      - .offset:         336
        .size:           2
        .value_kind:     hidden_grid_dims
    .group_segment_fixed_size: 0
    .kernarg_segment_align: 8
    .kernarg_segment_size: 528
    .language:       OpenCL C
    .language_version:
      - 2
      - 0
    .max_flat_workgroup_size: 1024
    .name:           naive_conv_ab_nonpacked_fwd_ncdhw_ushort_double_ushort_0
    .private_segment_fixed_size: 0
    .sgpr_count:     87
    .sgpr_spill_count: 0
    .symbol:         naive_conv_ab_nonpacked_fwd_ncdhw_ushort_double_ushort_0.kd
    .uniform_work_group_size: 1
    .uses_dynamic_stack: false
    .vgpr_count:     18
    .vgpr_spill_count: 0
    .wavefront_size: 32
    .workgroup_processor_mode: 1
  - .args:
      - .actual_access:  read_only
        .address_space:  global
        .offset:         0
        .size:           8
        .value_kind:     global_buffer
      - .actual_access:  read_only
        .address_space:  global
        .offset:         8
        .size:           8
        .value_kind:     global_buffer
      - .offset:         16
        .size:           8
        .value_kind:     by_value
      - .offset:         24
        .size:           8
        .value_kind:     by_value
      - .address_space:  global
        .offset:         32
        .size:           8
        .value_kind:     global_buffer
      - .offset:         40
        .size:           48
        .value_kind:     by_value
      - .offset:         88
        .size:           48
        .value_kind:     by_value
      - .offset:         136
        .size:           48
        .value_kind:     by_value
      - .offset:         184
        .size:           4
        .value_kind:     by_value
      - .offset:         188
        .size:           4
        .value_kind:     by_value
      - .offset:         192
        .size:           4
        .value_kind:     by_value
      - .offset:         196
        .size:           4
        .value_kind:     by_value
      - .offset:         200
        .size:           4
        .value_kind:     by_value
      - .offset:         204
        .size:           4
        .value_kind:     by_value
      - .offset:         208
        .size:           4
        .value_kind:     by_value
      - .offset:         212
        .size:           4
        .value_kind:     by_value
      - .offset:         216
        .size:           4
        .value_kind:     by_value
      - .offset:         220
        .size:           4
        .value_kind:     by_value
      - .offset:         224
        .size:           4
        .value_kind:     by_value
      - .offset:         228
        .size:           4
        .value_kind:     by_value
      - .offset:         232
        .size:           4
        .value_kind:     by_value
      - .offset:         236
        .size:           4
        .value_kind:     by_value
      - .offset:         240
        .size:           4
        .value_kind:     by_value
      - .offset:         244
        .size:           4
        .value_kind:     by_value
      - .offset:         248
        .size:           4
        .value_kind:     by_value
      - .offset:         252
        .size:           4
        .value_kind:     by_value
      - .offset:         256
        .size:           4
        .value_kind:     by_value
      - .offset:         260
        .size:           4
        .value_kind:     by_value
      - .offset:         264
        .size:           4
        .value_kind:     by_value
      - .offset:         268
        .size:           4
        .value_kind:     by_value
      - .offset:         272
        .size:           4
        .value_kind:     hidden_block_count_x
      - .offset:         276
        .size:           4
        .value_kind:     hidden_block_count_y
      - .offset:         280
        .size:           4
        .value_kind:     hidden_block_count_z
      - .offset:         284
        .size:           2
        .value_kind:     hidden_group_size_x
      - .offset:         286
        .size:           2
        .value_kind:     hidden_group_size_y
      - .offset:         288
        .size:           2
        .value_kind:     hidden_group_size_z
      - .offset:         290
        .size:           2
        .value_kind:     hidden_remainder_x
      - .offset:         292
        .size:           2
        .value_kind:     hidden_remainder_y
      - .offset:         294
        .size:           2
        .value_kind:     hidden_remainder_z
      - .offset:         312
        .size:           8
        .value_kind:     hidden_global_offset_x
      - .offset:         320
        .size:           8
        .value_kind:     hidden_global_offset_y
      - .offset:         328
        .size:           8
        .value_kind:     hidden_global_offset_z
      - .offset:         336
        .size:           2
        .value_kind:     hidden_grid_dims
    .group_segment_fixed_size: 0
    .kernarg_segment_align: 8
    .kernarg_segment_size: 528
    .language:       OpenCL C
    .language_version:
      - 2
      - 0
    .max_flat_workgroup_size: 1024
    .name:           naive_conv_ab_packed_fwd_ncdhw_int8_t_int32_t_int32_t_0
    .private_segment_fixed_size: 0
    .sgpr_count:     70
    .sgpr_spill_count: 0
    .symbol:         naive_conv_ab_packed_fwd_ncdhw_int8_t_int32_t_int32_t_0.kd
    .uniform_work_group_size: 1
    .uses_dynamic_stack: false
    .vgpr_count:     17
    .vgpr_spill_count: 0
    .wavefront_size: 32
    .workgroup_processor_mode: 1
  - .args:
      - .actual_access:  read_only
        .address_space:  global
        .offset:         0
        .size:           8
        .value_kind:     global_buffer
      - .actual_access:  read_only
        .address_space:  global
        .offset:         8
        .size:           8
        .value_kind:     global_buffer
      - .offset:         16
        .size:           8
        .value_kind:     by_value
      - .offset:         24
        .size:           8
        .value_kind:     by_value
      - .address_space:  global
        .offset:         32
        .size:           8
        .value_kind:     global_buffer
      - .offset:         40
        .size:           48
        .value_kind:     by_value
      - .offset:         88
        .size:           48
        .value_kind:     by_value
      - .offset:         136
        .size:           48
        .value_kind:     by_value
      - .offset:         184
        .size:           4
        .value_kind:     by_value
      - .offset:         188
        .size:           4
        .value_kind:     by_value
      - .offset:         192
        .size:           4
        .value_kind:     by_value
      - .offset:         196
        .size:           4
        .value_kind:     by_value
      - .offset:         200
        .size:           4
        .value_kind:     by_value
      - .offset:         204
        .size:           4
        .value_kind:     by_value
      - .offset:         208
        .size:           4
        .value_kind:     by_value
      - .offset:         212
        .size:           4
        .value_kind:     by_value
      - .offset:         216
        .size:           4
        .value_kind:     by_value
      - .offset:         220
        .size:           4
        .value_kind:     by_value
      - .offset:         224
        .size:           4
        .value_kind:     by_value
      - .offset:         228
        .size:           4
        .value_kind:     by_value
      - .offset:         232
        .size:           4
        .value_kind:     by_value
      - .offset:         236
        .size:           4
        .value_kind:     by_value
      - .offset:         240
        .size:           4
        .value_kind:     by_value
      - .offset:         244
        .size:           4
        .value_kind:     by_value
      - .offset:         248
        .size:           4
        .value_kind:     by_value
      - .offset:         252
        .size:           4
        .value_kind:     by_value
      - .offset:         256
        .size:           4
        .value_kind:     by_value
      - .offset:         260
        .size:           4
        .value_kind:     by_value
      - .offset:         264
        .size:           4
        .value_kind:     by_value
      - .offset:         268
        .size:           4
        .value_kind:     by_value
      - .offset:         272
        .size:           4
        .value_kind:     hidden_block_count_x
      - .offset:         276
        .size:           4
        .value_kind:     hidden_block_count_y
      - .offset:         280
        .size:           4
        .value_kind:     hidden_block_count_z
      - .offset:         284
        .size:           2
        .value_kind:     hidden_group_size_x
      - .offset:         286
        .size:           2
        .value_kind:     hidden_group_size_y
      - .offset:         288
        .size:           2
        .value_kind:     hidden_group_size_z
      - .offset:         290
        .size:           2
        .value_kind:     hidden_remainder_x
      - .offset:         292
        .size:           2
        .value_kind:     hidden_remainder_y
      - .offset:         294
        .size:           2
        .value_kind:     hidden_remainder_z
      - .offset:         312
        .size:           8
        .value_kind:     hidden_global_offset_x
      - .offset:         320
        .size:           8
        .value_kind:     hidden_global_offset_y
      - .offset:         328
        .size:           8
        .value_kind:     hidden_global_offset_z
      - .offset:         336
        .size:           2
        .value_kind:     hidden_grid_dims
    .group_segment_fixed_size: 0
    .kernarg_segment_align: 8
    .kernarg_segment_size: 528
    .language:       OpenCL C
    .language_version:
      - 2
      - 0
    .max_flat_workgroup_size: 1024
    .name:           naive_conv_ab_nonpacked_fwd_ncdhw_int8_t_int32_t_int32_t_0
    .private_segment_fixed_size: 0
    .sgpr_count:     86
    .sgpr_spill_count: 0
    .symbol:         naive_conv_ab_nonpacked_fwd_ncdhw_int8_t_int32_t_int32_t_0.kd
    .uniform_work_group_size: 1
    .uses_dynamic_stack: false
    .vgpr_count:     18
    .vgpr_spill_count: 0
    .wavefront_size: 32
    .workgroup_processor_mode: 1
  - .args:
      - .actual_access:  read_only
        .address_space:  global
        .offset:         0
        .size:           8
        .value_kind:     global_buffer
      - .actual_access:  read_only
        .address_space:  global
        .offset:         8
        .size:           8
        .value_kind:     global_buffer
      - .offset:         16
        .size:           8
        .value_kind:     by_value
      - .offset:         24
        .size:           8
        .value_kind:     by_value
      - .address_space:  global
        .offset:         32
        .size:           8
        .value_kind:     global_buffer
      - .offset:         40
        .size:           48
        .value_kind:     by_value
      - .offset:         88
        .size:           48
        .value_kind:     by_value
      - .offset:         136
        .size:           48
        .value_kind:     by_value
      - .offset:         184
        .size:           4
        .value_kind:     by_value
      - .offset:         188
        .size:           4
        .value_kind:     by_value
      - .offset:         192
        .size:           4
        .value_kind:     by_value
      - .offset:         196
        .size:           4
        .value_kind:     by_value
      - .offset:         200
        .size:           4
        .value_kind:     by_value
      - .offset:         204
        .size:           4
        .value_kind:     by_value
      - .offset:         208
        .size:           4
        .value_kind:     by_value
      - .offset:         212
        .size:           4
        .value_kind:     by_value
      - .offset:         216
        .size:           4
        .value_kind:     by_value
      - .offset:         220
        .size:           4
        .value_kind:     by_value
      - .offset:         224
        .size:           4
        .value_kind:     by_value
      - .offset:         228
        .size:           4
        .value_kind:     by_value
      - .offset:         232
        .size:           4
        .value_kind:     by_value
      - .offset:         236
        .size:           4
        .value_kind:     by_value
      - .offset:         240
        .size:           4
        .value_kind:     by_value
      - .offset:         244
        .size:           4
        .value_kind:     by_value
      - .offset:         248
        .size:           4
        .value_kind:     by_value
      - .offset:         252
        .size:           4
        .value_kind:     by_value
      - .offset:         256
        .size:           4
        .value_kind:     by_value
      - .offset:         260
        .size:           4
        .value_kind:     by_value
      - .offset:         264
        .size:           4
        .value_kind:     by_value
      - .offset:         268
        .size:           4
        .value_kind:     by_value
      - .offset:         272
        .size:           4
        .value_kind:     hidden_block_count_x
      - .offset:         276
        .size:           4
        .value_kind:     hidden_block_count_y
      - .offset:         280
        .size:           4
        .value_kind:     hidden_block_count_z
      - .offset:         284
        .size:           2
        .value_kind:     hidden_group_size_x
      - .offset:         286
        .size:           2
        .value_kind:     hidden_group_size_y
      - .offset:         288
        .size:           2
        .value_kind:     hidden_group_size_z
      - .offset:         290
        .size:           2
        .value_kind:     hidden_remainder_x
      - .offset:         292
        .size:           2
        .value_kind:     hidden_remainder_y
      - .offset:         294
        .size:           2
        .value_kind:     hidden_remainder_z
      - .offset:         312
        .size:           8
        .value_kind:     hidden_global_offset_x
      - .offset:         320
        .size:           8
        .value_kind:     hidden_global_offset_y
      - .offset:         328
        .size:           8
        .value_kind:     hidden_global_offset_z
      - .offset:         336
        .size:           2
        .value_kind:     hidden_grid_dims
    .group_segment_fixed_size: 0
    .kernarg_segment_align: 8
    .kernarg_segment_size: 528
    .language:       OpenCL C
    .language_version:
      - 2
      - 0
    .max_flat_workgroup_size: 1024
    .name:           naive_conv_ab_packed_fwd_ncdhw_int8_t_int32_t_float_0
    .private_segment_fixed_size: 0
    .sgpr_count:     70
    .sgpr_spill_count: 0
    .symbol:         naive_conv_ab_packed_fwd_ncdhw_int8_t_int32_t_float_0.kd
    .uniform_work_group_size: 1
    .uses_dynamic_stack: false
    .vgpr_count:     17
    .vgpr_spill_count: 0
    .wavefront_size: 32
    .workgroup_processor_mode: 1
  - .args:
      - .actual_access:  read_only
        .address_space:  global
        .offset:         0
        .size:           8
        .value_kind:     global_buffer
      - .actual_access:  read_only
        .address_space:  global
        .offset:         8
        .size:           8
        .value_kind:     global_buffer
      - .offset:         16
        .size:           8
        .value_kind:     by_value
      - .offset:         24
        .size:           8
        .value_kind:     by_value
      - .address_space:  global
        .offset:         32
        .size:           8
        .value_kind:     global_buffer
      - .offset:         40
        .size:           48
        .value_kind:     by_value
      - .offset:         88
        .size:           48
        .value_kind:     by_value
      - .offset:         136
        .size:           48
        .value_kind:     by_value
      - .offset:         184
        .size:           4
        .value_kind:     by_value
      - .offset:         188
        .size:           4
        .value_kind:     by_value
      - .offset:         192
        .size:           4
        .value_kind:     by_value
      - .offset:         196
        .size:           4
        .value_kind:     by_value
      - .offset:         200
        .size:           4
        .value_kind:     by_value
      - .offset:         204
        .size:           4
        .value_kind:     by_value
      - .offset:         208
        .size:           4
        .value_kind:     by_value
      - .offset:         212
        .size:           4
        .value_kind:     by_value
      - .offset:         216
        .size:           4
        .value_kind:     by_value
      - .offset:         220
        .size:           4
        .value_kind:     by_value
      - .offset:         224
        .size:           4
        .value_kind:     by_value
      - .offset:         228
        .size:           4
        .value_kind:     by_value
      - .offset:         232
        .size:           4
        .value_kind:     by_value
      - .offset:         236
        .size:           4
        .value_kind:     by_value
      - .offset:         240
        .size:           4
        .value_kind:     by_value
      - .offset:         244
        .size:           4
        .value_kind:     by_value
      - .offset:         248
        .size:           4
        .value_kind:     by_value
      - .offset:         252
        .size:           4
        .value_kind:     by_value
      - .offset:         256
        .size:           4
        .value_kind:     by_value
      - .offset:         260
        .size:           4
        .value_kind:     by_value
      - .offset:         264
        .size:           4
        .value_kind:     by_value
      - .offset:         268
        .size:           4
        .value_kind:     by_value
      - .offset:         272
        .size:           4
        .value_kind:     hidden_block_count_x
      - .offset:         276
        .size:           4
        .value_kind:     hidden_block_count_y
      - .offset:         280
        .size:           4
        .value_kind:     hidden_block_count_z
      - .offset:         284
        .size:           2
        .value_kind:     hidden_group_size_x
      - .offset:         286
        .size:           2
        .value_kind:     hidden_group_size_y
      - .offset:         288
        .size:           2
        .value_kind:     hidden_group_size_z
      - .offset:         290
        .size:           2
        .value_kind:     hidden_remainder_x
      - .offset:         292
        .size:           2
        .value_kind:     hidden_remainder_y
      - .offset:         294
        .size:           2
        .value_kind:     hidden_remainder_z
      - .offset:         312
        .size:           8
        .value_kind:     hidden_global_offset_x
      - .offset:         320
        .size:           8
        .value_kind:     hidden_global_offset_y
      - .offset:         328
        .size:           8
        .value_kind:     hidden_global_offset_z
      - .offset:         336
        .size:           2
        .value_kind:     hidden_grid_dims
    .group_segment_fixed_size: 0
    .kernarg_segment_align: 8
    .kernarg_segment_size: 528
    .language:       OpenCL C
    .language_version:
      - 2
      - 0
    .max_flat_workgroup_size: 1024
    .name:           naive_conv_ab_nonpacked_fwd_ncdhw_int8_t_int32_t_float_0
    .private_segment_fixed_size: 0
    .sgpr_count:     84
    .sgpr_spill_count: 0
    .symbol:         naive_conv_ab_nonpacked_fwd_ncdhw_int8_t_int32_t_float_0.kd
    .uniform_work_group_size: 1
    .uses_dynamic_stack: false
    .vgpr_count:     18
    .vgpr_spill_count: 0
    .wavefront_size: 32
    .workgroup_processor_mode: 1
  - .args:
      - .actual_access:  read_only
        .address_space:  global
        .offset:         0
        .size:           8
        .value_kind:     global_buffer
      - .actual_access:  read_only
        .address_space:  global
        .offset:         8
        .size:           8
        .value_kind:     global_buffer
      - .offset:         16
        .size:           8
        .value_kind:     by_value
      - .offset:         24
        .size:           8
        .value_kind:     by_value
      - .address_space:  global
        .offset:         32
        .size:           8
        .value_kind:     global_buffer
      - .offset:         40
        .size:           48
        .value_kind:     by_value
      - .offset:         88
        .size:           48
        .value_kind:     by_value
      - .offset:         136
        .size:           48
        .value_kind:     by_value
      - .offset:         184
        .size:           4
        .value_kind:     by_value
      - .offset:         188
        .size:           4
        .value_kind:     by_value
      - .offset:         192
        .size:           4
        .value_kind:     by_value
      - .offset:         196
        .size:           4
        .value_kind:     by_value
      - .offset:         200
        .size:           4
        .value_kind:     by_value
      - .offset:         204
        .size:           4
        .value_kind:     by_value
      - .offset:         208
        .size:           4
        .value_kind:     by_value
      - .offset:         212
        .size:           4
        .value_kind:     by_value
      - .offset:         216
        .size:           4
        .value_kind:     by_value
      - .offset:         220
        .size:           4
        .value_kind:     by_value
      - .offset:         224
        .size:           4
        .value_kind:     by_value
      - .offset:         228
        .size:           4
        .value_kind:     by_value
      - .offset:         232
        .size:           4
        .value_kind:     by_value
      - .offset:         236
        .size:           4
        .value_kind:     by_value
      - .offset:         240
        .size:           4
        .value_kind:     by_value
      - .offset:         244
        .size:           4
        .value_kind:     by_value
      - .offset:         248
        .size:           4
        .value_kind:     by_value
      - .offset:         252
        .size:           4
        .value_kind:     by_value
      - .offset:         256
        .size:           4
        .value_kind:     by_value
      - .offset:         260
        .size:           4
        .value_kind:     by_value
      - .offset:         264
        .size:           4
        .value_kind:     by_value
      - .offset:         268
        .size:           4
        .value_kind:     by_value
      - .offset:         272
        .size:           4
        .value_kind:     hidden_block_count_x
      - .offset:         276
        .size:           4
        .value_kind:     hidden_block_count_y
      - .offset:         280
        .size:           4
        .value_kind:     hidden_block_count_z
      - .offset:         284
        .size:           2
        .value_kind:     hidden_group_size_x
      - .offset:         286
        .size:           2
        .value_kind:     hidden_group_size_y
      - .offset:         288
        .size:           2
        .value_kind:     hidden_group_size_z
      - .offset:         290
        .size:           2
        .value_kind:     hidden_remainder_x
      - .offset:         292
        .size:           2
        .value_kind:     hidden_remainder_y
      - .offset:         294
        .size:           2
        .value_kind:     hidden_remainder_z
      - .offset:         312
        .size:           8
        .value_kind:     hidden_global_offset_x
      - .offset:         320
        .size:           8
        .value_kind:     hidden_global_offset_y
      - .offset:         328
        .size:           8
        .value_kind:     hidden_global_offset_z
      - .offset:         336
        .size:           2
        .value_kind:     hidden_grid_dims
    .group_segment_fixed_size: 0
    .kernarg_segment_align: 8
    .kernarg_segment_size: 528
    .language:       OpenCL C
    .language_version:
      - 2
      - 0
    .max_flat_workgroup_size: 1024
    .name:           naive_conv_ab_packed_fwd_ndhwc_float_double_float_0
    .private_segment_fixed_size: 0
    .sgpr_count:     76
    .sgpr_spill_count: 0
    .symbol:         naive_conv_ab_packed_fwd_ndhwc_float_double_float_0.kd
    .uniform_work_group_size: 1
    .uses_dynamic_stack: false
    .vgpr_count:     27
    .vgpr_spill_count: 0
    .wavefront_size: 32
    .workgroup_processor_mode: 1
  - .args:
      - .actual_access:  read_only
        .address_space:  global
        .offset:         0
        .size:           8
        .value_kind:     global_buffer
      - .actual_access:  read_only
        .address_space:  global
        .offset:         8
        .size:           8
        .value_kind:     global_buffer
      - .offset:         16
        .size:           8
        .value_kind:     by_value
      - .offset:         24
        .size:           8
        .value_kind:     by_value
      - .address_space:  global
        .offset:         32
        .size:           8
        .value_kind:     global_buffer
      - .offset:         40
        .size:           48
        .value_kind:     by_value
      - .offset:         88
        .size:           48
        .value_kind:     by_value
      - .offset:         136
        .size:           48
        .value_kind:     by_value
      - .offset:         184
        .size:           4
        .value_kind:     by_value
      - .offset:         188
        .size:           4
        .value_kind:     by_value
      - .offset:         192
        .size:           4
        .value_kind:     by_value
      - .offset:         196
        .size:           4
        .value_kind:     by_value
      - .offset:         200
        .size:           4
        .value_kind:     by_value
      - .offset:         204
        .size:           4
        .value_kind:     by_value
      - .offset:         208
        .size:           4
        .value_kind:     by_value
      - .offset:         212
        .size:           4
        .value_kind:     by_value
      - .offset:         216
        .size:           4
        .value_kind:     by_value
      - .offset:         220
        .size:           4
        .value_kind:     by_value
      - .offset:         224
        .size:           4
        .value_kind:     by_value
      - .offset:         228
        .size:           4
        .value_kind:     by_value
      - .offset:         232
        .size:           4
        .value_kind:     by_value
      - .offset:         236
        .size:           4
        .value_kind:     by_value
      - .offset:         240
        .size:           4
        .value_kind:     by_value
      - .offset:         244
        .size:           4
        .value_kind:     by_value
      - .offset:         248
        .size:           4
        .value_kind:     by_value
      - .offset:         252
        .size:           4
        .value_kind:     by_value
      - .offset:         256
        .size:           4
        .value_kind:     by_value
      - .offset:         260
        .size:           4
        .value_kind:     by_value
      - .offset:         264
        .size:           4
        .value_kind:     by_value
      - .offset:         268
        .size:           4
        .value_kind:     by_value
      - .offset:         272
        .size:           4
        .value_kind:     hidden_block_count_x
      - .offset:         276
        .size:           4
        .value_kind:     hidden_block_count_y
      - .offset:         280
        .size:           4
        .value_kind:     hidden_block_count_z
      - .offset:         284
        .size:           2
        .value_kind:     hidden_group_size_x
      - .offset:         286
        .size:           2
        .value_kind:     hidden_group_size_y
      - .offset:         288
        .size:           2
        .value_kind:     hidden_group_size_z
      - .offset:         290
        .size:           2
        .value_kind:     hidden_remainder_x
      - .offset:         292
        .size:           2
        .value_kind:     hidden_remainder_y
      - .offset:         294
        .size:           2
        .value_kind:     hidden_remainder_z
      - .offset:         312
        .size:           8
        .value_kind:     hidden_global_offset_x
      - .offset:         320
        .size:           8
        .value_kind:     hidden_global_offset_y
      - .offset:         328
        .size:           8
        .value_kind:     hidden_global_offset_z
      - .offset:         336
        .size:           2
        .value_kind:     hidden_grid_dims
    .group_segment_fixed_size: 0
    .kernarg_segment_align: 8
    .kernarg_segment_size: 528
    .language:       OpenCL C
    .language_version:
      - 2
      - 0
    .max_flat_workgroup_size: 1024
    .name:           naive_conv_ab_nonpacked_fwd_ndhwc_float_double_float_0
    .private_segment_fixed_size: 0
    .sgpr_count:     88
    .sgpr_spill_count: 0
    .symbol:         naive_conv_ab_nonpacked_fwd_ndhwc_float_double_float_0.kd
    .uniform_work_group_size: 1
    .uses_dynamic_stack: false
    .vgpr_count:     27
    .vgpr_spill_count: 0
    .wavefront_size: 32
    .workgroup_processor_mode: 1
  - .args:
      - .actual_access:  read_only
        .address_space:  global
        .offset:         0
        .size:           8
        .value_kind:     global_buffer
      - .actual_access:  read_only
        .address_space:  global
        .offset:         8
        .size:           8
        .value_kind:     global_buffer
      - .offset:         16
        .size:           8
        .value_kind:     by_value
      - .offset:         24
        .size:           8
        .value_kind:     by_value
      - .address_space:  global
        .offset:         32
        .size:           8
        .value_kind:     global_buffer
      - .offset:         40
        .size:           48
        .value_kind:     by_value
      - .offset:         88
        .size:           48
        .value_kind:     by_value
      - .offset:         136
        .size:           48
        .value_kind:     by_value
      - .offset:         184
        .size:           4
        .value_kind:     by_value
      - .offset:         188
        .size:           4
        .value_kind:     by_value
      - .offset:         192
        .size:           4
        .value_kind:     by_value
      - .offset:         196
        .size:           4
        .value_kind:     by_value
      - .offset:         200
        .size:           4
        .value_kind:     by_value
      - .offset:         204
        .size:           4
        .value_kind:     by_value
      - .offset:         208
        .size:           4
        .value_kind:     by_value
      - .offset:         212
        .size:           4
        .value_kind:     by_value
      - .offset:         216
        .size:           4
        .value_kind:     by_value
      - .offset:         220
        .size:           4
        .value_kind:     by_value
      - .offset:         224
        .size:           4
        .value_kind:     by_value
      - .offset:         228
        .size:           4
        .value_kind:     by_value
      - .offset:         232
        .size:           4
        .value_kind:     by_value
      - .offset:         236
        .size:           4
        .value_kind:     by_value
      - .offset:         240
        .size:           4
        .value_kind:     by_value
      - .offset:         244
        .size:           4
        .value_kind:     by_value
      - .offset:         248
        .size:           4
        .value_kind:     by_value
      - .offset:         252
        .size:           4
        .value_kind:     by_value
      - .offset:         256
        .size:           4
        .value_kind:     by_value
      - .offset:         260
        .size:           4
        .value_kind:     by_value
      - .offset:         264
        .size:           4
        .value_kind:     by_value
      - .offset:         268
        .size:           4
        .value_kind:     by_value
      - .offset:         272
        .size:           4
        .value_kind:     hidden_block_count_x
      - .offset:         276
        .size:           4
        .value_kind:     hidden_block_count_y
      - .offset:         280
        .size:           4
        .value_kind:     hidden_block_count_z
      - .offset:         284
        .size:           2
        .value_kind:     hidden_group_size_x
      - .offset:         286
        .size:           2
        .value_kind:     hidden_group_size_y
      - .offset:         288
        .size:           2
        .value_kind:     hidden_group_size_z
      - .offset:         290
        .size:           2
        .value_kind:     hidden_remainder_x
      - .offset:         292
        .size:           2
        .value_kind:     hidden_remainder_y
      - .offset:         294
        .size:           2
        .value_kind:     hidden_remainder_z
      - .offset:         312
        .size:           8
        .value_kind:     hidden_global_offset_x
      - .offset:         320
        .size:           8
        .value_kind:     hidden_global_offset_y
      - .offset:         328
        .size:           8
        .value_kind:     hidden_global_offset_z
      - .offset:         336
        .size:           2
        .value_kind:     hidden_grid_dims
    .group_segment_fixed_size: 0
    .kernarg_segment_align: 8
    .kernarg_segment_size: 528
    .language:       OpenCL C
    .language_version:
      - 2
      - 0
    .max_flat_workgroup_size: 1024
    .name:           naive_conv_ab_packed_fwd_ndhwc_float_double_float_1
    .private_segment_fixed_size: 0
    .sgpr_count:     76
    .sgpr_spill_count: 0
    .symbol:         naive_conv_ab_packed_fwd_ndhwc_float_double_float_1.kd
    .uniform_work_group_size: 1
    .uses_dynamic_stack: false
    .vgpr_count:     27
    .vgpr_spill_count: 0
    .wavefront_size: 32
    .workgroup_processor_mode: 1
  - .args:
      - .actual_access:  read_only
        .address_space:  global
        .offset:         0
        .size:           8
        .value_kind:     global_buffer
      - .actual_access:  read_only
        .address_space:  global
        .offset:         8
        .size:           8
        .value_kind:     global_buffer
      - .offset:         16
        .size:           8
        .value_kind:     by_value
      - .offset:         24
        .size:           8
        .value_kind:     by_value
      - .address_space:  global
        .offset:         32
        .size:           8
        .value_kind:     global_buffer
      - .offset:         40
        .size:           48
        .value_kind:     by_value
      - .offset:         88
        .size:           48
        .value_kind:     by_value
      - .offset:         136
        .size:           48
        .value_kind:     by_value
      - .offset:         184
        .size:           4
        .value_kind:     by_value
      - .offset:         188
        .size:           4
        .value_kind:     by_value
      - .offset:         192
        .size:           4
        .value_kind:     by_value
      - .offset:         196
        .size:           4
        .value_kind:     by_value
      - .offset:         200
        .size:           4
        .value_kind:     by_value
      - .offset:         204
        .size:           4
        .value_kind:     by_value
      - .offset:         208
        .size:           4
        .value_kind:     by_value
      - .offset:         212
        .size:           4
        .value_kind:     by_value
      - .offset:         216
        .size:           4
        .value_kind:     by_value
      - .offset:         220
        .size:           4
        .value_kind:     by_value
      - .offset:         224
        .size:           4
        .value_kind:     by_value
      - .offset:         228
        .size:           4
        .value_kind:     by_value
      - .offset:         232
        .size:           4
        .value_kind:     by_value
      - .offset:         236
        .size:           4
        .value_kind:     by_value
      - .offset:         240
        .size:           4
        .value_kind:     by_value
      - .offset:         244
        .size:           4
        .value_kind:     by_value
      - .offset:         248
        .size:           4
        .value_kind:     by_value
      - .offset:         252
        .size:           4
        .value_kind:     by_value
      - .offset:         256
        .size:           4
        .value_kind:     by_value
      - .offset:         260
        .size:           4
        .value_kind:     by_value
      - .offset:         264
        .size:           4
        .value_kind:     by_value
      - .offset:         268
        .size:           4
        .value_kind:     by_value
      - .offset:         272
        .size:           4
        .value_kind:     hidden_block_count_x
      - .offset:         276
        .size:           4
        .value_kind:     hidden_block_count_y
      - .offset:         280
        .size:           4
        .value_kind:     hidden_block_count_z
      - .offset:         284
        .size:           2
        .value_kind:     hidden_group_size_x
      - .offset:         286
        .size:           2
        .value_kind:     hidden_group_size_y
      - .offset:         288
        .size:           2
        .value_kind:     hidden_group_size_z
      - .offset:         290
        .size:           2
        .value_kind:     hidden_remainder_x
      - .offset:         292
        .size:           2
        .value_kind:     hidden_remainder_y
      - .offset:         294
        .size:           2
        .value_kind:     hidden_remainder_z
      - .offset:         312
        .size:           8
        .value_kind:     hidden_global_offset_x
      - .offset:         320
        .size:           8
        .value_kind:     hidden_global_offset_y
      - .offset:         328
        .size:           8
        .value_kind:     hidden_global_offset_z
      - .offset:         336
        .size:           2
        .value_kind:     hidden_grid_dims
    .group_segment_fixed_size: 0
    .kernarg_segment_align: 8
    .kernarg_segment_size: 528
    .language:       OpenCL C
    .language_version:
      - 2
      - 0
    .max_flat_workgroup_size: 1024
    .name:           naive_conv_ab_nonpacked_fwd_ndhwc_float_double_float_1
    .private_segment_fixed_size: 0
    .sgpr_count:     88
    .sgpr_spill_count: 0
    .symbol:         naive_conv_ab_nonpacked_fwd_ndhwc_float_double_float_1.kd
    .uniform_work_group_size: 1
    .uses_dynamic_stack: false
    .vgpr_count:     27
    .vgpr_spill_count: 0
    .wavefront_size: 32
    .workgroup_processor_mode: 1
  - .args:
      - .actual_access:  read_only
        .address_space:  global
        .offset:         0
        .size:           8
        .value_kind:     global_buffer
      - .actual_access:  read_only
        .address_space:  global
        .offset:         8
        .size:           8
        .value_kind:     global_buffer
      - .offset:         16
        .size:           8
        .value_kind:     by_value
      - .offset:         24
        .size:           8
        .value_kind:     by_value
      - .address_space:  global
        .offset:         32
        .size:           8
        .value_kind:     global_buffer
      - .offset:         40
        .size:           48
        .value_kind:     by_value
      - .offset:         88
        .size:           48
        .value_kind:     by_value
      - .offset:         136
        .size:           48
        .value_kind:     by_value
      - .offset:         184
        .size:           4
        .value_kind:     by_value
      - .offset:         188
        .size:           4
        .value_kind:     by_value
      - .offset:         192
        .size:           4
        .value_kind:     by_value
      - .offset:         196
        .size:           4
        .value_kind:     by_value
      - .offset:         200
        .size:           4
        .value_kind:     by_value
      - .offset:         204
        .size:           4
        .value_kind:     by_value
      - .offset:         208
        .size:           4
        .value_kind:     by_value
      - .offset:         212
        .size:           4
        .value_kind:     by_value
      - .offset:         216
        .size:           4
        .value_kind:     by_value
      - .offset:         220
        .size:           4
        .value_kind:     by_value
      - .offset:         224
        .size:           4
        .value_kind:     by_value
      - .offset:         228
        .size:           4
        .value_kind:     by_value
      - .offset:         232
        .size:           4
        .value_kind:     by_value
      - .offset:         236
        .size:           4
        .value_kind:     by_value
      - .offset:         240
        .size:           4
        .value_kind:     by_value
      - .offset:         244
        .size:           4
        .value_kind:     by_value
      - .offset:         248
        .size:           4
        .value_kind:     by_value
      - .offset:         252
        .size:           4
        .value_kind:     by_value
      - .offset:         256
        .size:           4
        .value_kind:     by_value
      - .offset:         260
        .size:           4
        .value_kind:     by_value
      - .offset:         264
        .size:           4
        .value_kind:     by_value
      - .offset:         268
        .size:           4
        .value_kind:     by_value
      - .offset:         272
        .size:           4
        .value_kind:     hidden_block_count_x
      - .offset:         276
        .size:           4
        .value_kind:     hidden_block_count_y
      - .offset:         280
        .size:           4
        .value_kind:     hidden_block_count_z
      - .offset:         284
        .size:           2
        .value_kind:     hidden_group_size_x
      - .offset:         286
        .size:           2
        .value_kind:     hidden_group_size_y
      - .offset:         288
        .size:           2
        .value_kind:     hidden_group_size_z
      - .offset:         290
        .size:           2
        .value_kind:     hidden_remainder_x
      - .offset:         292
        .size:           2
        .value_kind:     hidden_remainder_y
      - .offset:         294
        .size:           2
        .value_kind:     hidden_remainder_z
      - .offset:         312
        .size:           8
        .value_kind:     hidden_global_offset_x
      - .offset:         320
        .size:           8
        .value_kind:     hidden_global_offset_y
      - .offset:         328
        .size:           8
        .value_kind:     hidden_global_offset_z
      - .offset:         336
        .size:           2
        .value_kind:     hidden_grid_dims
    .group_segment_fixed_size: 0
    .kernarg_segment_align: 8
    .kernarg_segment_size: 528
    .language:       OpenCL C
    .language_version:
      - 2
      - 0
    .max_flat_workgroup_size: 1024
    .name:           naive_conv_ab_packed_fwd_ndhwc_half_double_half_0
    .private_segment_fixed_size: 0
    .sgpr_count:     76
    .sgpr_spill_count: 0
    .symbol:         naive_conv_ab_packed_fwd_ndhwc_half_double_half_0.kd
    .uniform_work_group_size: 1
    .uses_dynamic_stack: false
    .vgpr_count:     28
    .vgpr_spill_count: 0
    .wavefront_size: 32
    .workgroup_processor_mode: 1
  - .args:
      - .actual_access:  read_only
        .address_space:  global
        .offset:         0
        .size:           8
        .value_kind:     global_buffer
      - .actual_access:  read_only
        .address_space:  global
        .offset:         8
        .size:           8
        .value_kind:     global_buffer
      - .offset:         16
        .size:           8
        .value_kind:     by_value
      - .offset:         24
        .size:           8
        .value_kind:     by_value
      - .address_space:  global
        .offset:         32
        .size:           8
        .value_kind:     global_buffer
      - .offset:         40
        .size:           48
        .value_kind:     by_value
      - .offset:         88
        .size:           48
        .value_kind:     by_value
      - .offset:         136
        .size:           48
        .value_kind:     by_value
      - .offset:         184
        .size:           4
        .value_kind:     by_value
      - .offset:         188
        .size:           4
        .value_kind:     by_value
      - .offset:         192
        .size:           4
        .value_kind:     by_value
      - .offset:         196
        .size:           4
        .value_kind:     by_value
      - .offset:         200
        .size:           4
        .value_kind:     by_value
      - .offset:         204
        .size:           4
        .value_kind:     by_value
      - .offset:         208
        .size:           4
        .value_kind:     by_value
      - .offset:         212
        .size:           4
        .value_kind:     by_value
      - .offset:         216
        .size:           4
        .value_kind:     by_value
      - .offset:         220
        .size:           4
        .value_kind:     by_value
      - .offset:         224
        .size:           4
        .value_kind:     by_value
      - .offset:         228
        .size:           4
        .value_kind:     by_value
      - .offset:         232
        .size:           4
        .value_kind:     by_value
      - .offset:         236
        .size:           4
        .value_kind:     by_value
      - .offset:         240
        .size:           4
        .value_kind:     by_value
      - .offset:         244
        .size:           4
        .value_kind:     by_value
      - .offset:         248
        .size:           4
        .value_kind:     by_value
      - .offset:         252
        .size:           4
        .value_kind:     by_value
      - .offset:         256
        .size:           4
        .value_kind:     by_value
      - .offset:         260
        .size:           4
        .value_kind:     by_value
      - .offset:         264
        .size:           4
        .value_kind:     by_value
      - .offset:         268
        .size:           4
        .value_kind:     by_value
      - .offset:         272
        .size:           4
        .value_kind:     hidden_block_count_x
      - .offset:         276
        .size:           4
        .value_kind:     hidden_block_count_y
      - .offset:         280
        .size:           4
        .value_kind:     hidden_block_count_z
      - .offset:         284
        .size:           2
        .value_kind:     hidden_group_size_x
      - .offset:         286
        .size:           2
        .value_kind:     hidden_group_size_y
      - .offset:         288
        .size:           2
        .value_kind:     hidden_group_size_z
      - .offset:         290
        .size:           2
        .value_kind:     hidden_remainder_x
      - .offset:         292
        .size:           2
        .value_kind:     hidden_remainder_y
      - .offset:         294
        .size:           2
        .value_kind:     hidden_remainder_z
      - .offset:         312
        .size:           8
        .value_kind:     hidden_global_offset_x
      - .offset:         320
        .size:           8
        .value_kind:     hidden_global_offset_y
      - .offset:         328
        .size:           8
        .value_kind:     hidden_global_offset_z
      - .offset:         336
        .size:           2
        .value_kind:     hidden_grid_dims
    .group_segment_fixed_size: 0
    .kernarg_segment_align: 8
    .kernarg_segment_size: 528
    .language:       OpenCL C
    .language_version:
      - 2
      - 0
    .max_flat_workgroup_size: 1024
    .name:           naive_conv_ab_nonpacked_fwd_ndhwc_half_double_half_0
    .private_segment_fixed_size: 0
    .sgpr_count:     88
    .sgpr_spill_count: 0
    .symbol:         naive_conv_ab_nonpacked_fwd_ndhwc_half_double_half_0.kd
    .uniform_work_group_size: 1
    .uses_dynamic_stack: false
    .vgpr_count:     28
    .vgpr_spill_count: 0
    .wavefront_size: 32
    .workgroup_processor_mode: 1
  - .args:
      - .actual_access:  read_only
        .address_space:  global
        .offset:         0
        .size:           8
        .value_kind:     global_buffer
      - .actual_access:  read_only
        .address_space:  global
        .offset:         8
        .size:           8
        .value_kind:     global_buffer
      - .offset:         16
        .size:           8
        .value_kind:     by_value
      - .offset:         24
        .size:           8
        .value_kind:     by_value
      - .address_space:  global
        .offset:         32
        .size:           8
        .value_kind:     global_buffer
      - .offset:         40
        .size:           48
        .value_kind:     by_value
      - .offset:         88
        .size:           48
        .value_kind:     by_value
      - .offset:         136
        .size:           48
        .value_kind:     by_value
      - .offset:         184
        .size:           4
        .value_kind:     by_value
      - .offset:         188
        .size:           4
        .value_kind:     by_value
      - .offset:         192
        .size:           4
        .value_kind:     by_value
      - .offset:         196
        .size:           4
        .value_kind:     by_value
      - .offset:         200
        .size:           4
        .value_kind:     by_value
      - .offset:         204
        .size:           4
        .value_kind:     by_value
      - .offset:         208
        .size:           4
        .value_kind:     by_value
      - .offset:         212
        .size:           4
        .value_kind:     by_value
      - .offset:         216
        .size:           4
        .value_kind:     by_value
      - .offset:         220
        .size:           4
        .value_kind:     by_value
      - .offset:         224
        .size:           4
        .value_kind:     by_value
      - .offset:         228
        .size:           4
        .value_kind:     by_value
      - .offset:         232
        .size:           4
        .value_kind:     by_value
      - .offset:         236
        .size:           4
        .value_kind:     by_value
      - .offset:         240
        .size:           4
        .value_kind:     by_value
      - .offset:         244
        .size:           4
        .value_kind:     by_value
      - .offset:         248
        .size:           4
        .value_kind:     by_value
      - .offset:         252
        .size:           4
        .value_kind:     by_value
      - .offset:         256
        .size:           4
        .value_kind:     by_value
      - .offset:         260
        .size:           4
        .value_kind:     by_value
      - .offset:         264
        .size:           4
        .value_kind:     by_value
      - .offset:         268
        .size:           4
        .value_kind:     by_value
      - .offset:         272
        .size:           4
        .value_kind:     hidden_block_count_x
      - .offset:         276
        .size:           4
        .value_kind:     hidden_block_count_y
      - .offset:         280
        .size:           4
        .value_kind:     hidden_block_count_z
      - .offset:         284
        .size:           2
        .value_kind:     hidden_group_size_x
      - .offset:         286
        .size:           2
        .value_kind:     hidden_group_size_y
      - .offset:         288
        .size:           2
        .value_kind:     hidden_group_size_z
      - .offset:         290
        .size:           2
        .value_kind:     hidden_remainder_x
      - .offset:         292
        .size:           2
        .value_kind:     hidden_remainder_y
      - .offset:         294
        .size:           2
        .value_kind:     hidden_remainder_z
      - .offset:         312
        .size:           8
        .value_kind:     hidden_global_offset_x
      - .offset:         320
        .size:           8
        .value_kind:     hidden_global_offset_y
      - .offset:         328
        .size:           8
        .value_kind:     hidden_global_offset_z
      - .offset:         336
        .size:           2
        .value_kind:     hidden_grid_dims
    .group_segment_fixed_size: 0
    .kernarg_segment_align: 8
    .kernarg_segment_size: 528
    .language:       OpenCL C
    .language_version:
      - 2
      - 0
    .max_flat_workgroup_size: 1024
    .name:           naive_conv_ab_packed_fwd_ndhwc_ushort_double_ushort_0
    .private_segment_fixed_size: 0
    .sgpr_count:     76
    .sgpr_spill_count: 0
    .symbol:         naive_conv_ab_packed_fwd_ndhwc_ushort_double_ushort_0.kd
    .uniform_work_group_size: 1
    .uses_dynamic_stack: false
    .vgpr_count:     27
    .vgpr_spill_count: 0
    .wavefront_size: 32
    .workgroup_processor_mode: 1
  - .args:
      - .actual_access:  read_only
        .address_space:  global
        .offset:         0
        .size:           8
        .value_kind:     global_buffer
      - .actual_access:  read_only
        .address_space:  global
        .offset:         8
        .size:           8
        .value_kind:     global_buffer
      - .offset:         16
        .size:           8
        .value_kind:     by_value
      - .offset:         24
        .size:           8
        .value_kind:     by_value
      - .address_space:  global
        .offset:         32
        .size:           8
        .value_kind:     global_buffer
      - .offset:         40
        .size:           48
        .value_kind:     by_value
      - .offset:         88
        .size:           48
        .value_kind:     by_value
      - .offset:         136
        .size:           48
        .value_kind:     by_value
      - .offset:         184
        .size:           4
        .value_kind:     by_value
      - .offset:         188
        .size:           4
        .value_kind:     by_value
      - .offset:         192
        .size:           4
        .value_kind:     by_value
      - .offset:         196
        .size:           4
        .value_kind:     by_value
      - .offset:         200
        .size:           4
        .value_kind:     by_value
      - .offset:         204
        .size:           4
        .value_kind:     by_value
      - .offset:         208
        .size:           4
        .value_kind:     by_value
      - .offset:         212
        .size:           4
        .value_kind:     by_value
      - .offset:         216
        .size:           4
        .value_kind:     by_value
      - .offset:         220
        .size:           4
        .value_kind:     by_value
      - .offset:         224
        .size:           4
        .value_kind:     by_value
      - .offset:         228
        .size:           4
        .value_kind:     by_value
      - .offset:         232
        .size:           4
        .value_kind:     by_value
      - .offset:         236
        .size:           4
        .value_kind:     by_value
      - .offset:         240
        .size:           4
        .value_kind:     by_value
      - .offset:         244
        .size:           4
        .value_kind:     by_value
      - .offset:         248
        .size:           4
        .value_kind:     by_value
      - .offset:         252
        .size:           4
        .value_kind:     by_value
      - .offset:         256
        .size:           4
        .value_kind:     by_value
      - .offset:         260
        .size:           4
        .value_kind:     by_value
      - .offset:         264
        .size:           4
        .value_kind:     by_value
      - .offset:         268
        .size:           4
        .value_kind:     by_value
      - .offset:         272
        .size:           4
        .value_kind:     hidden_block_count_x
      - .offset:         276
        .size:           4
        .value_kind:     hidden_block_count_y
      - .offset:         280
        .size:           4
        .value_kind:     hidden_block_count_z
      - .offset:         284
        .size:           2
        .value_kind:     hidden_group_size_x
      - .offset:         286
        .size:           2
        .value_kind:     hidden_group_size_y
      - .offset:         288
        .size:           2
        .value_kind:     hidden_group_size_z
      - .offset:         290
        .size:           2
        .value_kind:     hidden_remainder_x
      - .offset:         292
        .size:           2
        .value_kind:     hidden_remainder_y
      - .offset:         294
        .size:           2
        .value_kind:     hidden_remainder_z
      - .offset:         312
        .size:           8
        .value_kind:     hidden_global_offset_x
      - .offset:         320
        .size:           8
        .value_kind:     hidden_global_offset_y
      - .offset:         328
        .size:           8
        .value_kind:     hidden_global_offset_z
      - .offset:         336
        .size:           2
        .value_kind:     hidden_grid_dims
    .group_segment_fixed_size: 0
    .kernarg_segment_align: 8
    .kernarg_segment_size: 528
    .language:       OpenCL C
    .language_version:
      - 2
      - 0
    .max_flat_workgroup_size: 1024
    .name:           naive_conv_ab_nonpacked_fwd_ndhwc_ushort_double_ushort_0
    .private_segment_fixed_size: 0
    .sgpr_count:     88
    .sgpr_spill_count: 0
    .symbol:         naive_conv_ab_nonpacked_fwd_ndhwc_ushort_double_ushort_0.kd
    .uniform_work_group_size: 1
    .uses_dynamic_stack: false
    .vgpr_count:     27
    .vgpr_spill_count: 0
    .wavefront_size: 32
    .workgroup_processor_mode: 1
  - .args:
      - .actual_access:  read_only
        .address_space:  global
        .offset:         0
        .size:           8
        .value_kind:     global_buffer
      - .actual_access:  read_only
        .address_space:  global
        .offset:         8
        .size:           8
        .value_kind:     global_buffer
      - .offset:         16
        .size:           8
        .value_kind:     by_value
      - .offset:         24
        .size:           8
        .value_kind:     by_value
      - .address_space:  global
        .offset:         32
        .size:           8
        .value_kind:     global_buffer
      - .offset:         40
        .size:           48
        .value_kind:     by_value
      - .offset:         88
        .size:           48
        .value_kind:     by_value
      - .offset:         136
        .size:           48
        .value_kind:     by_value
      - .offset:         184
        .size:           4
        .value_kind:     by_value
      - .offset:         188
        .size:           4
        .value_kind:     by_value
      - .offset:         192
        .size:           4
        .value_kind:     by_value
      - .offset:         196
        .size:           4
        .value_kind:     by_value
      - .offset:         200
        .size:           4
        .value_kind:     by_value
      - .offset:         204
        .size:           4
        .value_kind:     by_value
      - .offset:         208
        .size:           4
        .value_kind:     by_value
      - .offset:         212
        .size:           4
        .value_kind:     by_value
      - .offset:         216
        .size:           4
        .value_kind:     by_value
      - .offset:         220
        .size:           4
        .value_kind:     by_value
      - .offset:         224
        .size:           4
        .value_kind:     by_value
      - .offset:         228
        .size:           4
        .value_kind:     by_value
      - .offset:         232
        .size:           4
        .value_kind:     by_value
      - .offset:         236
        .size:           4
        .value_kind:     by_value
      - .offset:         240
        .size:           4
        .value_kind:     by_value
      - .offset:         244
        .size:           4
        .value_kind:     by_value
      - .offset:         248
        .size:           4
        .value_kind:     by_value
      - .offset:         252
        .size:           4
        .value_kind:     by_value
      - .offset:         256
        .size:           4
        .value_kind:     by_value
      - .offset:         260
        .size:           4
        .value_kind:     by_value
      - .offset:         264
        .size:           4
        .value_kind:     by_value
      - .offset:         268
        .size:           4
        .value_kind:     by_value
      - .offset:         272
        .size:           4
        .value_kind:     hidden_block_count_x
      - .offset:         276
        .size:           4
        .value_kind:     hidden_block_count_y
      - .offset:         280
        .size:           4
        .value_kind:     hidden_block_count_z
      - .offset:         284
        .size:           2
        .value_kind:     hidden_group_size_x
      - .offset:         286
        .size:           2
        .value_kind:     hidden_group_size_y
      - .offset:         288
        .size:           2
        .value_kind:     hidden_group_size_z
      - .offset:         290
        .size:           2
        .value_kind:     hidden_remainder_x
      - .offset:         292
        .size:           2
        .value_kind:     hidden_remainder_y
      - .offset:         294
        .size:           2
        .value_kind:     hidden_remainder_z
      - .offset:         312
        .size:           8
        .value_kind:     hidden_global_offset_x
      - .offset:         320
        .size:           8
        .value_kind:     hidden_global_offset_y
      - .offset:         328
        .size:           8
        .value_kind:     hidden_global_offset_z
      - .offset:         336
        .size:           2
        .value_kind:     hidden_grid_dims
    .group_segment_fixed_size: 0
    .kernarg_segment_align: 8
    .kernarg_segment_size: 528
    .language:       OpenCL C
    .language_version:
      - 2
      - 0
    .max_flat_workgroup_size: 1024
    .name:           naive_conv_ab_packed_fwd_ndhwc_int8_t_int32_t_int32_t_0
    .private_segment_fixed_size: 0
    .sgpr_count:     73
    .sgpr_spill_count: 0
    .symbol:         naive_conv_ab_packed_fwd_ndhwc_int8_t_int32_t_int32_t_0.kd
    .uniform_work_group_size: 1
    .uses_dynamic_stack: false
    .vgpr_count:     26
    .vgpr_spill_count: 0
    .wavefront_size: 32
    .workgroup_processor_mode: 1
  - .args:
      - .actual_access:  read_only
        .address_space:  global
        .offset:         0
        .size:           8
        .value_kind:     global_buffer
      - .actual_access:  read_only
        .address_space:  global
        .offset:         8
        .size:           8
        .value_kind:     global_buffer
      - .offset:         16
        .size:           8
        .value_kind:     by_value
      - .offset:         24
        .size:           8
        .value_kind:     by_value
      - .address_space:  global
        .offset:         32
        .size:           8
        .value_kind:     global_buffer
      - .offset:         40
        .size:           48
        .value_kind:     by_value
      - .offset:         88
        .size:           48
        .value_kind:     by_value
      - .offset:         136
        .size:           48
        .value_kind:     by_value
      - .offset:         184
        .size:           4
        .value_kind:     by_value
      - .offset:         188
        .size:           4
        .value_kind:     by_value
      - .offset:         192
        .size:           4
        .value_kind:     by_value
      - .offset:         196
        .size:           4
        .value_kind:     by_value
      - .offset:         200
        .size:           4
        .value_kind:     by_value
      - .offset:         204
        .size:           4
        .value_kind:     by_value
      - .offset:         208
        .size:           4
        .value_kind:     by_value
      - .offset:         212
        .size:           4
        .value_kind:     by_value
      - .offset:         216
        .size:           4
        .value_kind:     by_value
      - .offset:         220
        .size:           4
        .value_kind:     by_value
      - .offset:         224
        .size:           4
        .value_kind:     by_value
      - .offset:         228
        .size:           4
        .value_kind:     by_value
      - .offset:         232
        .size:           4
        .value_kind:     by_value
      - .offset:         236
        .size:           4
        .value_kind:     by_value
      - .offset:         240
        .size:           4
        .value_kind:     by_value
      - .offset:         244
        .size:           4
        .value_kind:     by_value
      - .offset:         248
        .size:           4
        .value_kind:     by_value
      - .offset:         252
        .size:           4
        .value_kind:     by_value
      - .offset:         256
        .size:           4
        .value_kind:     by_value
      - .offset:         260
        .size:           4
        .value_kind:     by_value
      - .offset:         264
        .size:           4
        .value_kind:     by_value
      - .offset:         268
        .size:           4
        .value_kind:     by_value
      - .offset:         272
        .size:           4
        .value_kind:     hidden_block_count_x
      - .offset:         276
        .size:           4
        .value_kind:     hidden_block_count_y
      - .offset:         280
        .size:           4
        .value_kind:     hidden_block_count_z
      - .offset:         284
        .size:           2
        .value_kind:     hidden_group_size_x
      - .offset:         286
        .size:           2
        .value_kind:     hidden_group_size_y
      - .offset:         288
        .size:           2
        .value_kind:     hidden_group_size_z
      - .offset:         290
        .size:           2
        .value_kind:     hidden_remainder_x
      - .offset:         292
        .size:           2
        .value_kind:     hidden_remainder_y
      - .offset:         294
        .size:           2
        .value_kind:     hidden_remainder_z
      - .offset:         312
        .size:           8
        .value_kind:     hidden_global_offset_x
      - .offset:         320
        .size:           8
        .value_kind:     hidden_global_offset_y
      - .offset:         328
        .size:           8
        .value_kind:     hidden_global_offset_z
      - .offset:         336
        .size:           2
        .value_kind:     hidden_grid_dims
    .group_segment_fixed_size: 0
    .kernarg_segment_align: 8
    .kernarg_segment_size: 528
    .language:       OpenCL C
    .language_version:
      - 2
      - 0
    .max_flat_workgroup_size: 1024
    .name:           naive_conv_ab_nonpacked_fwd_ndhwc_int8_t_int32_t_int32_t_0
    .private_segment_fixed_size: 0
    .sgpr_count:     84
    .sgpr_spill_count: 0
    .symbol:         naive_conv_ab_nonpacked_fwd_ndhwc_int8_t_int32_t_int32_t_0.kd
    .uniform_work_group_size: 1
    .uses_dynamic_stack: false
    .vgpr_count:     26
    .vgpr_spill_count: 0
    .wavefront_size: 32
    .workgroup_processor_mode: 1
  - .args:
      - .actual_access:  read_only
        .address_space:  global
        .offset:         0
        .size:           8
        .value_kind:     global_buffer
      - .actual_access:  read_only
        .address_space:  global
        .offset:         8
        .size:           8
        .value_kind:     global_buffer
      - .offset:         16
        .size:           8
        .value_kind:     by_value
      - .offset:         24
        .size:           8
        .value_kind:     by_value
      - .address_space:  global
        .offset:         32
        .size:           8
        .value_kind:     global_buffer
      - .offset:         40
        .size:           48
        .value_kind:     by_value
      - .offset:         88
        .size:           48
        .value_kind:     by_value
      - .offset:         136
        .size:           48
        .value_kind:     by_value
      - .offset:         184
        .size:           4
        .value_kind:     by_value
      - .offset:         188
        .size:           4
        .value_kind:     by_value
      - .offset:         192
        .size:           4
        .value_kind:     by_value
      - .offset:         196
        .size:           4
        .value_kind:     by_value
      - .offset:         200
        .size:           4
        .value_kind:     by_value
      - .offset:         204
        .size:           4
        .value_kind:     by_value
      - .offset:         208
        .size:           4
        .value_kind:     by_value
      - .offset:         212
        .size:           4
        .value_kind:     by_value
      - .offset:         216
        .size:           4
        .value_kind:     by_value
      - .offset:         220
        .size:           4
        .value_kind:     by_value
      - .offset:         224
        .size:           4
        .value_kind:     by_value
      - .offset:         228
        .size:           4
        .value_kind:     by_value
      - .offset:         232
        .size:           4
        .value_kind:     by_value
      - .offset:         236
        .size:           4
        .value_kind:     by_value
      - .offset:         240
        .size:           4
        .value_kind:     by_value
      - .offset:         244
        .size:           4
        .value_kind:     by_value
      - .offset:         248
        .size:           4
        .value_kind:     by_value
      - .offset:         252
        .size:           4
        .value_kind:     by_value
      - .offset:         256
        .size:           4
        .value_kind:     by_value
      - .offset:         260
        .size:           4
        .value_kind:     by_value
      - .offset:         264
        .size:           4
        .value_kind:     by_value
      - .offset:         268
        .size:           4
        .value_kind:     by_value
      - .offset:         272
        .size:           4
        .value_kind:     hidden_block_count_x
      - .offset:         276
        .size:           4
        .value_kind:     hidden_block_count_y
      - .offset:         280
        .size:           4
        .value_kind:     hidden_block_count_z
      - .offset:         284
        .size:           2
        .value_kind:     hidden_group_size_x
      - .offset:         286
        .size:           2
        .value_kind:     hidden_group_size_y
      - .offset:         288
        .size:           2
        .value_kind:     hidden_group_size_z
      - .offset:         290
        .size:           2
        .value_kind:     hidden_remainder_x
      - .offset:         292
        .size:           2
        .value_kind:     hidden_remainder_y
      - .offset:         294
        .size:           2
        .value_kind:     hidden_remainder_z
      - .offset:         312
        .size:           8
        .value_kind:     hidden_global_offset_x
      - .offset:         320
        .size:           8
        .value_kind:     hidden_global_offset_y
      - .offset:         328
        .size:           8
        .value_kind:     hidden_global_offset_z
      - .offset:         336
        .size:           2
        .value_kind:     hidden_grid_dims
    .group_segment_fixed_size: 0
    .kernarg_segment_align: 8
    .kernarg_segment_size: 528
    .language:       OpenCL C
    .language_version:
      - 2
      - 0
    .max_flat_workgroup_size: 1024
    .name:           naive_conv_ab_packed_fwd_ndhwc_int8_t_int32_t_float_0
    .private_segment_fixed_size: 0
    .sgpr_count:     73
    .sgpr_spill_count: 0
    .symbol:         naive_conv_ab_packed_fwd_ndhwc_int8_t_int32_t_float_0.kd
    .uniform_work_group_size: 1
    .uses_dynamic_stack: false
    .vgpr_count:     26
    .vgpr_spill_count: 0
    .wavefront_size: 32
    .workgroup_processor_mode: 1
  - .args:
      - .actual_access:  read_only
        .address_space:  global
        .offset:         0
        .size:           8
        .value_kind:     global_buffer
      - .actual_access:  read_only
        .address_space:  global
        .offset:         8
        .size:           8
        .value_kind:     global_buffer
      - .offset:         16
        .size:           8
        .value_kind:     by_value
      - .offset:         24
        .size:           8
        .value_kind:     by_value
      - .address_space:  global
        .offset:         32
        .size:           8
        .value_kind:     global_buffer
      - .offset:         40
        .size:           48
        .value_kind:     by_value
      - .offset:         88
        .size:           48
        .value_kind:     by_value
      - .offset:         136
        .size:           48
        .value_kind:     by_value
      - .offset:         184
        .size:           4
        .value_kind:     by_value
      - .offset:         188
        .size:           4
        .value_kind:     by_value
      - .offset:         192
        .size:           4
        .value_kind:     by_value
      - .offset:         196
        .size:           4
        .value_kind:     by_value
      - .offset:         200
        .size:           4
        .value_kind:     by_value
      - .offset:         204
        .size:           4
        .value_kind:     by_value
      - .offset:         208
        .size:           4
        .value_kind:     by_value
      - .offset:         212
        .size:           4
        .value_kind:     by_value
      - .offset:         216
        .size:           4
        .value_kind:     by_value
      - .offset:         220
        .size:           4
        .value_kind:     by_value
      - .offset:         224
        .size:           4
        .value_kind:     by_value
      - .offset:         228
        .size:           4
        .value_kind:     by_value
      - .offset:         232
        .size:           4
        .value_kind:     by_value
      - .offset:         236
        .size:           4
        .value_kind:     by_value
      - .offset:         240
        .size:           4
        .value_kind:     by_value
      - .offset:         244
        .size:           4
        .value_kind:     by_value
      - .offset:         248
        .size:           4
        .value_kind:     by_value
      - .offset:         252
        .size:           4
        .value_kind:     by_value
      - .offset:         256
        .size:           4
        .value_kind:     by_value
      - .offset:         260
        .size:           4
        .value_kind:     by_value
      - .offset:         264
        .size:           4
        .value_kind:     by_value
      - .offset:         268
        .size:           4
        .value_kind:     by_value
      - .offset:         272
        .size:           4
        .value_kind:     hidden_block_count_x
      - .offset:         276
        .size:           4
        .value_kind:     hidden_block_count_y
      - .offset:         280
        .size:           4
        .value_kind:     hidden_block_count_z
      - .offset:         284
        .size:           2
        .value_kind:     hidden_group_size_x
      - .offset:         286
        .size:           2
        .value_kind:     hidden_group_size_y
      - .offset:         288
        .size:           2
        .value_kind:     hidden_group_size_z
      - .offset:         290
        .size:           2
        .value_kind:     hidden_remainder_x
      - .offset:         292
        .size:           2
        .value_kind:     hidden_remainder_y
      - .offset:         294
        .size:           2
        .value_kind:     hidden_remainder_z
      - .offset:         312
        .size:           8
        .value_kind:     hidden_global_offset_x
      - .offset:         320
        .size:           8
        .value_kind:     hidden_global_offset_y
      - .offset:         328
        .size:           8
        .value_kind:     hidden_global_offset_z
      - .offset:         336
        .size:           2
        .value_kind:     hidden_grid_dims
    .group_segment_fixed_size: 0
    .kernarg_segment_align: 8
    .kernarg_segment_size: 528
    .language:       OpenCL C
    .language_version:
      - 2
      - 0
    .max_flat_workgroup_size: 1024
    .name:           naive_conv_ab_nonpacked_fwd_ndhwc_int8_t_int32_t_float_0
    .private_segment_fixed_size: 0
    .sgpr_count:     84
    .sgpr_spill_count: 0
    .symbol:         naive_conv_ab_nonpacked_fwd_ndhwc_int8_t_int32_t_float_0.kd
    .uniform_work_group_size: 1
    .uses_dynamic_stack: false
    .vgpr_count:     26
    .vgpr_spill_count: 0
    .wavefront_size: 32
    .workgroup_processor_mode: 1
  - .args:
      - .address_space:  global
        .offset:         0
        .size:           8
        .value_kind:     global_buffer
      - .actual_access:  read_only
        .address_space:  global
        .offset:         8
        .size:           8
        .value_kind:     global_buffer
      - .offset:         16
        .size:           8
        .value_kind:     by_value
      - .offset:         24
        .size:           8
        .value_kind:     by_value
      - .actual_access:  read_only
        .address_space:  global
        .offset:         32
        .size:           8
        .value_kind:     global_buffer
      - .offset:         40
        .size:           48
        .value_kind:     by_value
      - .offset:         88
        .size:           48
        .value_kind:     by_value
      - .offset:         136
        .size:           48
        .value_kind:     by_value
      - .offset:         184
        .size:           4
        .value_kind:     by_value
      - .offset:         188
        .size:           4
        .value_kind:     by_value
      - .offset:         192
        .size:           4
        .value_kind:     by_value
      - .offset:         196
        .size:           4
        .value_kind:     by_value
      - .offset:         200
        .size:           4
        .value_kind:     by_value
      - .offset:         204
        .size:           4
        .value_kind:     by_value
      - .offset:         208
        .size:           4
        .value_kind:     by_value
      - .offset:         212
        .size:           4
        .value_kind:     by_value
      - .offset:         216
        .size:           4
        .value_kind:     by_value
      - .offset:         220
        .size:           4
        .value_kind:     by_value
      - .offset:         224
        .size:           4
        .value_kind:     by_value
      - .offset:         228
        .size:           4
        .value_kind:     by_value
      - .offset:         232
        .size:           4
        .value_kind:     by_value
      - .offset:         236
        .size:           4
        .value_kind:     by_value
      - .offset:         240
        .size:           4
        .value_kind:     by_value
      - .offset:         244
        .size:           4
        .value_kind:     by_value
      - .offset:         248
        .size:           4
        .value_kind:     by_value
      - .offset:         252
        .size:           4
        .value_kind:     by_value
      - .offset:         256
        .size:           4
        .value_kind:     by_value
      - .offset:         260
        .size:           4
        .value_kind:     by_value
      - .offset:         264
        .size:           4
        .value_kind:     by_value
      - .offset:         268
        .size:           4
        .value_kind:     by_value
      - .offset:         272
        .size:           4
        .value_kind:     hidden_block_count_x
      - .offset:         276
        .size:           4
        .value_kind:     hidden_block_count_y
      - .offset:         280
        .size:           4
        .value_kind:     hidden_block_count_z
      - .offset:         284
        .size:           2
        .value_kind:     hidden_group_size_x
      - .offset:         286
        .size:           2
        .value_kind:     hidden_group_size_y
      - .offset:         288
        .size:           2
        .value_kind:     hidden_group_size_z
      - .offset:         290
        .size:           2
        .value_kind:     hidden_remainder_x
      - .offset:         292
        .size:           2
        .value_kind:     hidden_remainder_y
      - .offset:         294
        .size:           2
        .value_kind:     hidden_remainder_z
      - .offset:         312
        .size:           8
        .value_kind:     hidden_global_offset_x
      - .offset:         320
        .size:           8
        .value_kind:     hidden_global_offset_y
      - .offset:         328
        .size:           8
        .value_kind:     hidden_global_offset_z
      - .offset:         336
        .size:           2
        .value_kind:     hidden_grid_dims
    .group_segment_fixed_size: 0
    .kernarg_segment_align: 8
    .kernarg_segment_size: 528
    .language:       OpenCL C
    .language_version:
      - 2
      - 0
    .max_flat_workgroup_size: 1024
    .name:           naive_conv_ab_packed_bwd_ncdhw_float_double_float_0
    .private_segment_fixed_size: 0
    .sgpr_count:     79
    .sgpr_spill_count: 0
    .symbol:         naive_conv_ab_packed_bwd_ncdhw_float_double_float_0.kd
    .uniform_work_group_size: 1
    .uses_dynamic_stack: false
    .vgpr_count:     22
    .vgpr_spill_count: 0
    .wavefront_size: 32
    .workgroup_processor_mode: 1
  - .args:
      - .address_space:  global
        .offset:         0
        .size:           8
        .value_kind:     global_buffer
      - .actual_access:  read_only
        .address_space:  global
        .offset:         8
        .size:           8
        .value_kind:     global_buffer
      - .offset:         16
        .size:           8
        .value_kind:     by_value
      - .offset:         24
        .size:           8
        .value_kind:     by_value
      - .actual_access:  read_only
        .address_space:  global
        .offset:         32
        .size:           8
        .value_kind:     global_buffer
      - .offset:         40
        .size:           48
        .value_kind:     by_value
      - .offset:         88
        .size:           48
        .value_kind:     by_value
      - .offset:         136
        .size:           48
        .value_kind:     by_value
      - .offset:         184
        .size:           4
        .value_kind:     by_value
      - .offset:         188
        .size:           4
        .value_kind:     by_value
      - .offset:         192
        .size:           4
        .value_kind:     by_value
      - .offset:         196
        .size:           4
        .value_kind:     by_value
      - .offset:         200
        .size:           4
        .value_kind:     by_value
      - .offset:         204
        .size:           4
        .value_kind:     by_value
      - .offset:         208
        .size:           4
        .value_kind:     by_value
      - .offset:         212
        .size:           4
        .value_kind:     by_value
      - .offset:         216
        .size:           4
        .value_kind:     by_value
      - .offset:         220
        .size:           4
        .value_kind:     by_value
      - .offset:         224
        .size:           4
        .value_kind:     by_value
      - .offset:         228
        .size:           4
        .value_kind:     by_value
      - .offset:         232
        .size:           4
        .value_kind:     by_value
      - .offset:         236
        .size:           4
        .value_kind:     by_value
      - .offset:         240
        .size:           4
        .value_kind:     by_value
      - .offset:         244
        .size:           4
        .value_kind:     by_value
      - .offset:         248
        .size:           4
        .value_kind:     by_value
      - .offset:         252
        .size:           4
        .value_kind:     by_value
      - .offset:         256
        .size:           4
        .value_kind:     by_value
      - .offset:         260
        .size:           4
        .value_kind:     by_value
      - .offset:         264
        .size:           4
        .value_kind:     by_value
      - .offset:         268
        .size:           4
        .value_kind:     by_value
      - .offset:         272
        .size:           4
        .value_kind:     hidden_block_count_x
      - .offset:         276
        .size:           4
        .value_kind:     hidden_block_count_y
      - .offset:         280
        .size:           4
        .value_kind:     hidden_block_count_z
      - .offset:         284
        .size:           2
        .value_kind:     hidden_group_size_x
      - .offset:         286
        .size:           2
        .value_kind:     hidden_group_size_y
      - .offset:         288
        .size:           2
        .value_kind:     hidden_group_size_z
      - .offset:         290
        .size:           2
        .value_kind:     hidden_remainder_x
      - .offset:         292
        .size:           2
        .value_kind:     hidden_remainder_y
      - .offset:         294
        .size:           2
        .value_kind:     hidden_remainder_z
      - .offset:         312
        .size:           8
        .value_kind:     hidden_global_offset_x
      - .offset:         320
        .size:           8
        .value_kind:     hidden_global_offset_y
      - .offset:         328
        .size:           8
        .value_kind:     hidden_global_offset_z
      - .offset:         336
        .size:           2
        .value_kind:     hidden_grid_dims
    .group_segment_fixed_size: 0
    .kernarg_segment_align: 8
    .kernarg_segment_size: 528
    .language:       OpenCL C
    .language_version:
      - 2
      - 0
    .max_flat_workgroup_size: 1024
    .name:           naive_conv_ab_nonpacked_bwd_ncdhw_float_double_float_0
    .private_segment_fixed_size: 0
    .sgpr_count:     92
    .sgpr_spill_count: 0
    .symbol:         naive_conv_ab_nonpacked_bwd_ncdhw_float_double_float_0.kd
    .uniform_work_group_size: 1
    .uses_dynamic_stack: false
    .vgpr_count:     22
    .vgpr_spill_count: 0
    .wavefront_size: 32
    .workgroup_processor_mode: 1
  - .args:
      - .address_space:  global
        .offset:         0
        .size:           8
        .value_kind:     global_buffer
      - .actual_access:  read_only
        .address_space:  global
        .offset:         8
        .size:           8
        .value_kind:     global_buffer
      - .offset:         16
        .size:           8
        .value_kind:     by_value
      - .offset:         24
        .size:           8
        .value_kind:     by_value
      - .actual_access:  read_only
        .address_space:  global
        .offset:         32
        .size:           8
        .value_kind:     global_buffer
      - .offset:         40
        .size:           48
        .value_kind:     by_value
      - .offset:         88
        .size:           48
        .value_kind:     by_value
      - .offset:         136
        .size:           48
        .value_kind:     by_value
      - .offset:         184
        .size:           4
        .value_kind:     by_value
      - .offset:         188
        .size:           4
        .value_kind:     by_value
      - .offset:         192
        .size:           4
        .value_kind:     by_value
      - .offset:         196
        .size:           4
        .value_kind:     by_value
      - .offset:         200
        .size:           4
        .value_kind:     by_value
      - .offset:         204
        .size:           4
        .value_kind:     by_value
      - .offset:         208
        .size:           4
        .value_kind:     by_value
      - .offset:         212
        .size:           4
        .value_kind:     by_value
      - .offset:         216
        .size:           4
        .value_kind:     by_value
      - .offset:         220
        .size:           4
        .value_kind:     by_value
      - .offset:         224
        .size:           4
        .value_kind:     by_value
      - .offset:         228
        .size:           4
        .value_kind:     by_value
      - .offset:         232
        .size:           4
        .value_kind:     by_value
      - .offset:         236
        .size:           4
        .value_kind:     by_value
      - .offset:         240
        .size:           4
        .value_kind:     by_value
      - .offset:         244
        .size:           4
        .value_kind:     by_value
      - .offset:         248
        .size:           4
        .value_kind:     by_value
      - .offset:         252
        .size:           4
        .value_kind:     by_value
      - .offset:         256
        .size:           4
        .value_kind:     by_value
      - .offset:         260
        .size:           4
        .value_kind:     by_value
      - .offset:         264
        .size:           4
        .value_kind:     by_value
      - .offset:         268
        .size:           4
        .value_kind:     by_value
      - .offset:         272
        .size:           4
        .value_kind:     hidden_block_count_x
      - .offset:         276
        .size:           4
        .value_kind:     hidden_block_count_y
      - .offset:         280
        .size:           4
        .value_kind:     hidden_block_count_z
      - .offset:         284
        .size:           2
        .value_kind:     hidden_group_size_x
      - .offset:         286
        .size:           2
        .value_kind:     hidden_group_size_y
      - .offset:         288
        .size:           2
        .value_kind:     hidden_group_size_z
      - .offset:         290
        .size:           2
        .value_kind:     hidden_remainder_x
      - .offset:         292
        .size:           2
        .value_kind:     hidden_remainder_y
      - .offset:         294
        .size:           2
        .value_kind:     hidden_remainder_z
      - .offset:         312
        .size:           8
        .value_kind:     hidden_global_offset_x
      - .offset:         320
        .size:           8
        .value_kind:     hidden_global_offset_y
      - .offset:         328
        .size:           8
        .value_kind:     hidden_global_offset_z
      - .offset:         336
        .size:           2
        .value_kind:     hidden_grid_dims
    .group_segment_fixed_size: 0
    .kernarg_segment_align: 8
    .kernarg_segment_size: 528
    .language:       OpenCL C
    .language_version:
      - 2
      - 0
    .max_flat_workgroup_size: 1024
    .name:           naive_conv_ab_packed_bwd_ncdhw_float_double_float_1
    .private_segment_fixed_size: 0
    .sgpr_count:     79
    .sgpr_spill_count: 0
    .symbol:         naive_conv_ab_packed_bwd_ncdhw_float_double_float_1.kd
    .uniform_work_group_size: 1
    .uses_dynamic_stack: false
    .vgpr_count:     22
    .vgpr_spill_count: 0
    .wavefront_size: 32
    .workgroup_processor_mode: 1
  - .args:
      - .address_space:  global
        .offset:         0
        .size:           8
        .value_kind:     global_buffer
      - .actual_access:  read_only
        .address_space:  global
        .offset:         8
        .size:           8
        .value_kind:     global_buffer
      - .offset:         16
        .size:           8
        .value_kind:     by_value
      - .offset:         24
        .size:           8
        .value_kind:     by_value
      - .actual_access:  read_only
        .address_space:  global
        .offset:         32
        .size:           8
        .value_kind:     global_buffer
      - .offset:         40
        .size:           48
        .value_kind:     by_value
      - .offset:         88
        .size:           48
        .value_kind:     by_value
      - .offset:         136
        .size:           48
        .value_kind:     by_value
      - .offset:         184
        .size:           4
        .value_kind:     by_value
      - .offset:         188
        .size:           4
        .value_kind:     by_value
      - .offset:         192
        .size:           4
        .value_kind:     by_value
      - .offset:         196
        .size:           4
        .value_kind:     by_value
      - .offset:         200
        .size:           4
        .value_kind:     by_value
      - .offset:         204
        .size:           4
        .value_kind:     by_value
      - .offset:         208
        .size:           4
        .value_kind:     by_value
      - .offset:         212
        .size:           4
        .value_kind:     by_value
      - .offset:         216
        .size:           4
        .value_kind:     by_value
      - .offset:         220
        .size:           4
        .value_kind:     by_value
      - .offset:         224
        .size:           4
        .value_kind:     by_value
      - .offset:         228
        .size:           4
        .value_kind:     by_value
      - .offset:         232
        .size:           4
        .value_kind:     by_value
      - .offset:         236
        .size:           4
        .value_kind:     by_value
      - .offset:         240
        .size:           4
        .value_kind:     by_value
      - .offset:         244
        .size:           4
        .value_kind:     by_value
      - .offset:         248
        .size:           4
        .value_kind:     by_value
      - .offset:         252
        .size:           4
        .value_kind:     by_value
      - .offset:         256
        .size:           4
        .value_kind:     by_value
      - .offset:         260
        .size:           4
        .value_kind:     by_value
      - .offset:         264
        .size:           4
        .value_kind:     by_value
      - .offset:         268
        .size:           4
        .value_kind:     by_value
      - .offset:         272
        .size:           4
        .value_kind:     hidden_block_count_x
      - .offset:         276
        .size:           4
        .value_kind:     hidden_block_count_y
      - .offset:         280
        .size:           4
        .value_kind:     hidden_block_count_z
      - .offset:         284
        .size:           2
        .value_kind:     hidden_group_size_x
      - .offset:         286
        .size:           2
        .value_kind:     hidden_group_size_y
      - .offset:         288
        .size:           2
        .value_kind:     hidden_group_size_z
      - .offset:         290
        .size:           2
        .value_kind:     hidden_remainder_x
      - .offset:         292
        .size:           2
        .value_kind:     hidden_remainder_y
      - .offset:         294
        .size:           2
        .value_kind:     hidden_remainder_z
      - .offset:         312
        .size:           8
        .value_kind:     hidden_global_offset_x
      - .offset:         320
        .size:           8
        .value_kind:     hidden_global_offset_y
      - .offset:         328
        .size:           8
        .value_kind:     hidden_global_offset_z
      - .offset:         336
        .size:           2
        .value_kind:     hidden_grid_dims
    .group_segment_fixed_size: 0
    .kernarg_segment_align: 8
    .kernarg_segment_size: 528
    .language:       OpenCL C
    .language_version:
      - 2
      - 0
    .max_flat_workgroup_size: 1024
    .name:           naive_conv_ab_nonpacked_bwd_ncdhw_float_double_float_1
    .private_segment_fixed_size: 0
    .sgpr_count:     92
    .sgpr_spill_count: 0
    .symbol:         naive_conv_ab_nonpacked_bwd_ncdhw_float_double_float_1.kd
    .uniform_work_group_size: 1
    .uses_dynamic_stack: false
    .vgpr_count:     22
    .vgpr_spill_count: 0
    .wavefront_size: 32
    .workgroup_processor_mode: 1
  - .args:
      - .address_space:  global
        .offset:         0
        .size:           8
        .value_kind:     global_buffer
      - .actual_access:  read_only
        .address_space:  global
        .offset:         8
        .size:           8
        .value_kind:     global_buffer
      - .offset:         16
        .size:           8
        .value_kind:     by_value
      - .offset:         24
        .size:           8
        .value_kind:     by_value
      - .actual_access:  read_only
        .address_space:  global
        .offset:         32
        .size:           8
        .value_kind:     global_buffer
      - .offset:         40
        .size:           48
        .value_kind:     by_value
      - .offset:         88
        .size:           48
        .value_kind:     by_value
      - .offset:         136
        .size:           48
        .value_kind:     by_value
      - .offset:         184
        .size:           4
        .value_kind:     by_value
      - .offset:         188
        .size:           4
        .value_kind:     by_value
      - .offset:         192
        .size:           4
        .value_kind:     by_value
      - .offset:         196
        .size:           4
        .value_kind:     by_value
      - .offset:         200
        .size:           4
        .value_kind:     by_value
      - .offset:         204
        .size:           4
        .value_kind:     by_value
      - .offset:         208
        .size:           4
        .value_kind:     by_value
      - .offset:         212
        .size:           4
        .value_kind:     by_value
      - .offset:         216
        .size:           4
        .value_kind:     by_value
      - .offset:         220
        .size:           4
        .value_kind:     by_value
      - .offset:         224
        .size:           4
        .value_kind:     by_value
      - .offset:         228
        .size:           4
        .value_kind:     by_value
      - .offset:         232
        .size:           4
        .value_kind:     by_value
      - .offset:         236
        .size:           4
        .value_kind:     by_value
      - .offset:         240
        .size:           4
        .value_kind:     by_value
      - .offset:         244
        .size:           4
        .value_kind:     by_value
      - .offset:         248
        .size:           4
        .value_kind:     by_value
      - .offset:         252
        .size:           4
        .value_kind:     by_value
      - .offset:         256
        .size:           4
        .value_kind:     by_value
      - .offset:         260
        .size:           4
        .value_kind:     by_value
      - .offset:         264
        .size:           4
        .value_kind:     by_value
      - .offset:         268
        .size:           4
        .value_kind:     by_value
      - .offset:         272
        .size:           4
        .value_kind:     hidden_block_count_x
      - .offset:         276
        .size:           4
        .value_kind:     hidden_block_count_y
      - .offset:         280
        .size:           4
        .value_kind:     hidden_block_count_z
      - .offset:         284
        .size:           2
        .value_kind:     hidden_group_size_x
      - .offset:         286
        .size:           2
        .value_kind:     hidden_group_size_y
      - .offset:         288
        .size:           2
        .value_kind:     hidden_group_size_z
      - .offset:         290
        .size:           2
        .value_kind:     hidden_remainder_x
      - .offset:         292
        .size:           2
        .value_kind:     hidden_remainder_y
      - .offset:         294
        .size:           2
        .value_kind:     hidden_remainder_z
      - .offset:         312
        .size:           8
        .value_kind:     hidden_global_offset_x
      - .offset:         320
        .size:           8
        .value_kind:     hidden_global_offset_y
      - .offset:         328
        .size:           8
        .value_kind:     hidden_global_offset_z
      - .offset:         336
        .size:           2
        .value_kind:     hidden_grid_dims
    .group_segment_fixed_size: 0
    .kernarg_segment_align: 8
    .kernarg_segment_size: 528
    .language:       OpenCL C
    .language_version:
      - 2
      - 0
    .max_flat_workgroup_size: 1024
    .name:           naive_conv_ab_packed_bwd_ncdhw_half_double_half_0
    .private_segment_fixed_size: 0
    .sgpr_count:     79
    .sgpr_spill_count: 0
    .symbol:         naive_conv_ab_packed_bwd_ncdhw_half_double_half_0.kd
    .uniform_work_group_size: 1
    .uses_dynamic_stack: false
    .vgpr_count:     24
    .vgpr_spill_count: 0
    .wavefront_size: 32
    .workgroup_processor_mode: 1
  - .args:
      - .address_space:  global
        .offset:         0
        .size:           8
        .value_kind:     global_buffer
      - .actual_access:  read_only
        .address_space:  global
        .offset:         8
        .size:           8
        .value_kind:     global_buffer
      - .offset:         16
        .size:           8
        .value_kind:     by_value
      - .offset:         24
        .size:           8
        .value_kind:     by_value
      - .actual_access:  read_only
        .address_space:  global
        .offset:         32
        .size:           8
        .value_kind:     global_buffer
      - .offset:         40
        .size:           48
        .value_kind:     by_value
      - .offset:         88
        .size:           48
        .value_kind:     by_value
      - .offset:         136
        .size:           48
        .value_kind:     by_value
      - .offset:         184
        .size:           4
        .value_kind:     by_value
      - .offset:         188
        .size:           4
        .value_kind:     by_value
      - .offset:         192
        .size:           4
        .value_kind:     by_value
      - .offset:         196
        .size:           4
        .value_kind:     by_value
      - .offset:         200
        .size:           4
        .value_kind:     by_value
      - .offset:         204
        .size:           4
        .value_kind:     by_value
      - .offset:         208
        .size:           4
        .value_kind:     by_value
      - .offset:         212
        .size:           4
        .value_kind:     by_value
      - .offset:         216
        .size:           4
        .value_kind:     by_value
      - .offset:         220
        .size:           4
        .value_kind:     by_value
      - .offset:         224
        .size:           4
        .value_kind:     by_value
      - .offset:         228
        .size:           4
        .value_kind:     by_value
      - .offset:         232
        .size:           4
        .value_kind:     by_value
      - .offset:         236
        .size:           4
        .value_kind:     by_value
      - .offset:         240
        .size:           4
        .value_kind:     by_value
      - .offset:         244
        .size:           4
        .value_kind:     by_value
      - .offset:         248
        .size:           4
        .value_kind:     by_value
      - .offset:         252
        .size:           4
        .value_kind:     by_value
      - .offset:         256
        .size:           4
        .value_kind:     by_value
      - .offset:         260
        .size:           4
        .value_kind:     by_value
      - .offset:         264
        .size:           4
        .value_kind:     by_value
      - .offset:         268
        .size:           4
        .value_kind:     by_value
      - .offset:         272
        .size:           4
        .value_kind:     hidden_block_count_x
      - .offset:         276
        .size:           4
        .value_kind:     hidden_block_count_y
      - .offset:         280
        .size:           4
        .value_kind:     hidden_block_count_z
      - .offset:         284
        .size:           2
        .value_kind:     hidden_group_size_x
      - .offset:         286
        .size:           2
        .value_kind:     hidden_group_size_y
      - .offset:         288
        .size:           2
        .value_kind:     hidden_group_size_z
      - .offset:         290
        .size:           2
        .value_kind:     hidden_remainder_x
      - .offset:         292
        .size:           2
        .value_kind:     hidden_remainder_y
      - .offset:         294
        .size:           2
        .value_kind:     hidden_remainder_z
      - .offset:         312
        .size:           8
        .value_kind:     hidden_global_offset_x
      - .offset:         320
        .size:           8
        .value_kind:     hidden_global_offset_y
      - .offset:         328
        .size:           8
        .value_kind:     hidden_global_offset_z
      - .offset:         336
        .size:           2
        .value_kind:     hidden_grid_dims
    .group_segment_fixed_size: 0
    .kernarg_segment_align: 8
    .kernarg_segment_size: 528
    .language:       OpenCL C
    .language_version:
      - 2
      - 0
    .max_flat_workgroup_size: 1024
    .name:           naive_conv_ab_nonpacked_bwd_ncdhw_half_double_half_0
    .private_segment_fixed_size: 0
    .sgpr_count:     92
    .sgpr_spill_count: 0
    .symbol:         naive_conv_ab_nonpacked_bwd_ncdhw_half_double_half_0.kd
    .uniform_work_group_size: 1
    .uses_dynamic_stack: false
    .vgpr_count:     24
    .vgpr_spill_count: 0
    .wavefront_size: 32
    .workgroup_processor_mode: 1
  - .args:
      - .address_space:  global
        .offset:         0
        .size:           8
        .value_kind:     global_buffer
      - .actual_access:  read_only
        .address_space:  global
        .offset:         8
        .size:           8
        .value_kind:     global_buffer
      - .offset:         16
        .size:           8
        .value_kind:     by_value
      - .offset:         24
        .size:           8
        .value_kind:     by_value
      - .actual_access:  read_only
        .address_space:  global
        .offset:         32
        .size:           8
        .value_kind:     global_buffer
      - .offset:         40
        .size:           48
        .value_kind:     by_value
      - .offset:         88
        .size:           48
        .value_kind:     by_value
      - .offset:         136
        .size:           48
        .value_kind:     by_value
      - .offset:         184
        .size:           4
        .value_kind:     by_value
      - .offset:         188
        .size:           4
        .value_kind:     by_value
      - .offset:         192
        .size:           4
        .value_kind:     by_value
      - .offset:         196
        .size:           4
        .value_kind:     by_value
      - .offset:         200
        .size:           4
        .value_kind:     by_value
      - .offset:         204
        .size:           4
        .value_kind:     by_value
      - .offset:         208
        .size:           4
        .value_kind:     by_value
      - .offset:         212
        .size:           4
        .value_kind:     by_value
      - .offset:         216
        .size:           4
        .value_kind:     by_value
      - .offset:         220
        .size:           4
        .value_kind:     by_value
      - .offset:         224
        .size:           4
        .value_kind:     by_value
      - .offset:         228
        .size:           4
        .value_kind:     by_value
      - .offset:         232
        .size:           4
        .value_kind:     by_value
      - .offset:         236
        .size:           4
        .value_kind:     by_value
      - .offset:         240
        .size:           4
        .value_kind:     by_value
      - .offset:         244
        .size:           4
        .value_kind:     by_value
      - .offset:         248
        .size:           4
        .value_kind:     by_value
      - .offset:         252
        .size:           4
        .value_kind:     by_value
      - .offset:         256
        .size:           4
        .value_kind:     by_value
      - .offset:         260
        .size:           4
        .value_kind:     by_value
      - .offset:         264
        .size:           4
        .value_kind:     by_value
      - .offset:         268
        .size:           4
        .value_kind:     by_value
      - .offset:         272
        .size:           4
        .value_kind:     hidden_block_count_x
      - .offset:         276
        .size:           4
        .value_kind:     hidden_block_count_y
      - .offset:         280
        .size:           4
        .value_kind:     hidden_block_count_z
      - .offset:         284
        .size:           2
        .value_kind:     hidden_group_size_x
      - .offset:         286
        .size:           2
        .value_kind:     hidden_group_size_y
      - .offset:         288
        .size:           2
        .value_kind:     hidden_group_size_z
      - .offset:         290
        .size:           2
        .value_kind:     hidden_remainder_x
      - .offset:         292
        .size:           2
        .value_kind:     hidden_remainder_y
      - .offset:         294
        .size:           2
        .value_kind:     hidden_remainder_z
      - .offset:         312
        .size:           8
        .value_kind:     hidden_global_offset_x
      - .offset:         320
        .size:           8
        .value_kind:     hidden_global_offset_y
      - .offset:         328
        .size:           8
        .value_kind:     hidden_global_offset_z
      - .offset:         336
        .size:           2
        .value_kind:     hidden_grid_dims
    .group_segment_fixed_size: 0
    .kernarg_segment_align: 8
    .kernarg_segment_size: 528
    .language:       OpenCL C
    .language_version:
      - 2
      - 0
    .max_flat_workgroup_size: 1024
    .name:           naive_conv_ab_packed_bwd_ncdhw_ushort_double_ushort_0
    .private_segment_fixed_size: 0
    .sgpr_count:     79
    .sgpr_spill_count: 0
    .symbol:         naive_conv_ab_packed_bwd_ncdhw_ushort_double_ushort_0.kd
    .uniform_work_group_size: 1
    .uses_dynamic_stack: false
    .vgpr_count:     22
    .vgpr_spill_count: 0
    .wavefront_size: 32
    .workgroup_processor_mode: 1
  - .args:
      - .address_space:  global
        .offset:         0
        .size:           8
        .value_kind:     global_buffer
      - .actual_access:  read_only
        .address_space:  global
        .offset:         8
        .size:           8
        .value_kind:     global_buffer
      - .offset:         16
        .size:           8
        .value_kind:     by_value
      - .offset:         24
        .size:           8
        .value_kind:     by_value
      - .actual_access:  read_only
        .address_space:  global
        .offset:         32
        .size:           8
        .value_kind:     global_buffer
      - .offset:         40
        .size:           48
        .value_kind:     by_value
      - .offset:         88
        .size:           48
        .value_kind:     by_value
      - .offset:         136
        .size:           48
        .value_kind:     by_value
      - .offset:         184
        .size:           4
        .value_kind:     by_value
      - .offset:         188
        .size:           4
        .value_kind:     by_value
      - .offset:         192
        .size:           4
        .value_kind:     by_value
      - .offset:         196
        .size:           4
        .value_kind:     by_value
      - .offset:         200
        .size:           4
        .value_kind:     by_value
      - .offset:         204
        .size:           4
        .value_kind:     by_value
      - .offset:         208
        .size:           4
        .value_kind:     by_value
      - .offset:         212
        .size:           4
        .value_kind:     by_value
      - .offset:         216
        .size:           4
        .value_kind:     by_value
      - .offset:         220
        .size:           4
        .value_kind:     by_value
      - .offset:         224
        .size:           4
        .value_kind:     by_value
      - .offset:         228
        .size:           4
        .value_kind:     by_value
      - .offset:         232
        .size:           4
        .value_kind:     by_value
      - .offset:         236
        .size:           4
        .value_kind:     by_value
      - .offset:         240
        .size:           4
        .value_kind:     by_value
      - .offset:         244
        .size:           4
        .value_kind:     by_value
      - .offset:         248
        .size:           4
        .value_kind:     by_value
      - .offset:         252
        .size:           4
        .value_kind:     by_value
      - .offset:         256
        .size:           4
        .value_kind:     by_value
      - .offset:         260
        .size:           4
        .value_kind:     by_value
      - .offset:         264
        .size:           4
        .value_kind:     by_value
      - .offset:         268
        .size:           4
        .value_kind:     by_value
      - .offset:         272
        .size:           4
        .value_kind:     hidden_block_count_x
      - .offset:         276
        .size:           4
        .value_kind:     hidden_block_count_y
      - .offset:         280
        .size:           4
        .value_kind:     hidden_block_count_z
      - .offset:         284
        .size:           2
        .value_kind:     hidden_group_size_x
      - .offset:         286
        .size:           2
        .value_kind:     hidden_group_size_y
      - .offset:         288
        .size:           2
        .value_kind:     hidden_group_size_z
      - .offset:         290
        .size:           2
        .value_kind:     hidden_remainder_x
      - .offset:         292
        .size:           2
        .value_kind:     hidden_remainder_y
      - .offset:         294
        .size:           2
        .value_kind:     hidden_remainder_z
      - .offset:         312
        .size:           8
        .value_kind:     hidden_global_offset_x
      - .offset:         320
        .size:           8
        .value_kind:     hidden_global_offset_y
      - .offset:         328
        .size:           8
        .value_kind:     hidden_global_offset_z
      - .offset:         336
        .size:           2
        .value_kind:     hidden_grid_dims
    .group_segment_fixed_size: 0
    .kernarg_segment_align: 8
    .kernarg_segment_size: 528
    .language:       OpenCL C
    .language_version:
      - 2
      - 0
    .max_flat_workgroup_size: 1024
    .name:           naive_conv_ab_nonpacked_bwd_ncdhw_ushort_double_ushort_0
    .private_segment_fixed_size: 0
    .sgpr_count:     92
    .sgpr_spill_count: 0
    .symbol:         naive_conv_ab_nonpacked_bwd_ncdhw_ushort_double_ushort_0.kd
    .uniform_work_group_size: 1
    .uses_dynamic_stack: false
    .vgpr_count:     22
    .vgpr_spill_count: 0
    .wavefront_size: 32
    .workgroup_processor_mode: 1
  - .args:
      - .address_space:  global
        .offset:         0
        .size:           8
        .value_kind:     global_buffer
      - .actual_access:  read_only
        .address_space:  global
        .offset:         8
        .size:           8
        .value_kind:     global_buffer
      - .offset:         16
        .size:           8
        .value_kind:     by_value
      - .offset:         24
        .size:           8
        .value_kind:     by_value
      - .actual_access:  read_only
        .address_space:  global
        .offset:         32
        .size:           8
        .value_kind:     global_buffer
      - .offset:         40
        .size:           48
        .value_kind:     by_value
      - .offset:         88
        .size:           48
        .value_kind:     by_value
      - .offset:         136
        .size:           48
        .value_kind:     by_value
      - .offset:         184
        .size:           4
        .value_kind:     by_value
      - .offset:         188
        .size:           4
        .value_kind:     by_value
      - .offset:         192
        .size:           4
        .value_kind:     by_value
      - .offset:         196
        .size:           4
        .value_kind:     by_value
      - .offset:         200
        .size:           4
        .value_kind:     by_value
      - .offset:         204
        .size:           4
        .value_kind:     by_value
      - .offset:         208
        .size:           4
        .value_kind:     by_value
      - .offset:         212
        .size:           4
        .value_kind:     by_value
      - .offset:         216
        .size:           4
        .value_kind:     by_value
      - .offset:         220
        .size:           4
        .value_kind:     by_value
      - .offset:         224
        .size:           4
        .value_kind:     by_value
      - .offset:         228
        .size:           4
        .value_kind:     by_value
      - .offset:         232
        .size:           4
        .value_kind:     by_value
      - .offset:         236
        .size:           4
        .value_kind:     by_value
      - .offset:         240
        .size:           4
        .value_kind:     by_value
      - .offset:         244
        .size:           4
        .value_kind:     by_value
      - .offset:         248
        .size:           4
        .value_kind:     by_value
      - .offset:         252
        .size:           4
        .value_kind:     by_value
      - .offset:         256
        .size:           4
        .value_kind:     by_value
      - .offset:         260
        .size:           4
        .value_kind:     by_value
      - .offset:         264
        .size:           4
        .value_kind:     by_value
      - .offset:         268
        .size:           4
        .value_kind:     by_value
      - .offset:         272
        .size:           4
        .value_kind:     hidden_block_count_x
      - .offset:         276
        .size:           4
        .value_kind:     hidden_block_count_y
      - .offset:         280
        .size:           4
        .value_kind:     hidden_block_count_z
      - .offset:         284
        .size:           2
        .value_kind:     hidden_group_size_x
      - .offset:         286
        .size:           2
        .value_kind:     hidden_group_size_y
      - .offset:         288
        .size:           2
        .value_kind:     hidden_group_size_z
      - .offset:         290
        .size:           2
        .value_kind:     hidden_remainder_x
      - .offset:         292
        .size:           2
        .value_kind:     hidden_remainder_y
      - .offset:         294
        .size:           2
        .value_kind:     hidden_remainder_z
      - .offset:         312
        .size:           8
        .value_kind:     hidden_global_offset_x
      - .offset:         320
        .size:           8
        .value_kind:     hidden_global_offset_y
      - .offset:         328
        .size:           8
        .value_kind:     hidden_global_offset_z
      - .offset:         336
        .size:           2
        .value_kind:     hidden_grid_dims
    .group_segment_fixed_size: 0
    .kernarg_segment_align: 8
    .kernarg_segment_size: 528
    .language:       OpenCL C
    .language_version:
      - 2
      - 0
    .max_flat_workgroup_size: 1024
    .name:           naive_conv_ab_packed_bwd_ndhwc_float_double_float_0
    .private_segment_fixed_size: 0
    .sgpr_count:     80
    .sgpr_spill_count: 0
    .symbol:         naive_conv_ab_packed_bwd_ndhwc_float_double_float_0.kd
    .uniform_work_group_size: 1
    .uses_dynamic_stack: false
    .vgpr_count:     26
    .vgpr_spill_count: 0
    .wavefront_size: 32
    .workgroup_processor_mode: 1
  - .args:
      - .address_space:  global
        .offset:         0
        .size:           8
        .value_kind:     global_buffer
      - .actual_access:  read_only
        .address_space:  global
        .offset:         8
        .size:           8
        .value_kind:     global_buffer
      - .offset:         16
        .size:           8
        .value_kind:     by_value
      - .offset:         24
        .size:           8
        .value_kind:     by_value
      - .actual_access:  read_only
        .address_space:  global
        .offset:         32
        .size:           8
        .value_kind:     global_buffer
      - .offset:         40
        .size:           48
        .value_kind:     by_value
      - .offset:         88
        .size:           48
        .value_kind:     by_value
      - .offset:         136
        .size:           48
        .value_kind:     by_value
      - .offset:         184
        .size:           4
        .value_kind:     by_value
      - .offset:         188
        .size:           4
        .value_kind:     by_value
      - .offset:         192
        .size:           4
        .value_kind:     by_value
      - .offset:         196
        .size:           4
        .value_kind:     by_value
      - .offset:         200
        .size:           4
        .value_kind:     by_value
      - .offset:         204
        .size:           4
        .value_kind:     by_value
      - .offset:         208
        .size:           4
        .value_kind:     by_value
      - .offset:         212
        .size:           4
        .value_kind:     by_value
      - .offset:         216
        .size:           4
        .value_kind:     by_value
      - .offset:         220
        .size:           4
        .value_kind:     by_value
      - .offset:         224
        .size:           4
        .value_kind:     by_value
      - .offset:         228
        .size:           4
        .value_kind:     by_value
      - .offset:         232
        .size:           4
        .value_kind:     by_value
      - .offset:         236
        .size:           4
        .value_kind:     by_value
      - .offset:         240
        .size:           4
        .value_kind:     by_value
      - .offset:         244
        .size:           4
        .value_kind:     by_value
      - .offset:         248
        .size:           4
        .value_kind:     by_value
      - .offset:         252
        .size:           4
        .value_kind:     by_value
      - .offset:         256
        .size:           4
        .value_kind:     by_value
      - .offset:         260
        .size:           4
        .value_kind:     by_value
      - .offset:         264
        .size:           4
        .value_kind:     by_value
      - .offset:         268
        .size:           4
        .value_kind:     by_value
      - .offset:         272
        .size:           4
        .value_kind:     hidden_block_count_x
      - .offset:         276
        .size:           4
        .value_kind:     hidden_block_count_y
      - .offset:         280
        .size:           4
        .value_kind:     hidden_block_count_z
      - .offset:         284
        .size:           2
        .value_kind:     hidden_group_size_x
      - .offset:         286
        .size:           2
        .value_kind:     hidden_group_size_y
      - .offset:         288
        .size:           2
        .value_kind:     hidden_group_size_z
      - .offset:         290
        .size:           2
        .value_kind:     hidden_remainder_x
      - .offset:         292
        .size:           2
        .value_kind:     hidden_remainder_y
      - .offset:         294
        .size:           2
        .value_kind:     hidden_remainder_z
      - .offset:         312
        .size:           8
        .value_kind:     hidden_global_offset_x
      - .offset:         320
        .size:           8
        .value_kind:     hidden_global_offset_y
      - .offset:         328
        .size:           8
        .value_kind:     hidden_global_offset_z
      - .offset:         336
        .size:           2
        .value_kind:     hidden_grid_dims
    .group_segment_fixed_size: 0
    .kernarg_segment_align: 8
    .kernarg_segment_size: 528
    .language:       OpenCL C
    .language_version:
      - 2
      - 0
    .max_flat_workgroup_size: 1024
    .name:           naive_conv_ab_nonpacked_bwd_ndhwc_float_double_float_0
    .private_segment_fixed_size: 0
    .sgpr_count:     92
    .sgpr_spill_count: 0
    .symbol:         naive_conv_ab_nonpacked_bwd_ndhwc_float_double_float_0.kd
    .uniform_work_group_size: 1
    .uses_dynamic_stack: false
    .vgpr_count:     26
    .vgpr_spill_count: 0
    .wavefront_size: 32
    .workgroup_processor_mode: 1
  - .args:
      - .address_space:  global
        .offset:         0
        .size:           8
        .value_kind:     global_buffer
      - .actual_access:  read_only
        .address_space:  global
        .offset:         8
        .size:           8
        .value_kind:     global_buffer
      - .offset:         16
        .size:           8
        .value_kind:     by_value
      - .offset:         24
        .size:           8
        .value_kind:     by_value
      - .actual_access:  read_only
        .address_space:  global
        .offset:         32
        .size:           8
        .value_kind:     global_buffer
      - .offset:         40
        .size:           48
        .value_kind:     by_value
      - .offset:         88
        .size:           48
        .value_kind:     by_value
      - .offset:         136
        .size:           48
        .value_kind:     by_value
      - .offset:         184
        .size:           4
        .value_kind:     by_value
      - .offset:         188
        .size:           4
        .value_kind:     by_value
      - .offset:         192
        .size:           4
        .value_kind:     by_value
      - .offset:         196
        .size:           4
        .value_kind:     by_value
      - .offset:         200
        .size:           4
        .value_kind:     by_value
      - .offset:         204
        .size:           4
        .value_kind:     by_value
      - .offset:         208
        .size:           4
        .value_kind:     by_value
      - .offset:         212
        .size:           4
        .value_kind:     by_value
      - .offset:         216
        .size:           4
        .value_kind:     by_value
      - .offset:         220
        .size:           4
        .value_kind:     by_value
      - .offset:         224
        .size:           4
        .value_kind:     by_value
      - .offset:         228
        .size:           4
        .value_kind:     by_value
      - .offset:         232
        .size:           4
        .value_kind:     by_value
      - .offset:         236
        .size:           4
        .value_kind:     by_value
      - .offset:         240
        .size:           4
        .value_kind:     by_value
      - .offset:         244
        .size:           4
        .value_kind:     by_value
      - .offset:         248
        .size:           4
        .value_kind:     by_value
      - .offset:         252
        .size:           4
        .value_kind:     by_value
      - .offset:         256
        .size:           4
        .value_kind:     by_value
      - .offset:         260
        .size:           4
        .value_kind:     by_value
      - .offset:         264
        .size:           4
        .value_kind:     by_value
      - .offset:         268
        .size:           4
        .value_kind:     by_value
      - .offset:         272
        .size:           4
        .value_kind:     hidden_block_count_x
      - .offset:         276
        .size:           4
        .value_kind:     hidden_block_count_y
      - .offset:         280
        .size:           4
        .value_kind:     hidden_block_count_z
      - .offset:         284
        .size:           2
        .value_kind:     hidden_group_size_x
      - .offset:         286
        .size:           2
        .value_kind:     hidden_group_size_y
      - .offset:         288
        .size:           2
        .value_kind:     hidden_group_size_z
      - .offset:         290
        .size:           2
        .value_kind:     hidden_remainder_x
      - .offset:         292
        .size:           2
        .value_kind:     hidden_remainder_y
      - .offset:         294
        .size:           2
        .value_kind:     hidden_remainder_z
      - .offset:         312
        .size:           8
        .value_kind:     hidden_global_offset_x
      - .offset:         320
        .size:           8
        .value_kind:     hidden_global_offset_y
      - .offset:         328
        .size:           8
        .value_kind:     hidden_global_offset_z
      - .offset:         336
        .size:           2
        .value_kind:     hidden_grid_dims
    .group_segment_fixed_size: 0
    .kernarg_segment_align: 8
    .kernarg_segment_size: 528
    .language:       OpenCL C
    .language_version:
      - 2
      - 0
    .max_flat_workgroup_size: 1024
    .name:           naive_conv_ab_packed_bwd_ndhwc_float_double_float_1
    .private_segment_fixed_size: 0
    .sgpr_count:     80
    .sgpr_spill_count: 0
    .symbol:         naive_conv_ab_packed_bwd_ndhwc_float_double_float_1.kd
    .uniform_work_group_size: 1
    .uses_dynamic_stack: false
    .vgpr_count:     26
    .vgpr_spill_count: 0
    .wavefront_size: 32
    .workgroup_processor_mode: 1
  - .args:
      - .address_space:  global
        .offset:         0
        .size:           8
        .value_kind:     global_buffer
      - .actual_access:  read_only
        .address_space:  global
        .offset:         8
        .size:           8
        .value_kind:     global_buffer
      - .offset:         16
        .size:           8
        .value_kind:     by_value
      - .offset:         24
        .size:           8
        .value_kind:     by_value
      - .actual_access:  read_only
        .address_space:  global
        .offset:         32
        .size:           8
        .value_kind:     global_buffer
      - .offset:         40
        .size:           48
        .value_kind:     by_value
      - .offset:         88
        .size:           48
        .value_kind:     by_value
      - .offset:         136
        .size:           48
        .value_kind:     by_value
      - .offset:         184
        .size:           4
        .value_kind:     by_value
      - .offset:         188
        .size:           4
        .value_kind:     by_value
      - .offset:         192
        .size:           4
        .value_kind:     by_value
      - .offset:         196
        .size:           4
        .value_kind:     by_value
      - .offset:         200
        .size:           4
        .value_kind:     by_value
      - .offset:         204
        .size:           4
        .value_kind:     by_value
      - .offset:         208
        .size:           4
        .value_kind:     by_value
      - .offset:         212
        .size:           4
        .value_kind:     by_value
      - .offset:         216
        .size:           4
        .value_kind:     by_value
      - .offset:         220
        .size:           4
        .value_kind:     by_value
      - .offset:         224
        .size:           4
        .value_kind:     by_value
      - .offset:         228
        .size:           4
        .value_kind:     by_value
      - .offset:         232
        .size:           4
        .value_kind:     by_value
      - .offset:         236
        .size:           4
        .value_kind:     by_value
      - .offset:         240
        .size:           4
        .value_kind:     by_value
      - .offset:         244
        .size:           4
        .value_kind:     by_value
      - .offset:         248
        .size:           4
        .value_kind:     by_value
      - .offset:         252
        .size:           4
        .value_kind:     by_value
      - .offset:         256
        .size:           4
        .value_kind:     by_value
      - .offset:         260
        .size:           4
        .value_kind:     by_value
      - .offset:         264
        .size:           4
        .value_kind:     by_value
      - .offset:         268
        .size:           4
        .value_kind:     by_value
      - .offset:         272
        .size:           4
        .value_kind:     hidden_block_count_x
      - .offset:         276
        .size:           4
        .value_kind:     hidden_block_count_y
      - .offset:         280
        .size:           4
        .value_kind:     hidden_block_count_z
      - .offset:         284
        .size:           2
        .value_kind:     hidden_group_size_x
      - .offset:         286
        .size:           2
        .value_kind:     hidden_group_size_y
      - .offset:         288
        .size:           2
        .value_kind:     hidden_group_size_z
      - .offset:         290
        .size:           2
        .value_kind:     hidden_remainder_x
      - .offset:         292
        .size:           2
        .value_kind:     hidden_remainder_y
      - .offset:         294
        .size:           2
        .value_kind:     hidden_remainder_z
      - .offset:         312
        .size:           8
        .value_kind:     hidden_global_offset_x
      - .offset:         320
        .size:           8
        .value_kind:     hidden_global_offset_y
      - .offset:         328
        .size:           8
        .value_kind:     hidden_global_offset_z
      - .offset:         336
        .size:           2
        .value_kind:     hidden_grid_dims
    .group_segment_fixed_size: 0
    .kernarg_segment_align: 8
    .kernarg_segment_size: 528
    .language:       OpenCL C
    .language_version:
      - 2
      - 0
    .max_flat_workgroup_size: 1024
    .name:           naive_conv_ab_nonpacked_bwd_ndhwc_float_double_float_1
    .private_segment_fixed_size: 0
    .sgpr_count:     92
    .sgpr_spill_count: 0
    .symbol:         naive_conv_ab_nonpacked_bwd_ndhwc_float_double_float_1.kd
    .uniform_work_group_size: 1
    .uses_dynamic_stack: false
    .vgpr_count:     26
    .vgpr_spill_count: 0
    .wavefront_size: 32
    .workgroup_processor_mode: 1
  - .args:
      - .address_space:  global
        .offset:         0
        .size:           8
        .value_kind:     global_buffer
      - .actual_access:  read_only
        .address_space:  global
        .offset:         8
        .size:           8
        .value_kind:     global_buffer
      - .offset:         16
        .size:           8
        .value_kind:     by_value
      - .offset:         24
        .size:           8
        .value_kind:     by_value
      - .actual_access:  read_only
        .address_space:  global
        .offset:         32
        .size:           8
        .value_kind:     global_buffer
      - .offset:         40
        .size:           48
        .value_kind:     by_value
      - .offset:         88
        .size:           48
        .value_kind:     by_value
      - .offset:         136
        .size:           48
        .value_kind:     by_value
      - .offset:         184
        .size:           4
        .value_kind:     by_value
      - .offset:         188
        .size:           4
        .value_kind:     by_value
      - .offset:         192
        .size:           4
        .value_kind:     by_value
      - .offset:         196
        .size:           4
        .value_kind:     by_value
      - .offset:         200
        .size:           4
        .value_kind:     by_value
      - .offset:         204
        .size:           4
        .value_kind:     by_value
      - .offset:         208
        .size:           4
        .value_kind:     by_value
      - .offset:         212
        .size:           4
        .value_kind:     by_value
      - .offset:         216
        .size:           4
        .value_kind:     by_value
      - .offset:         220
        .size:           4
        .value_kind:     by_value
      - .offset:         224
        .size:           4
        .value_kind:     by_value
      - .offset:         228
        .size:           4
        .value_kind:     by_value
      - .offset:         232
        .size:           4
        .value_kind:     by_value
      - .offset:         236
        .size:           4
        .value_kind:     by_value
      - .offset:         240
        .size:           4
        .value_kind:     by_value
      - .offset:         244
        .size:           4
        .value_kind:     by_value
      - .offset:         248
        .size:           4
        .value_kind:     by_value
      - .offset:         252
        .size:           4
        .value_kind:     by_value
      - .offset:         256
        .size:           4
        .value_kind:     by_value
      - .offset:         260
        .size:           4
        .value_kind:     by_value
      - .offset:         264
        .size:           4
        .value_kind:     by_value
      - .offset:         268
        .size:           4
        .value_kind:     by_value
      - .offset:         272
        .size:           4
        .value_kind:     hidden_block_count_x
      - .offset:         276
        .size:           4
        .value_kind:     hidden_block_count_y
      - .offset:         280
        .size:           4
        .value_kind:     hidden_block_count_z
      - .offset:         284
        .size:           2
        .value_kind:     hidden_group_size_x
      - .offset:         286
        .size:           2
        .value_kind:     hidden_group_size_y
      - .offset:         288
        .size:           2
        .value_kind:     hidden_group_size_z
      - .offset:         290
        .size:           2
        .value_kind:     hidden_remainder_x
      - .offset:         292
        .size:           2
        .value_kind:     hidden_remainder_y
      - .offset:         294
        .size:           2
        .value_kind:     hidden_remainder_z
      - .offset:         312
        .size:           8
        .value_kind:     hidden_global_offset_x
      - .offset:         320
        .size:           8
        .value_kind:     hidden_global_offset_y
      - .offset:         328
        .size:           8
        .value_kind:     hidden_global_offset_z
      - .offset:         336
        .size:           2
        .value_kind:     hidden_grid_dims
    .group_segment_fixed_size: 0
    .kernarg_segment_align: 8
    .kernarg_segment_size: 528
    .language:       OpenCL C
    .language_version:
      - 2
      - 0
    .max_flat_workgroup_size: 1024
    .name:           naive_conv_ab_packed_bwd_ndhwc_half_double_half_0
    .private_segment_fixed_size: 0
    .sgpr_count:     80
    .sgpr_spill_count: 0
    .symbol:         naive_conv_ab_packed_bwd_ndhwc_half_double_half_0.kd
    .uniform_work_group_size: 1
    .uses_dynamic_stack: false
    .vgpr_count:     27
    .vgpr_spill_count: 0
    .wavefront_size: 32
    .workgroup_processor_mode: 1
  - .args:
      - .address_space:  global
        .offset:         0
        .size:           8
        .value_kind:     global_buffer
      - .actual_access:  read_only
        .address_space:  global
        .offset:         8
        .size:           8
        .value_kind:     global_buffer
      - .offset:         16
        .size:           8
        .value_kind:     by_value
      - .offset:         24
        .size:           8
        .value_kind:     by_value
      - .actual_access:  read_only
        .address_space:  global
        .offset:         32
        .size:           8
        .value_kind:     global_buffer
      - .offset:         40
        .size:           48
        .value_kind:     by_value
      - .offset:         88
        .size:           48
        .value_kind:     by_value
      - .offset:         136
        .size:           48
        .value_kind:     by_value
      - .offset:         184
        .size:           4
        .value_kind:     by_value
      - .offset:         188
        .size:           4
        .value_kind:     by_value
      - .offset:         192
        .size:           4
        .value_kind:     by_value
      - .offset:         196
        .size:           4
        .value_kind:     by_value
      - .offset:         200
        .size:           4
        .value_kind:     by_value
      - .offset:         204
        .size:           4
        .value_kind:     by_value
      - .offset:         208
        .size:           4
        .value_kind:     by_value
      - .offset:         212
        .size:           4
        .value_kind:     by_value
      - .offset:         216
        .size:           4
        .value_kind:     by_value
      - .offset:         220
        .size:           4
        .value_kind:     by_value
      - .offset:         224
        .size:           4
        .value_kind:     by_value
      - .offset:         228
        .size:           4
        .value_kind:     by_value
      - .offset:         232
        .size:           4
        .value_kind:     by_value
      - .offset:         236
        .size:           4
        .value_kind:     by_value
      - .offset:         240
        .size:           4
        .value_kind:     by_value
      - .offset:         244
        .size:           4
        .value_kind:     by_value
      - .offset:         248
        .size:           4
        .value_kind:     by_value
      - .offset:         252
        .size:           4
        .value_kind:     by_value
      - .offset:         256
        .size:           4
        .value_kind:     by_value
      - .offset:         260
        .size:           4
        .value_kind:     by_value
      - .offset:         264
        .size:           4
        .value_kind:     by_value
      - .offset:         268
        .size:           4
        .value_kind:     by_value
      - .offset:         272
        .size:           4
        .value_kind:     hidden_block_count_x
      - .offset:         276
        .size:           4
        .value_kind:     hidden_block_count_y
      - .offset:         280
        .size:           4
        .value_kind:     hidden_block_count_z
      - .offset:         284
        .size:           2
        .value_kind:     hidden_group_size_x
      - .offset:         286
        .size:           2
        .value_kind:     hidden_group_size_y
      - .offset:         288
        .size:           2
        .value_kind:     hidden_group_size_z
      - .offset:         290
        .size:           2
        .value_kind:     hidden_remainder_x
      - .offset:         292
        .size:           2
        .value_kind:     hidden_remainder_y
      - .offset:         294
        .size:           2
        .value_kind:     hidden_remainder_z
      - .offset:         312
        .size:           8
        .value_kind:     hidden_global_offset_x
      - .offset:         320
        .size:           8
        .value_kind:     hidden_global_offset_y
      - .offset:         328
        .size:           8
        .value_kind:     hidden_global_offset_z
      - .offset:         336
        .size:           2
        .value_kind:     hidden_grid_dims
    .group_segment_fixed_size: 0
    .kernarg_segment_align: 8
    .kernarg_segment_size: 528
    .language:       OpenCL C
    .language_version:
      - 2
      - 0
    .max_flat_workgroup_size: 1024
    .name:           naive_conv_ab_nonpacked_bwd_ndhwc_half_double_half_0
    .private_segment_fixed_size: 0
    .sgpr_count:     92
    .sgpr_spill_count: 0
    .symbol:         naive_conv_ab_nonpacked_bwd_ndhwc_half_double_half_0.kd
    .uniform_work_group_size: 1
    .uses_dynamic_stack: false
    .vgpr_count:     27
    .vgpr_spill_count: 0
    .wavefront_size: 32
    .workgroup_processor_mode: 1
  - .args:
      - .address_space:  global
        .offset:         0
        .size:           8
        .value_kind:     global_buffer
      - .actual_access:  read_only
        .address_space:  global
        .offset:         8
        .size:           8
        .value_kind:     global_buffer
      - .offset:         16
        .size:           8
        .value_kind:     by_value
      - .offset:         24
        .size:           8
        .value_kind:     by_value
      - .actual_access:  read_only
        .address_space:  global
        .offset:         32
        .size:           8
        .value_kind:     global_buffer
      - .offset:         40
        .size:           48
        .value_kind:     by_value
      - .offset:         88
        .size:           48
        .value_kind:     by_value
      - .offset:         136
        .size:           48
        .value_kind:     by_value
      - .offset:         184
        .size:           4
        .value_kind:     by_value
      - .offset:         188
        .size:           4
        .value_kind:     by_value
      - .offset:         192
        .size:           4
        .value_kind:     by_value
      - .offset:         196
        .size:           4
        .value_kind:     by_value
      - .offset:         200
        .size:           4
        .value_kind:     by_value
      - .offset:         204
        .size:           4
        .value_kind:     by_value
      - .offset:         208
        .size:           4
        .value_kind:     by_value
      - .offset:         212
        .size:           4
        .value_kind:     by_value
      - .offset:         216
        .size:           4
        .value_kind:     by_value
      - .offset:         220
        .size:           4
        .value_kind:     by_value
      - .offset:         224
        .size:           4
        .value_kind:     by_value
      - .offset:         228
        .size:           4
        .value_kind:     by_value
      - .offset:         232
        .size:           4
        .value_kind:     by_value
      - .offset:         236
        .size:           4
        .value_kind:     by_value
      - .offset:         240
        .size:           4
        .value_kind:     by_value
      - .offset:         244
        .size:           4
        .value_kind:     by_value
      - .offset:         248
        .size:           4
        .value_kind:     by_value
      - .offset:         252
        .size:           4
        .value_kind:     by_value
      - .offset:         256
        .size:           4
        .value_kind:     by_value
      - .offset:         260
        .size:           4
        .value_kind:     by_value
      - .offset:         264
        .size:           4
        .value_kind:     by_value
      - .offset:         268
        .size:           4
        .value_kind:     by_value
      - .offset:         272
        .size:           4
        .value_kind:     hidden_block_count_x
      - .offset:         276
        .size:           4
        .value_kind:     hidden_block_count_y
      - .offset:         280
        .size:           4
        .value_kind:     hidden_block_count_z
      - .offset:         284
        .size:           2
        .value_kind:     hidden_group_size_x
      - .offset:         286
        .size:           2
        .value_kind:     hidden_group_size_y
      - .offset:         288
        .size:           2
        .value_kind:     hidden_group_size_z
      - .offset:         290
        .size:           2
        .value_kind:     hidden_remainder_x
      - .offset:         292
        .size:           2
        .value_kind:     hidden_remainder_y
      - .offset:         294
        .size:           2
        .value_kind:     hidden_remainder_z
      - .offset:         312
        .size:           8
        .value_kind:     hidden_global_offset_x
      - .offset:         320
        .size:           8
        .value_kind:     hidden_global_offset_y
      - .offset:         328
        .size:           8
        .value_kind:     hidden_global_offset_z
      - .offset:         336
        .size:           2
        .value_kind:     hidden_grid_dims
    .group_segment_fixed_size: 0
    .kernarg_segment_align: 8
    .kernarg_segment_size: 528
    .language:       OpenCL C
    .language_version:
      - 2
      - 0
    .max_flat_workgroup_size: 1024
    .name:           naive_conv_ab_packed_bwd_ndhwc_ushort_double_ushort_0
    .private_segment_fixed_size: 0
    .sgpr_count:     80
    .sgpr_spill_count: 0
    .symbol:         naive_conv_ab_packed_bwd_ndhwc_ushort_double_ushort_0.kd
    .uniform_work_group_size: 1
    .uses_dynamic_stack: false
    .vgpr_count:     26
    .vgpr_spill_count: 0
    .wavefront_size: 32
    .workgroup_processor_mode: 1
  - .args:
      - .address_space:  global
        .offset:         0
        .size:           8
        .value_kind:     global_buffer
      - .actual_access:  read_only
        .address_space:  global
        .offset:         8
        .size:           8
        .value_kind:     global_buffer
      - .offset:         16
        .size:           8
        .value_kind:     by_value
      - .offset:         24
        .size:           8
        .value_kind:     by_value
      - .actual_access:  read_only
        .address_space:  global
        .offset:         32
        .size:           8
        .value_kind:     global_buffer
      - .offset:         40
        .size:           48
        .value_kind:     by_value
      - .offset:         88
        .size:           48
        .value_kind:     by_value
      - .offset:         136
        .size:           48
        .value_kind:     by_value
      - .offset:         184
        .size:           4
        .value_kind:     by_value
      - .offset:         188
        .size:           4
        .value_kind:     by_value
      - .offset:         192
        .size:           4
        .value_kind:     by_value
      - .offset:         196
        .size:           4
        .value_kind:     by_value
      - .offset:         200
        .size:           4
        .value_kind:     by_value
      - .offset:         204
        .size:           4
        .value_kind:     by_value
      - .offset:         208
        .size:           4
        .value_kind:     by_value
      - .offset:         212
        .size:           4
        .value_kind:     by_value
      - .offset:         216
        .size:           4
        .value_kind:     by_value
      - .offset:         220
        .size:           4
        .value_kind:     by_value
      - .offset:         224
        .size:           4
        .value_kind:     by_value
      - .offset:         228
        .size:           4
        .value_kind:     by_value
      - .offset:         232
        .size:           4
        .value_kind:     by_value
      - .offset:         236
        .size:           4
        .value_kind:     by_value
      - .offset:         240
        .size:           4
        .value_kind:     by_value
      - .offset:         244
        .size:           4
        .value_kind:     by_value
      - .offset:         248
        .size:           4
        .value_kind:     by_value
      - .offset:         252
        .size:           4
        .value_kind:     by_value
      - .offset:         256
        .size:           4
        .value_kind:     by_value
      - .offset:         260
        .size:           4
        .value_kind:     by_value
      - .offset:         264
        .size:           4
        .value_kind:     by_value
      - .offset:         268
        .size:           4
        .value_kind:     by_value
      - .offset:         272
        .size:           4
        .value_kind:     hidden_block_count_x
      - .offset:         276
        .size:           4
        .value_kind:     hidden_block_count_y
      - .offset:         280
        .size:           4
        .value_kind:     hidden_block_count_z
      - .offset:         284
        .size:           2
        .value_kind:     hidden_group_size_x
      - .offset:         286
        .size:           2
        .value_kind:     hidden_group_size_y
      - .offset:         288
        .size:           2
        .value_kind:     hidden_group_size_z
      - .offset:         290
        .size:           2
        .value_kind:     hidden_remainder_x
      - .offset:         292
        .size:           2
        .value_kind:     hidden_remainder_y
      - .offset:         294
        .size:           2
        .value_kind:     hidden_remainder_z
      - .offset:         312
        .size:           8
        .value_kind:     hidden_global_offset_x
      - .offset:         320
        .size:           8
        .value_kind:     hidden_global_offset_y
      - .offset:         328
        .size:           8
        .value_kind:     hidden_global_offset_z
      - .offset:         336
        .size:           2
        .value_kind:     hidden_grid_dims
    .group_segment_fixed_size: 0
    .kernarg_segment_align: 8
    .kernarg_segment_size: 528
    .language:       OpenCL C
    .language_version:
      - 2
      - 0
    .max_flat_workgroup_size: 1024
    .name:           naive_conv_ab_nonpacked_bwd_ndhwc_ushort_double_ushort_0
    .private_segment_fixed_size: 0
    .sgpr_count:     92
    .sgpr_spill_count: 0
    .symbol:         naive_conv_ab_nonpacked_bwd_ndhwc_ushort_double_ushort_0.kd
    .uniform_work_group_size: 1
    .uses_dynamic_stack: false
    .vgpr_count:     26
    .vgpr_spill_count: 0
    .wavefront_size: 32
    .workgroup_processor_mode: 1
  - .args:
      - .actual_access:  read_only
        .address_space:  global
        .offset:         0
        .size:           8
        .value_kind:     global_buffer
      - .address_space:  global
        .offset:         8
        .size:           8
        .value_kind:     global_buffer
      - .offset:         16
        .size:           8
        .value_kind:     by_value
      - .offset:         24
        .size:           8
        .value_kind:     by_value
      - .actual_access:  read_only
        .address_space:  global
        .offset:         32
        .size:           8
        .value_kind:     global_buffer
      - .offset:         40
        .size:           48
        .value_kind:     by_value
      - .offset:         88
        .size:           48
        .value_kind:     by_value
      - .offset:         136
        .size:           48
        .value_kind:     by_value
      - .offset:         184
        .size:           4
        .value_kind:     by_value
      - .offset:         188
        .size:           4
        .value_kind:     by_value
      - .offset:         192
        .size:           4
        .value_kind:     by_value
      - .offset:         196
        .size:           4
        .value_kind:     by_value
      - .offset:         200
        .size:           4
        .value_kind:     by_value
      - .offset:         204
        .size:           4
        .value_kind:     by_value
      - .offset:         208
        .size:           4
        .value_kind:     by_value
      - .offset:         212
        .size:           4
        .value_kind:     by_value
      - .offset:         216
        .size:           4
        .value_kind:     by_value
      - .offset:         220
        .size:           4
        .value_kind:     by_value
      - .offset:         224
        .size:           4
        .value_kind:     by_value
      - .offset:         228
        .size:           4
        .value_kind:     by_value
      - .offset:         232
        .size:           4
        .value_kind:     by_value
      - .offset:         236
        .size:           4
        .value_kind:     by_value
      - .offset:         240
        .size:           4
        .value_kind:     by_value
      - .offset:         244
        .size:           4
        .value_kind:     by_value
      - .offset:         248
        .size:           4
        .value_kind:     by_value
      - .offset:         252
        .size:           4
        .value_kind:     by_value
      - .offset:         256
        .size:           4
        .value_kind:     by_value
      - .offset:         260
        .size:           4
        .value_kind:     by_value
      - .offset:         264
        .size:           4
        .value_kind:     by_value
      - .offset:         268
        .size:           4
        .value_kind:     by_value
      - .offset:         272
        .size:           4
        .value_kind:     hidden_block_count_x
      - .offset:         276
        .size:           4
        .value_kind:     hidden_block_count_y
      - .offset:         280
        .size:           4
        .value_kind:     hidden_block_count_z
      - .offset:         284
        .size:           2
        .value_kind:     hidden_group_size_x
      - .offset:         286
        .size:           2
        .value_kind:     hidden_group_size_y
      - .offset:         288
        .size:           2
        .value_kind:     hidden_group_size_z
      - .offset:         290
        .size:           2
        .value_kind:     hidden_remainder_x
      - .offset:         292
        .size:           2
        .value_kind:     hidden_remainder_y
      - .offset:         294
        .size:           2
        .value_kind:     hidden_remainder_z
      - .offset:         312
        .size:           8
        .value_kind:     hidden_global_offset_x
      - .offset:         320
        .size:           8
        .value_kind:     hidden_global_offset_y
      - .offset:         328
        .size:           8
        .value_kind:     hidden_global_offset_z
      - .offset:         336
        .size:           2
        .value_kind:     hidden_grid_dims
    .group_segment_fixed_size: 0
    .kernarg_segment_align: 8
    .kernarg_segment_size: 528
    .language:       OpenCL C
    .language_version:
      - 2
      - 0
    .max_flat_workgroup_size: 1024
    .name:           naive_conv_ab_packed_wrw_ncdhw_float_double_float_0
    .private_segment_fixed_size: 0
    .sgpr_count:     82
    .sgpr_spill_count: 0
    .symbol:         naive_conv_ab_packed_wrw_ncdhw_float_double_float_0.kd
    .uniform_work_group_size: 1
    .uses_dynamic_stack: false
    .vgpr_count:     23
    .vgpr_spill_count: 0
    .wavefront_size: 32
    .workgroup_processor_mode: 1
  - .args:
      - .actual_access:  read_only
        .address_space:  global
        .offset:         0
        .size:           8
        .value_kind:     global_buffer
      - .address_space:  global
        .offset:         8
        .size:           8
        .value_kind:     global_buffer
      - .offset:         16
        .size:           8
        .value_kind:     by_value
      - .offset:         24
        .size:           8
        .value_kind:     by_value
      - .actual_access:  read_only
        .address_space:  global
        .offset:         32
        .size:           8
        .value_kind:     global_buffer
      - .offset:         40
        .size:           48
        .value_kind:     by_value
      - .offset:         88
        .size:           48
        .value_kind:     by_value
      - .offset:         136
        .size:           48
        .value_kind:     by_value
      - .offset:         184
        .size:           4
        .value_kind:     by_value
      - .offset:         188
        .size:           4
        .value_kind:     by_value
      - .offset:         192
        .size:           4
        .value_kind:     by_value
      - .offset:         196
        .size:           4
        .value_kind:     by_value
      - .offset:         200
        .size:           4
        .value_kind:     by_value
      - .offset:         204
        .size:           4
        .value_kind:     by_value
      - .offset:         208
        .size:           4
        .value_kind:     by_value
      - .offset:         212
        .size:           4
        .value_kind:     by_value
      - .offset:         216
        .size:           4
        .value_kind:     by_value
      - .offset:         220
        .size:           4
        .value_kind:     by_value
      - .offset:         224
        .size:           4
        .value_kind:     by_value
      - .offset:         228
        .size:           4
        .value_kind:     by_value
      - .offset:         232
        .size:           4
        .value_kind:     by_value
      - .offset:         236
        .size:           4
        .value_kind:     by_value
      - .offset:         240
        .size:           4
        .value_kind:     by_value
      - .offset:         244
        .size:           4
        .value_kind:     by_value
      - .offset:         248
        .size:           4
        .value_kind:     by_value
      - .offset:         252
        .size:           4
        .value_kind:     by_value
      - .offset:         256
        .size:           4
        .value_kind:     by_value
      - .offset:         260
        .size:           4
        .value_kind:     by_value
      - .offset:         264
        .size:           4
        .value_kind:     by_value
      - .offset:         268
        .size:           4
        .value_kind:     by_value
      - .offset:         272
        .size:           4
        .value_kind:     hidden_block_count_x
      - .offset:         276
        .size:           4
        .value_kind:     hidden_block_count_y
      - .offset:         280
        .size:           4
        .value_kind:     hidden_block_count_z
      - .offset:         284
        .size:           2
        .value_kind:     hidden_group_size_x
      - .offset:         286
        .size:           2
        .value_kind:     hidden_group_size_y
      - .offset:         288
        .size:           2
        .value_kind:     hidden_group_size_z
      - .offset:         290
        .size:           2
        .value_kind:     hidden_remainder_x
      - .offset:         292
        .size:           2
        .value_kind:     hidden_remainder_y
      - .offset:         294
        .size:           2
        .value_kind:     hidden_remainder_z
      - .offset:         312
        .size:           8
        .value_kind:     hidden_global_offset_x
      - .offset:         320
        .size:           8
        .value_kind:     hidden_global_offset_y
      - .offset:         328
        .size:           8
        .value_kind:     hidden_global_offset_z
      - .offset:         336
        .size:           2
        .value_kind:     hidden_grid_dims
    .group_segment_fixed_size: 0
    .kernarg_segment_align: 8
    .kernarg_segment_size: 528
    .language:       OpenCL C
    .language_version:
      - 2
      - 0
    .max_flat_workgroup_size: 1024
    .name:           naive_conv_ab_nonpacked_wrw_ncdhw_float_double_float_0
    .private_segment_fixed_size: 0
    .sgpr_count:     94
    .sgpr_spill_count: 0
    .symbol:         naive_conv_ab_nonpacked_wrw_ncdhw_float_double_float_0.kd
    .uniform_work_group_size: 1
    .uses_dynamic_stack: false
    .vgpr_count:     24
    .vgpr_spill_count: 0
    .wavefront_size: 32
    .workgroup_processor_mode: 1
  - .args:
      - .actual_access:  read_only
        .address_space:  global
        .offset:         0
        .size:           8
        .value_kind:     global_buffer
      - .address_space:  global
        .offset:         8
        .size:           8
        .value_kind:     global_buffer
      - .offset:         16
        .size:           8
        .value_kind:     by_value
      - .offset:         24
        .size:           8
        .value_kind:     by_value
      - .actual_access:  read_only
        .address_space:  global
        .offset:         32
        .size:           8
        .value_kind:     global_buffer
      - .offset:         40
        .size:           48
        .value_kind:     by_value
      - .offset:         88
        .size:           48
        .value_kind:     by_value
      - .offset:         136
        .size:           48
        .value_kind:     by_value
      - .offset:         184
        .size:           4
        .value_kind:     by_value
      - .offset:         188
        .size:           4
        .value_kind:     by_value
      - .offset:         192
        .size:           4
        .value_kind:     by_value
      - .offset:         196
        .size:           4
        .value_kind:     by_value
      - .offset:         200
        .size:           4
        .value_kind:     by_value
      - .offset:         204
        .size:           4
        .value_kind:     by_value
      - .offset:         208
        .size:           4
        .value_kind:     by_value
      - .offset:         212
        .size:           4
        .value_kind:     by_value
      - .offset:         216
        .size:           4
        .value_kind:     by_value
      - .offset:         220
        .size:           4
        .value_kind:     by_value
      - .offset:         224
        .size:           4
        .value_kind:     by_value
      - .offset:         228
        .size:           4
        .value_kind:     by_value
      - .offset:         232
        .size:           4
        .value_kind:     by_value
      - .offset:         236
        .size:           4
        .value_kind:     by_value
      - .offset:         240
        .size:           4
        .value_kind:     by_value
      - .offset:         244
        .size:           4
        .value_kind:     by_value
      - .offset:         248
        .size:           4
        .value_kind:     by_value
      - .offset:         252
        .size:           4
        .value_kind:     by_value
      - .offset:         256
        .size:           4
        .value_kind:     by_value
      - .offset:         260
        .size:           4
        .value_kind:     by_value
      - .offset:         264
        .size:           4
        .value_kind:     by_value
      - .offset:         268
        .size:           4
        .value_kind:     by_value
      - .offset:         272
        .size:           4
        .value_kind:     hidden_block_count_x
      - .offset:         276
        .size:           4
        .value_kind:     hidden_block_count_y
      - .offset:         280
        .size:           4
        .value_kind:     hidden_block_count_z
      - .offset:         284
        .size:           2
        .value_kind:     hidden_group_size_x
      - .offset:         286
        .size:           2
        .value_kind:     hidden_group_size_y
      - .offset:         288
        .size:           2
        .value_kind:     hidden_group_size_z
      - .offset:         290
        .size:           2
        .value_kind:     hidden_remainder_x
      - .offset:         292
        .size:           2
        .value_kind:     hidden_remainder_y
      - .offset:         294
        .size:           2
        .value_kind:     hidden_remainder_z
      - .offset:         312
        .size:           8
        .value_kind:     hidden_global_offset_x
      - .offset:         320
        .size:           8
        .value_kind:     hidden_global_offset_y
      - .offset:         328
        .size:           8
        .value_kind:     hidden_global_offset_z
      - .offset:         336
        .size:           2
        .value_kind:     hidden_grid_dims
    .group_segment_fixed_size: 0
    .kernarg_segment_align: 8
    .kernarg_segment_size: 528
    .language:       OpenCL C
    .language_version:
      - 2
      - 0
    .max_flat_workgroup_size: 1024
    .name:           naive_conv_ab_packed_wrw_ncdhw_float_double_float_1
    .private_segment_fixed_size: 0
    .sgpr_count:     82
    .sgpr_spill_count: 0
    .symbol:         naive_conv_ab_packed_wrw_ncdhw_float_double_float_1.kd
    .uniform_work_group_size: 1
    .uses_dynamic_stack: false
    .vgpr_count:     23
    .vgpr_spill_count: 0
    .wavefront_size: 32
    .workgroup_processor_mode: 1
  - .args:
      - .actual_access:  read_only
        .address_space:  global
        .offset:         0
        .size:           8
        .value_kind:     global_buffer
      - .address_space:  global
        .offset:         8
        .size:           8
        .value_kind:     global_buffer
      - .offset:         16
        .size:           8
        .value_kind:     by_value
      - .offset:         24
        .size:           8
        .value_kind:     by_value
      - .actual_access:  read_only
        .address_space:  global
        .offset:         32
        .size:           8
        .value_kind:     global_buffer
      - .offset:         40
        .size:           48
        .value_kind:     by_value
      - .offset:         88
        .size:           48
        .value_kind:     by_value
      - .offset:         136
        .size:           48
        .value_kind:     by_value
      - .offset:         184
        .size:           4
        .value_kind:     by_value
      - .offset:         188
        .size:           4
        .value_kind:     by_value
      - .offset:         192
        .size:           4
        .value_kind:     by_value
      - .offset:         196
        .size:           4
        .value_kind:     by_value
      - .offset:         200
        .size:           4
        .value_kind:     by_value
      - .offset:         204
        .size:           4
        .value_kind:     by_value
      - .offset:         208
        .size:           4
        .value_kind:     by_value
      - .offset:         212
        .size:           4
        .value_kind:     by_value
      - .offset:         216
        .size:           4
        .value_kind:     by_value
      - .offset:         220
        .size:           4
        .value_kind:     by_value
      - .offset:         224
        .size:           4
        .value_kind:     by_value
      - .offset:         228
        .size:           4
        .value_kind:     by_value
      - .offset:         232
        .size:           4
        .value_kind:     by_value
      - .offset:         236
        .size:           4
        .value_kind:     by_value
      - .offset:         240
        .size:           4
        .value_kind:     by_value
      - .offset:         244
        .size:           4
        .value_kind:     by_value
      - .offset:         248
        .size:           4
        .value_kind:     by_value
      - .offset:         252
        .size:           4
        .value_kind:     by_value
      - .offset:         256
        .size:           4
        .value_kind:     by_value
      - .offset:         260
        .size:           4
        .value_kind:     by_value
      - .offset:         264
        .size:           4
        .value_kind:     by_value
      - .offset:         268
        .size:           4
        .value_kind:     by_value
      - .offset:         272
        .size:           4
        .value_kind:     hidden_block_count_x
      - .offset:         276
        .size:           4
        .value_kind:     hidden_block_count_y
      - .offset:         280
        .size:           4
        .value_kind:     hidden_block_count_z
      - .offset:         284
        .size:           2
        .value_kind:     hidden_group_size_x
      - .offset:         286
        .size:           2
        .value_kind:     hidden_group_size_y
      - .offset:         288
        .size:           2
        .value_kind:     hidden_group_size_z
      - .offset:         290
        .size:           2
        .value_kind:     hidden_remainder_x
      - .offset:         292
        .size:           2
        .value_kind:     hidden_remainder_y
      - .offset:         294
        .size:           2
        .value_kind:     hidden_remainder_z
      - .offset:         312
        .size:           8
        .value_kind:     hidden_global_offset_x
      - .offset:         320
        .size:           8
        .value_kind:     hidden_global_offset_y
      - .offset:         328
        .size:           8
        .value_kind:     hidden_global_offset_z
      - .offset:         336
        .size:           2
        .value_kind:     hidden_grid_dims
    .group_segment_fixed_size: 0
    .kernarg_segment_align: 8
    .kernarg_segment_size: 528
    .language:       OpenCL C
    .language_version:
      - 2
      - 0
    .max_flat_workgroup_size: 1024
    .name:           naive_conv_ab_nonpacked_wrw_ncdhw_float_double_float_1
    .private_segment_fixed_size: 0
    .sgpr_count:     94
    .sgpr_spill_count: 0
    .symbol:         naive_conv_ab_nonpacked_wrw_ncdhw_float_double_float_1.kd
    .uniform_work_group_size: 1
    .uses_dynamic_stack: false
    .vgpr_count:     24
    .vgpr_spill_count: 0
    .wavefront_size: 32
    .workgroup_processor_mode: 1
  - .args:
      - .actual_access:  read_only
        .address_space:  global
        .offset:         0
        .size:           8
        .value_kind:     global_buffer
      - .address_space:  global
        .offset:         8
        .size:           8
        .value_kind:     global_buffer
      - .offset:         16
        .size:           8
        .value_kind:     by_value
      - .offset:         24
        .size:           8
        .value_kind:     by_value
      - .actual_access:  read_only
        .address_space:  global
        .offset:         32
        .size:           8
        .value_kind:     global_buffer
      - .offset:         40
        .size:           48
        .value_kind:     by_value
      - .offset:         88
        .size:           48
        .value_kind:     by_value
      - .offset:         136
        .size:           48
        .value_kind:     by_value
      - .offset:         184
        .size:           4
        .value_kind:     by_value
      - .offset:         188
        .size:           4
        .value_kind:     by_value
      - .offset:         192
        .size:           4
        .value_kind:     by_value
      - .offset:         196
        .size:           4
        .value_kind:     by_value
      - .offset:         200
        .size:           4
        .value_kind:     by_value
      - .offset:         204
        .size:           4
        .value_kind:     by_value
      - .offset:         208
        .size:           4
        .value_kind:     by_value
      - .offset:         212
        .size:           4
        .value_kind:     by_value
      - .offset:         216
        .size:           4
        .value_kind:     by_value
      - .offset:         220
        .size:           4
        .value_kind:     by_value
      - .offset:         224
        .size:           4
        .value_kind:     by_value
      - .offset:         228
        .size:           4
        .value_kind:     by_value
      - .offset:         232
        .size:           4
        .value_kind:     by_value
      - .offset:         236
        .size:           4
        .value_kind:     by_value
      - .offset:         240
        .size:           4
        .value_kind:     by_value
      - .offset:         244
        .size:           4
        .value_kind:     by_value
      - .offset:         248
        .size:           4
        .value_kind:     by_value
      - .offset:         252
        .size:           4
        .value_kind:     by_value
      - .offset:         256
        .size:           4
        .value_kind:     by_value
      - .offset:         260
        .size:           4
        .value_kind:     by_value
      - .offset:         264
        .size:           4
        .value_kind:     by_value
      - .offset:         268
        .size:           4
        .value_kind:     by_value
      - .offset:         272
        .size:           4
        .value_kind:     hidden_block_count_x
      - .offset:         276
        .size:           4
        .value_kind:     hidden_block_count_y
      - .offset:         280
        .size:           4
        .value_kind:     hidden_block_count_z
      - .offset:         284
        .size:           2
        .value_kind:     hidden_group_size_x
      - .offset:         286
        .size:           2
        .value_kind:     hidden_group_size_y
      - .offset:         288
        .size:           2
        .value_kind:     hidden_group_size_z
      - .offset:         290
        .size:           2
        .value_kind:     hidden_remainder_x
      - .offset:         292
        .size:           2
        .value_kind:     hidden_remainder_y
      - .offset:         294
        .size:           2
        .value_kind:     hidden_remainder_z
      - .offset:         312
        .size:           8
        .value_kind:     hidden_global_offset_x
      - .offset:         320
        .size:           8
        .value_kind:     hidden_global_offset_y
      - .offset:         328
        .size:           8
        .value_kind:     hidden_global_offset_z
      - .offset:         336
        .size:           2
        .value_kind:     hidden_grid_dims
    .group_segment_fixed_size: 0
    .kernarg_segment_align: 8
    .kernarg_segment_size: 528
    .language:       OpenCL C
    .language_version:
      - 2
      - 0
    .max_flat_workgroup_size: 1024
    .name:           naive_conv_ab_packed_wrw_ncdhw_half_double_half_0
    .private_segment_fixed_size: 0
    .sgpr_count:     82
    .sgpr_spill_count: 0
    .symbol:         naive_conv_ab_packed_wrw_ncdhw_half_double_half_0.kd
    .uniform_work_group_size: 1
    .uses_dynamic_stack: false
    .vgpr_count:     24
    .vgpr_spill_count: 0
    .wavefront_size: 32
    .workgroup_processor_mode: 1
  - .args:
      - .actual_access:  read_only
        .address_space:  global
        .offset:         0
        .size:           8
        .value_kind:     global_buffer
      - .address_space:  global
        .offset:         8
        .size:           8
        .value_kind:     global_buffer
      - .offset:         16
        .size:           8
        .value_kind:     by_value
      - .offset:         24
        .size:           8
        .value_kind:     by_value
      - .actual_access:  read_only
        .address_space:  global
        .offset:         32
        .size:           8
        .value_kind:     global_buffer
      - .offset:         40
        .size:           48
        .value_kind:     by_value
      - .offset:         88
        .size:           48
        .value_kind:     by_value
      - .offset:         136
        .size:           48
        .value_kind:     by_value
      - .offset:         184
        .size:           4
        .value_kind:     by_value
      - .offset:         188
        .size:           4
        .value_kind:     by_value
      - .offset:         192
        .size:           4
        .value_kind:     by_value
      - .offset:         196
        .size:           4
        .value_kind:     by_value
      - .offset:         200
        .size:           4
        .value_kind:     by_value
      - .offset:         204
        .size:           4
        .value_kind:     by_value
      - .offset:         208
        .size:           4
        .value_kind:     by_value
      - .offset:         212
        .size:           4
        .value_kind:     by_value
      - .offset:         216
        .size:           4
        .value_kind:     by_value
      - .offset:         220
        .size:           4
        .value_kind:     by_value
      - .offset:         224
        .size:           4
        .value_kind:     by_value
      - .offset:         228
        .size:           4
        .value_kind:     by_value
      - .offset:         232
        .size:           4
        .value_kind:     by_value
      - .offset:         236
        .size:           4
        .value_kind:     by_value
      - .offset:         240
        .size:           4
        .value_kind:     by_value
      - .offset:         244
        .size:           4
        .value_kind:     by_value
      - .offset:         248
        .size:           4
        .value_kind:     by_value
      - .offset:         252
        .size:           4
        .value_kind:     by_value
      - .offset:         256
        .size:           4
        .value_kind:     by_value
      - .offset:         260
        .size:           4
        .value_kind:     by_value
      - .offset:         264
        .size:           4
        .value_kind:     by_value
      - .offset:         268
        .size:           4
        .value_kind:     by_value
      - .offset:         272
        .size:           4
        .value_kind:     hidden_block_count_x
      - .offset:         276
        .size:           4
        .value_kind:     hidden_block_count_y
      - .offset:         280
        .size:           4
        .value_kind:     hidden_block_count_z
      - .offset:         284
        .size:           2
        .value_kind:     hidden_group_size_x
      - .offset:         286
        .size:           2
        .value_kind:     hidden_group_size_y
      - .offset:         288
        .size:           2
        .value_kind:     hidden_group_size_z
      - .offset:         290
        .size:           2
        .value_kind:     hidden_remainder_x
      - .offset:         292
        .size:           2
        .value_kind:     hidden_remainder_y
      - .offset:         294
        .size:           2
        .value_kind:     hidden_remainder_z
      - .offset:         312
        .size:           8
        .value_kind:     hidden_global_offset_x
      - .offset:         320
        .size:           8
        .value_kind:     hidden_global_offset_y
      - .offset:         328
        .size:           8
        .value_kind:     hidden_global_offset_z
      - .offset:         336
        .size:           2
        .value_kind:     hidden_grid_dims
    .group_segment_fixed_size: 0
    .kernarg_segment_align: 8
    .kernarg_segment_size: 528
    .language:       OpenCL C
    .language_version:
      - 2
      - 0
    .max_flat_workgroup_size: 1024
    .name:           naive_conv_ab_nonpacked_wrw_ncdhw_half_double_half_0
    .private_segment_fixed_size: 0
    .sgpr_count:     94
    .sgpr_spill_count: 0
    .symbol:         naive_conv_ab_nonpacked_wrw_ncdhw_half_double_half_0.kd
    .uniform_work_group_size: 1
    .uses_dynamic_stack: false
    .vgpr_count:     26
    .vgpr_spill_count: 0
    .wavefront_size: 32
    .workgroup_processor_mode: 1
  - .args:
      - .actual_access:  read_only
        .address_space:  global
        .offset:         0
        .size:           8
        .value_kind:     global_buffer
      - .address_space:  global
        .offset:         8
        .size:           8
        .value_kind:     global_buffer
      - .offset:         16
        .size:           8
        .value_kind:     by_value
      - .offset:         24
        .size:           8
        .value_kind:     by_value
      - .actual_access:  read_only
        .address_space:  global
        .offset:         32
        .size:           8
        .value_kind:     global_buffer
      - .offset:         40
        .size:           48
        .value_kind:     by_value
      - .offset:         88
        .size:           48
        .value_kind:     by_value
      - .offset:         136
        .size:           48
        .value_kind:     by_value
      - .offset:         184
        .size:           4
        .value_kind:     by_value
      - .offset:         188
        .size:           4
        .value_kind:     by_value
      - .offset:         192
        .size:           4
        .value_kind:     by_value
      - .offset:         196
        .size:           4
        .value_kind:     by_value
      - .offset:         200
        .size:           4
        .value_kind:     by_value
      - .offset:         204
        .size:           4
        .value_kind:     by_value
      - .offset:         208
        .size:           4
        .value_kind:     by_value
      - .offset:         212
        .size:           4
        .value_kind:     by_value
      - .offset:         216
        .size:           4
        .value_kind:     by_value
      - .offset:         220
        .size:           4
        .value_kind:     by_value
      - .offset:         224
        .size:           4
        .value_kind:     by_value
      - .offset:         228
        .size:           4
        .value_kind:     by_value
      - .offset:         232
        .size:           4
        .value_kind:     by_value
      - .offset:         236
        .size:           4
        .value_kind:     by_value
      - .offset:         240
        .size:           4
        .value_kind:     by_value
      - .offset:         244
        .size:           4
        .value_kind:     by_value
      - .offset:         248
        .size:           4
        .value_kind:     by_value
      - .offset:         252
        .size:           4
        .value_kind:     by_value
      - .offset:         256
        .size:           4
        .value_kind:     by_value
      - .offset:         260
        .size:           4
        .value_kind:     by_value
      - .offset:         264
        .size:           4
        .value_kind:     by_value
      - .offset:         268
        .size:           4
        .value_kind:     by_value
      - .offset:         272
        .size:           4
        .value_kind:     hidden_block_count_x
      - .offset:         276
        .size:           4
        .value_kind:     hidden_block_count_y
      - .offset:         280
        .size:           4
        .value_kind:     hidden_block_count_z
      - .offset:         284
        .size:           2
        .value_kind:     hidden_group_size_x
      - .offset:         286
        .size:           2
        .value_kind:     hidden_group_size_y
      - .offset:         288
        .size:           2
        .value_kind:     hidden_group_size_z
      - .offset:         290
        .size:           2
        .value_kind:     hidden_remainder_x
      - .offset:         292
        .size:           2
        .value_kind:     hidden_remainder_y
      - .offset:         294
        .size:           2
        .value_kind:     hidden_remainder_z
      - .offset:         312
        .size:           8
        .value_kind:     hidden_global_offset_x
      - .offset:         320
        .size:           8
        .value_kind:     hidden_global_offset_y
      - .offset:         328
        .size:           8
        .value_kind:     hidden_global_offset_z
      - .offset:         336
        .size:           2
        .value_kind:     hidden_grid_dims
    .group_segment_fixed_size: 0
    .kernarg_segment_align: 8
    .kernarg_segment_size: 528
    .language:       OpenCL C
    .language_version:
      - 2
      - 0
    .max_flat_workgroup_size: 1024
    .name:           naive_conv_ab_packed_wrw_ncdhw_ushort_double_ushort_0
    .private_segment_fixed_size: 0
    .sgpr_count:     82
    .sgpr_spill_count: 0
    .symbol:         naive_conv_ab_packed_wrw_ncdhw_ushort_double_ushort_0.kd
    .uniform_work_group_size: 1
    .uses_dynamic_stack: false
    .vgpr_count:     23
    .vgpr_spill_count: 0
    .wavefront_size: 32
    .workgroup_processor_mode: 1
  - .args:
      - .actual_access:  read_only
        .address_space:  global
        .offset:         0
        .size:           8
        .value_kind:     global_buffer
      - .address_space:  global
        .offset:         8
        .size:           8
        .value_kind:     global_buffer
      - .offset:         16
        .size:           8
        .value_kind:     by_value
      - .offset:         24
        .size:           8
        .value_kind:     by_value
      - .actual_access:  read_only
        .address_space:  global
        .offset:         32
        .size:           8
        .value_kind:     global_buffer
      - .offset:         40
        .size:           48
        .value_kind:     by_value
      - .offset:         88
        .size:           48
        .value_kind:     by_value
      - .offset:         136
        .size:           48
        .value_kind:     by_value
      - .offset:         184
        .size:           4
        .value_kind:     by_value
      - .offset:         188
        .size:           4
        .value_kind:     by_value
      - .offset:         192
        .size:           4
        .value_kind:     by_value
      - .offset:         196
        .size:           4
        .value_kind:     by_value
      - .offset:         200
        .size:           4
        .value_kind:     by_value
      - .offset:         204
        .size:           4
        .value_kind:     by_value
      - .offset:         208
        .size:           4
        .value_kind:     by_value
      - .offset:         212
        .size:           4
        .value_kind:     by_value
      - .offset:         216
        .size:           4
        .value_kind:     by_value
      - .offset:         220
        .size:           4
        .value_kind:     by_value
      - .offset:         224
        .size:           4
        .value_kind:     by_value
      - .offset:         228
        .size:           4
        .value_kind:     by_value
      - .offset:         232
        .size:           4
        .value_kind:     by_value
      - .offset:         236
        .size:           4
        .value_kind:     by_value
      - .offset:         240
        .size:           4
        .value_kind:     by_value
      - .offset:         244
        .size:           4
        .value_kind:     by_value
      - .offset:         248
        .size:           4
        .value_kind:     by_value
      - .offset:         252
        .size:           4
        .value_kind:     by_value
      - .offset:         256
        .size:           4
        .value_kind:     by_value
      - .offset:         260
        .size:           4
        .value_kind:     by_value
      - .offset:         264
        .size:           4
        .value_kind:     by_value
      - .offset:         268
        .size:           4
        .value_kind:     by_value
      - .offset:         272
        .size:           4
        .value_kind:     hidden_block_count_x
      - .offset:         276
        .size:           4
        .value_kind:     hidden_block_count_y
      - .offset:         280
        .size:           4
        .value_kind:     hidden_block_count_z
      - .offset:         284
        .size:           2
        .value_kind:     hidden_group_size_x
      - .offset:         286
        .size:           2
        .value_kind:     hidden_group_size_y
      - .offset:         288
        .size:           2
        .value_kind:     hidden_group_size_z
      - .offset:         290
        .size:           2
        .value_kind:     hidden_remainder_x
      - .offset:         292
        .size:           2
        .value_kind:     hidden_remainder_y
      - .offset:         294
        .size:           2
        .value_kind:     hidden_remainder_z
      - .offset:         312
        .size:           8
        .value_kind:     hidden_global_offset_x
      - .offset:         320
        .size:           8
        .value_kind:     hidden_global_offset_y
      - .offset:         328
        .size:           8
        .value_kind:     hidden_global_offset_z
      - .offset:         336
        .size:           2
        .value_kind:     hidden_grid_dims
    .group_segment_fixed_size: 0
    .kernarg_segment_align: 8
    .kernarg_segment_size: 528
    .language:       OpenCL C
    .language_version:
      - 2
      - 0
    .max_flat_workgroup_size: 1024
    .name:           naive_conv_ab_nonpacked_wrw_ncdhw_ushort_double_ushort_0
    .private_segment_fixed_size: 0
    .sgpr_count:     94
    .sgpr_spill_count: 0
    .symbol:         naive_conv_ab_nonpacked_wrw_ncdhw_ushort_double_ushort_0.kd
    .uniform_work_group_size: 1
    .uses_dynamic_stack: false
    .vgpr_count:     24
    .vgpr_spill_count: 0
    .wavefront_size: 32
    .workgroup_processor_mode: 1
  - .args:
      - .actual_access:  read_only
        .address_space:  global
        .offset:         0
        .size:           8
        .value_kind:     global_buffer
      - .address_space:  global
        .offset:         8
        .size:           8
        .value_kind:     global_buffer
      - .offset:         16
        .size:           8
        .value_kind:     by_value
      - .offset:         24
        .size:           8
        .value_kind:     by_value
      - .actual_access:  read_only
        .address_space:  global
        .offset:         32
        .size:           8
        .value_kind:     global_buffer
      - .offset:         40
        .size:           48
        .value_kind:     by_value
      - .offset:         88
        .size:           48
        .value_kind:     by_value
      - .offset:         136
        .size:           48
        .value_kind:     by_value
      - .offset:         184
        .size:           4
        .value_kind:     by_value
      - .offset:         188
        .size:           4
        .value_kind:     by_value
      - .offset:         192
        .size:           4
        .value_kind:     by_value
      - .offset:         196
        .size:           4
        .value_kind:     by_value
      - .offset:         200
        .size:           4
        .value_kind:     by_value
      - .offset:         204
        .size:           4
        .value_kind:     by_value
      - .offset:         208
        .size:           4
        .value_kind:     by_value
      - .offset:         212
        .size:           4
        .value_kind:     by_value
      - .offset:         216
        .size:           4
        .value_kind:     by_value
      - .offset:         220
        .size:           4
        .value_kind:     by_value
      - .offset:         224
        .size:           4
        .value_kind:     by_value
      - .offset:         228
        .size:           4
        .value_kind:     by_value
      - .offset:         232
        .size:           4
        .value_kind:     by_value
      - .offset:         236
        .size:           4
        .value_kind:     by_value
      - .offset:         240
        .size:           4
        .value_kind:     by_value
      - .offset:         244
        .size:           4
        .value_kind:     by_value
      - .offset:         248
        .size:           4
        .value_kind:     by_value
      - .offset:         252
        .size:           4
        .value_kind:     by_value
      - .offset:         256
        .size:           4
        .value_kind:     by_value
      - .offset:         260
        .size:           4
        .value_kind:     by_value
      - .offset:         264
        .size:           4
        .value_kind:     by_value
      - .offset:         268
        .size:           4
        .value_kind:     by_value
      - .offset:         272
        .size:           4
        .value_kind:     hidden_block_count_x
      - .offset:         276
        .size:           4
        .value_kind:     hidden_block_count_y
      - .offset:         280
        .size:           4
        .value_kind:     hidden_block_count_z
      - .offset:         284
        .size:           2
        .value_kind:     hidden_group_size_x
      - .offset:         286
        .size:           2
        .value_kind:     hidden_group_size_y
      - .offset:         288
        .size:           2
        .value_kind:     hidden_group_size_z
      - .offset:         290
        .size:           2
        .value_kind:     hidden_remainder_x
      - .offset:         292
        .size:           2
        .value_kind:     hidden_remainder_y
      - .offset:         294
        .size:           2
        .value_kind:     hidden_remainder_z
      - .offset:         312
        .size:           8
        .value_kind:     hidden_global_offset_x
      - .offset:         320
        .size:           8
        .value_kind:     hidden_global_offset_y
      - .offset:         328
        .size:           8
        .value_kind:     hidden_global_offset_z
      - .offset:         336
        .size:           2
        .value_kind:     hidden_grid_dims
    .group_segment_fixed_size: 0
    .kernarg_segment_align: 8
    .kernarg_segment_size: 528
    .language:       OpenCL C
    .language_version:
      - 2
      - 0
    .max_flat_workgroup_size: 1024
    .name:           naive_conv_ab_packed_wrw_ndhwc_float_double_float_0
    .private_segment_fixed_size: 0
    .sgpr_count:     89
    .sgpr_spill_count: 0
    .symbol:         naive_conv_ab_packed_wrw_ndhwc_float_double_float_0.kd
    .uniform_work_group_size: 1
    .uses_dynamic_stack: false
    .vgpr_count:     22
    .vgpr_spill_count: 0
    .wavefront_size: 32
    .workgroup_processor_mode: 1
  - .args:
      - .actual_access:  read_only
        .address_space:  global
        .offset:         0
        .size:           8
        .value_kind:     global_buffer
      - .address_space:  global
        .offset:         8
        .size:           8
        .value_kind:     global_buffer
      - .offset:         16
        .size:           8
        .value_kind:     by_value
      - .offset:         24
        .size:           8
        .value_kind:     by_value
      - .actual_access:  read_only
        .address_space:  global
        .offset:         32
        .size:           8
        .value_kind:     global_buffer
      - .offset:         40
        .size:           48
        .value_kind:     by_value
      - .offset:         88
        .size:           48
        .value_kind:     by_value
      - .offset:         136
        .size:           48
        .value_kind:     by_value
      - .offset:         184
        .size:           4
        .value_kind:     by_value
      - .offset:         188
        .size:           4
        .value_kind:     by_value
      - .offset:         192
        .size:           4
        .value_kind:     by_value
      - .offset:         196
        .size:           4
        .value_kind:     by_value
      - .offset:         200
        .size:           4
        .value_kind:     by_value
      - .offset:         204
        .size:           4
        .value_kind:     by_value
      - .offset:         208
        .size:           4
        .value_kind:     by_value
      - .offset:         212
        .size:           4
        .value_kind:     by_value
      - .offset:         216
        .size:           4
        .value_kind:     by_value
      - .offset:         220
        .size:           4
        .value_kind:     by_value
      - .offset:         224
        .size:           4
        .value_kind:     by_value
      - .offset:         228
        .size:           4
        .value_kind:     by_value
      - .offset:         232
        .size:           4
        .value_kind:     by_value
      - .offset:         236
        .size:           4
        .value_kind:     by_value
      - .offset:         240
        .size:           4
        .value_kind:     by_value
      - .offset:         244
        .size:           4
        .value_kind:     by_value
      - .offset:         248
        .size:           4
        .value_kind:     by_value
      - .offset:         252
        .size:           4
        .value_kind:     by_value
      - .offset:         256
        .size:           4
        .value_kind:     by_value
      - .offset:         260
        .size:           4
        .value_kind:     by_value
      - .offset:         264
        .size:           4
        .value_kind:     by_value
      - .offset:         268
        .size:           4
        .value_kind:     by_value
      - .offset:         272
        .size:           4
        .value_kind:     hidden_block_count_x
      - .offset:         276
        .size:           4
        .value_kind:     hidden_block_count_y
      - .offset:         280
        .size:           4
        .value_kind:     hidden_block_count_z
      - .offset:         284
        .size:           2
        .value_kind:     hidden_group_size_x
      - .offset:         286
        .size:           2
        .value_kind:     hidden_group_size_y
      - .offset:         288
        .size:           2
        .value_kind:     hidden_group_size_z
      - .offset:         290
        .size:           2
        .value_kind:     hidden_remainder_x
      - .offset:         292
        .size:           2
        .value_kind:     hidden_remainder_y
      - .offset:         294
        .size:           2
        .value_kind:     hidden_remainder_z
      - .offset:         312
        .size:           8
        .value_kind:     hidden_global_offset_x
      - .offset:         320
        .size:           8
        .value_kind:     hidden_global_offset_y
      - .offset:         328
        .size:           8
        .value_kind:     hidden_global_offset_z
      - .offset:         336
        .size:           2
        .value_kind:     hidden_grid_dims
    .group_segment_fixed_size: 0
    .kernarg_segment_align: 8
    .kernarg_segment_size: 528
    .language:       OpenCL C
    .language_version:
      - 2
      - 0
    .max_flat_workgroup_size: 1024
    .name:           naive_conv_ab_nonpacked_wrw_ndhwc_float_double_float_0
    .private_segment_fixed_size: 0
    .sgpr_count:     94
    .sgpr_spill_count: 0
    .symbol:         naive_conv_ab_nonpacked_wrw_ndhwc_float_double_float_0.kd
    .uniform_work_group_size: 1
    .uses_dynamic_stack: false
    .vgpr_count:     24
    .vgpr_spill_count: 0
    .wavefront_size: 32
    .workgroup_processor_mode: 1
  - .args:
      - .actual_access:  read_only
        .address_space:  global
        .offset:         0
        .size:           8
        .value_kind:     global_buffer
      - .address_space:  global
        .offset:         8
        .size:           8
        .value_kind:     global_buffer
      - .offset:         16
        .size:           8
        .value_kind:     by_value
      - .offset:         24
        .size:           8
        .value_kind:     by_value
      - .actual_access:  read_only
        .address_space:  global
        .offset:         32
        .size:           8
        .value_kind:     global_buffer
      - .offset:         40
        .size:           48
        .value_kind:     by_value
      - .offset:         88
        .size:           48
        .value_kind:     by_value
      - .offset:         136
        .size:           48
        .value_kind:     by_value
      - .offset:         184
        .size:           4
        .value_kind:     by_value
      - .offset:         188
        .size:           4
        .value_kind:     by_value
      - .offset:         192
        .size:           4
        .value_kind:     by_value
      - .offset:         196
        .size:           4
        .value_kind:     by_value
      - .offset:         200
        .size:           4
        .value_kind:     by_value
      - .offset:         204
        .size:           4
        .value_kind:     by_value
      - .offset:         208
        .size:           4
        .value_kind:     by_value
      - .offset:         212
        .size:           4
        .value_kind:     by_value
      - .offset:         216
        .size:           4
        .value_kind:     by_value
      - .offset:         220
        .size:           4
        .value_kind:     by_value
      - .offset:         224
        .size:           4
        .value_kind:     by_value
      - .offset:         228
        .size:           4
        .value_kind:     by_value
      - .offset:         232
        .size:           4
        .value_kind:     by_value
      - .offset:         236
        .size:           4
        .value_kind:     by_value
      - .offset:         240
        .size:           4
        .value_kind:     by_value
      - .offset:         244
        .size:           4
        .value_kind:     by_value
      - .offset:         248
        .size:           4
        .value_kind:     by_value
      - .offset:         252
        .size:           4
        .value_kind:     by_value
      - .offset:         256
        .size:           4
        .value_kind:     by_value
      - .offset:         260
        .size:           4
        .value_kind:     by_value
      - .offset:         264
        .size:           4
        .value_kind:     by_value
      - .offset:         268
        .size:           4
        .value_kind:     by_value
      - .offset:         272
        .size:           4
        .value_kind:     hidden_block_count_x
      - .offset:         276
        .size:           4
        .value_kind:     hidden_block_count_y
      - .offset:         280
        .size:           4
        .value_kind:     hidden_block_count_z
      - .offset:         284
        .size:           2
        .value_kind:     hidden_group_size_x
      - .offset:         286
        .size:           2
        .value_kind:     hidden_group_size_y
      - .offset:         288
        .size:           2
        .value_kind:     hidden_group_size_z
      - .offset:         290
        .size:           2
        .value_kind:     hidden_remainder_x
      - .offset:         292
        .size:           2
        .value_kind:     hidden_remainder_y
      - .offset:         294
        .size:           2
        .value_kind:     hidden_remainder_z
      - .offset:         312
        .size:           8
        .value_kind:     hidden_global_offset_x
      - .offset:         320
        .size:           8
        .value_kind:     hidden_global_offset_y
      - .offset:         328
        .size:           8
        .value_kind:     hidden_global_offset_z
      - .offset:         336
        .size:           2
        .value_kind:     hidden_grid_dims
    .group_segment_fixed_size: 0
    .kernarg_segment_align: 8
    .kernarg_segment_size: 528
    .language:       OpenCL C
    .language_version:
      - 2
      - 0
    .max_flat_workgroup_size: 1024
    .name:           naive_conv_ab_packed_wrw_ndhwc_float_double_float_1
    .private_segment_fixed_size: 0
    .sgpr_count:     89
    .sgpr_spill_count: 0
    .symbol:         naive_conv_ab_packed_wrw_ndhwc_float_double_float_1.kd
    .uniform_work_group_size: 1
    .uses_dynamic_stack: false
    .vgpr_count:     22
    .vgpr_spill_count: 0
    .wavefront_size: 32
    .workgroup_processor_mode: 1
  - .args:
      - .actual_access:  read_only
        .address_space:  global
        .offset:         0
        .size:           8
        .value_kind:     global_buffer
      - .address_space:  global
        .offset:         8
        .size:           8
        .value_kind:     global_buffer
      - .offset:         16
        .size:           8
        .value_kind:     by_value
      - .offset:         24
        .size:           8
        .value_kind:     by_value
      - .actual_access:  read_only
        .address_space:  global
        .offset:         32
        .size:           8
        .value_kind:     global_buffer
      - .offset:         40
        .size:           48
        .value_kind:     by_value
      - .offset:         88
        .size:           48
        .value_kind:     by_value
      - .offset:         136
        .size:           48
        .value_kind:     by_value
      - .offset:         184
        .size:           4
        .value_kind:     by_value
      - .offset:         188
        .size:           4
        .value_kind:     by_value
      - .offset:         192
        .size:           4
        .value_kind:     by_value
      - .offset:         196
        .size:           4
        .value_kind:     by_value
      - .offset:         200
        .size:           4
        .value_kind:     by_value
      - .offset:         204
        .size:           4
        .value_kind:     by_value
      - .offset:         208
        .size:           4
        .value_kind:     by_value
      - .offset:         212
        .size:           4
        .value_kind:     by_value
      - .offset:         216
        .size:           4
        .value_kind:     by_value
      - .offset:         220
        .size:           4
        .value_kind:     by_value
      - .offset:         224
        .size:           4
        .value_kind:     by_value
      - .offset:         228
        .size:           4
        .value_kind:     by_value
      - .offset:         232
        .size:           4
        .value_kind:     by_value
      - .offset:         236
        .size:           4
        .value_kind:     by_value
      - .offset:         240
        .size:           4
        .value_kind:     by_value
      - .offset:         244
        .size:           4
        .value_kind:     by_value
      - .offset:         248
        .size:           4
        .value_kind:     by_value
      - .offset:         252
        .size:           4
        .value_kind:     by_value
      - .offset:         256
        .size:           4
        .value_kind:     by_value
      - .offset:         260
        .size:           4
        .value_kind:     by_value
      - .offset:         264
        .size:           4
        .value_kind:     by_value
      - .offset:         268
        .size:           4
        .value_kind:     by_value
      - .offset:         272
        .size:           4
        .value_kind:     hidden_block_count_x
      - .offset:         276
        .size:           4
        .value_kind:     hidden_block_count_y
      - .offset:         280
        .size:           4
        .value_kind:     hidden_block_count_z
      - .offset:         284
        .size:           2
        .value_kind:     hidden_group_size_x
      - .offset:         286
        .size:           2
        .value_kind:     hidden_group_size_y
      - .offset:         288
        .size:           2
        .value_kind:     hidden_group_size_z
      - .offset:         290
        .size:           2
        .value_kind:     hidden_remainder_x
      - .offset:         292
        .size:           2
        .value_kind:     hidden_remainder_y
      - .offset:         294
        .size:           2
        .value_kind:     hidden_remainder_z
      - .offset:         312
        .size:           8
        .value_kind:     hidden_global_offset_x
      - .offset:         320
        .size:           8
        .value_kind:     hidden_global_offset_y
      - .offset:         328
        .size:           8
        .value_kind:     hidden_global_offset_z
      - .offset:         336
        .size:           2
        .value_kind:     hidden_grid_dims
    .group_segment_fixed_size: 0
    .kernarg_segment_align: 8
    .kernarg_segment_size: 528
    .language:       OpenCL C
    .language_version:
      - 2
      - 0
    .max_flat_workgroup_size: 1024
    .name:           naive_conv_ab_nonpacked_wrw_ndhwc_float_double_float_1
    .private_segment_fixed_size: 0
    .sgpr_count:     94
    .sgpr_spill_count: 0
    .symbol:         naive_conv_ab_nonpacked_wrw_ndhwc_float_double_float_1.kd
    .uniform_work_group_size: 1
    .uses_dynamic_stack: false
    .vgpr_count:     24
    .vgpr_spill_count: 0
    .wavefront_size: 32
    .workgroup_processor_mode: 1
  - .args:
      - .actual_access:  read_only
        .address_space:  global
        .offset:         0
        .size:           8
        .value_kind:     global_buffer
      - .address_space:  global
        .offset:         8
        .size:           8
        .value_kind:     global_buffer
      - .offset:         16
        .size:           8
        .value_kind:     by_value
      - .offset:         24
        .size:           8
        .value_kind:     by_value
      - .actual_access:  read_only
        .address_space:  global
        .offset:         32
        .size:           8
        .value_kind:     global_buffer
      - .offset:         40
        .size:           48
        .value_kind:     by_value
      - .offset:         88
        .size:           48
        .value_kind:     by_value
      - .offset:         136
        .size:           48
        .value_kind:     by_value
      - .offset:         184
        .size:           4
        .value_kind:     by_value
      - .offset:         188
        .size:           4
        .value_kind:     by_value
      - .offset:         192
        .size:           4
        .value_kind:     by_value
      - .offset:         196
        .size:           4
        .value_kind:     by_value
      - .offset:         200
        .size:           4
        .value_kind:     by_value
      - .offset:         204
        .size:           4
        .value_kind:     by_value
      - .offset:         208
        .size:           4
        .value_kind:     by_value
      - .offset:         212
        .size:           4
        .value_kind:     by_value
      - .offset:         216
        .size:           4
        .value_kind:     by_value
      - .offset:         220
        .size:           4
        .value_kind:     by_value
      - .offset:         224
        .size:           4
        .value_kind:     by_value
      - .offset:         228
        .size:           4
        .value_kind:     by_value
      - .offset:         232
        .size:           4
        .value_kind:     by_value
      - .offset:         236
        .size:           4
        .value_kind:     by_value
      - .offset:         240
        .size:           4
        .value_kind:     by_value
      - .offset:         244
        .size:           4
        .value_kind:     by_value
      - .offset:         248
        .size:           4
        .value_kind:     by_value
      - .offset:         252
        .size:           4
        .value_kind:     by_value
      - .offset:         256
        .size:           4
        .value_kind:     by_value
      - .offset:         260
        .size:           4
        .value_kind:     by_value
      - .offset:         264
        .size:           4
        .value_kind:     by_value
      - .offset:         268
        .size:           4
        .value_kind:     by_value
      - .offset:         272
        .size:           4
        .value_kind:     hidden_block_count_x
      - .offset:         276
        .size:           4
        .value_kind:     hidden_block_count_y
      - .offset:         280
        .size:           4
        .value_kind:     hidden_block_count_z
      - .offset:         284
        .size:           2
        .value_kind:     hidden_group_size_x
      - .offset:         286
        .size:           2
        .value_kind:     hidden_group_size_y
      - .offset:         288
        .size:           2
        .value_kind:     hidden_group_size_z
      - .offset:         290
        .size:           2
        .value_kind:     hidden_remainder_x
      - .offset:         292
        .size:           2
        .value_kind:     hidden_remainder_y
      - .offset:         294
        .size:           2
        .value_kind:     hidden_remainder_z
      - .offset:         312
        .size:           8
        .value_kind:     hidden_global_offset_x
      - .offset:         320
        .size:           8
        .value_kind:     hidden_global_offset_y
      - .offset:         328
        .size:           8
        .value_kind:     hidden_global_offset_z
      - .offset:         336
        .size:           2
        .value_kind:     hidden_grid_dims
    .group_segment_fixed_size: 0
    .kernarg_segment_align: 8
    .kernarg_segment_size: 528
    .language:       OpenCL C
    .language_version:
      - 2
      - 0
    .max_flat_workgroup_size: 1024
    .name:           naive_conv_ab_packed_wrw_ndhwc_half_double_half_0
    .private_segment_fixed_size: 0
    .sgpr_count:     89
    .sgpr_spill_count: 0
    .symbol:         naive_conv_ab_packed_wrw_ndhwc_half_double_half_0.kd
    .uniform_work_group_size: 1
    .uses_dynamic_stack: false
    .vgpr_count:     24
    .vgpr_spill_count: 0
    .wavefront_size: 32
    .workgroup_processor_mode: 1
  - .args:
      - .actual_access:  read_only
        .address_space:  global
        .offset:         0
        .size:           8
        .value_kind:     global_buffer
      - .address_space:  global
        .offset:         8
        .size:           8
        .value_kind:     global_buffer
      - .offset:         16
        .size:           8
        .value_kind:     by_value
      - .offset:         24
        .size:           8
        .value_kind:     by_value
      - .actual_access:  read_only
        .address_space:  global
        .offset:         32
        .size:           8
        .value_kind:     global_buffer
      - .offset:         40
        .size:           48
        .value_kind:     by_value
      - .offset:         88
        .size:           48
        .value_kind:     by_value
      - .offset:         136
        .size:           48
        .value_kind:     by_value
      - .offset:         184
        .size:           4
        .value_kind:     by_value
      - .offset:         188
        .size:           4
        .value_kind:     by_value
      - .offset:         192
        .size:           4
        .value_kind:     by_value
      - .offset:         196
        .size:           4
        .value_kind:     by_value
      - .offset:         200
        .size:           4
        .value_kind:     by_value
      - .offset:         204
        .size:           4
        .value_kind:     by_value
      - .offset:         208
        .size:           4
        .value_kind:     by_value
      - .offset:         212
        .size:           4
        .value_kind:     by_value
      - .offset:         216
        .size:           4
        .value_kind:     by_value
      - .offset:         220
        .size:           4
        .value_kind:     by_value
      - .offset:         224
        .size:           4
        .value_kind:     by_value
      - .offset:         228
        .size:           4
        .value_kind:     by_value
      - .offset:         232
        .size:           4
        .value_kind:     by_value
      - .offset:         236
        .size:           4
        .value_kind:     by_value
      - .offset:         240
        .size:           4
        .value_kind:     by_value
      - .offset:         244
        .size:           4
        .value_kind:     by_value
      - .offset:         248
        .size:           4
        .value_kind:     by_value
      - .offset:         252
        .size:           4
        .value_kind:     by_value
      - .offset:         256
        .size:           4
        .value_kind:     by_value
      - .offset:         260
        .size:           4
        .value_kind:     by_value
      - .offset:         264
        .size:           4
        .value_kind:     by_value
      - .offset:         268
        .size:           4
        .value_kind:     by_value
      - .offset:         272
        .size:           4
        .value_kind:     hidden_block_count_x
      - .offset:         276
        .size:           4
        .value_kind:     hidden_block_count_y
      - .offset:         280
        .size:           4
        .value_kind:     hidden_block_count_z
      - .offset:         284
        .size:           2
        .value_kind:     hidden_group_size_x
      - .offset:         286
        .size:           2
        .value_kind:     hidden_group_size_y
      - .offset:         288
        .size:           2
        .value_kind:     hidden_group_size_z
      - .offset:         290
        .size:           2
        .value_kind:     hidden_remainder_x
      - .offset:         292
        .size:           2
        .value_kind:     hidden_remainder_y
      - .offset:         294
        .size:           2
        .value_kind:     hidden_remainder_z
      - .offset:         312
        .size:           8
        .value_kind:     hidden_global_offset_x
      - .offset:         320
        .size:           8
        .value_kind:     hidden_global_offset_y
      - .offset:         328
        .size:           8
        .value_kind:     hidden_global_offset_z
      - .offset:         336
        .size:           2
        .value_kind:     hidden_grid_dims
    .group_segment_fixed_size: 0
    .kernarg_segment_align: 8
    .kernarg_segment_size: 528
    .language:       OpenCL C
    .language_version:
      - 2
      - 0
    .max_flat_workgroup_size: 1024
    .name:           naive_conv_ab_nonpacked_wrw_ndhwc_half_double_half_0
    .private_segment_fixed_size: 0
    .sgpr_count:     94
    .sgpr_spill_count: 0
    .symbol:         naive_conv_ab_nonpacked_wrw_ndhwc_half_double_half_0.kd
    .uniform_work_group_size: 1
    .uses_dynamic_stack: false
    .vgpr_count:     26
    .vgpr_spill_count: 0
    .wavefront_size: 32
    .workgroup_processor_mode: 1
  - .args:
      - .actual_access:  read_only
        .address_space:  global
        .offset:         0
        .size:           8
        .value_kind:     global_buffer
      - .address_space:  global
        .offset:         8
        .size:           8
        .value_kind:     global_buffer
      - .offset:         16
        .size:           8
        .value_kind:     by_value
      - .offset:         24
        .size:           8
        .value_kind:     by_value
      - .actual_access:  read_only
        .address_space:  global
        .offset:         32
        .size:           8
        .value_kind:     global_buffer
      - .offset:         40
        .size:           48
        .value_kind:     by_value
      - .offset:         88
        .size:           48
        .value_kind:     by_value
      - .offset:         136
        .size:           48
        .value_kind:     by_value
      - .offset:         184
        .size:           4
        .value_kind:     by_value
      - .offset:         188
        .size:           4
        .value_kind:     by_value
      - .offset:         192
        .size:           4
        .value_kind:     by_value
      - .offset:         196
        .size:           4
        .value_kind:     by_value
      - .offset:         200
        .size:           4
        .value_kind:     by_value
      - .offset:         204
        .size:           4
        .value_kind:     by_value
      - .offset:         208
        .size:           4
        .value_kind:     by_value
      - .offset:         212
        .size:           4
        .value_kind:     by_value
      - .offset:         216
        .size:           4
        .value_kind:     by_value
      - .offset:         220
        .size:           4
        .value_kind:     by_value
      - .offset:         224
        .size:           4
        .value_kind:     by_value
      - .offset:         228
        .size:           4
        .value_kind:     by_value
      - .offset:         232
        .size:           4
        .value_kind:     by_value
      - .offset:         236
        .size:           4
        .value_kind:     by_value
      - .offset:         240
        .size:           4
        .value_kind:     by_value
      - .offset:         244
        .size:           4
        .value_kind:     by_value
      - .offset:         248
        .size:           4
        .value_kind:     by_value
      - .offset:         252
        .size:           4
        .value_kind:     by_value
      - .offset:         256
        .size:           4
        .value_kind:     by_value
      - .offset:         260
        .size:           4
        .value_kind:     by_value
      - .offset:         264
        .size:           4
        .value_kind:     by_value
      - .offset:         268
        .size:           4
        .value_kind:     by_value
      - .offset:         272
        .size:           4
        .value_kind:     hidden_block_count_x
      - .offset:         276
        .size:           4
        .value_kind:     hidden_block_count_y
      - .offset:         280
        .size:           4
        .value_kind:     hidden_block_count_z
      - .offset:         284
        .size:           2
        .value_kind:     hidden_group_size_x
      - .offset:         286
        .size:           2
        .value_kind:     hidden_group_size_y
      - .offset:         288
        .size:           2
        .value_kind:     hidden_group_size_z
      - .offset:         290
        .size:           2
        .value_kind:     hidden_remainder_x
      - .offset:         292
        .size:           2
        .value_kind:     hidden_remainder_y
      - .offset:         294
        .size:           2
        .value_kind:     hidden_remainder_z
      - .offset:         312
        .size:           8
        .value_kind:     hidden_global_offset_x
      - .offset:         320
        .size:           8
        .value_kind:     hidden_global_offset_y
      - .offset:         328
        .size:           8
        .value_kind:     hidden_global_offset_z
      - .offset:         336
        .size:           2
        .value_kind:     hidden_grid_dims
    .group_segment_fixed_size: 0
    .kernarg_segment_align: 8
    .kernarg_segment_size: 528
    .language:       OpenCL C
    .language_version:
      - 2
      - 0
    .max_flat_workgroup_size: 1024
    .name:           naive_conv_ab_packed_wrw_ndhwc_ushort_double_ushort_0
    .private_segment_fixed_size: 0
    .sgpr_count:     89
    .sgpr_spill_count: 0
    .symbol:         naive_conv_ab_packed_wrw_ndhwc_ushort_double_ushort_0.kd
    .uniform_work_group_size: 1
    .uses_dynamic_stack: false
    .vgpr_count:     22
    .vgpr_spill_count: 0
    .wavefront_size: 32
    .workgroup_processor_mode: 1
  - .args:
      - .actual_access:  read_only
        .address_space:  global
        .offset:         0
        .size:           8
        .value_kind:     global_buffer
      - .address_space:  global
        .offset:         8
        .size:           8
        .value_kind:     global_buffer
      - .offset:         16
        .size:           8
        .value_kind:     by_value
      - .offset:         24
        .size:           8
        .value_kind:     by_value
      - .actual_access:  read_only
        .address_space:  global
        .offset:         32
        .size:           8
        .value_kind:     global_buffer
      - .offset:         40
        .size:           48
        .value_kind:     by_value
      - .offset:         88
        .size:           48
        .value_kind:     by_value
      - .offset:         136
        .size:           48
        .value_kind:     by_value
      - .offset:         184
        .size:           4
        .value_kind:     by_value
      - .offset:         188
        .size:           4
        .value_kind:     by_value
      - .offset:         192
        .size:           4
        .value_kind:     by_value
      - .offset:         196
        .size:           4
        .value_kind:     by_value
      - .offset:         200
        .size:           4
        .value_kind:     by_value
      - .offset:         204
        .size:           4
        .value_kind:     by_value
      - .offset:         208
        .size:           4
        .value_kind:     by_value
      - .offset:         212
        .size:           4
        .value_kind:     by_value
      - .offset:         216
        .size:           4
        .value_kind:     by_value
      - .offset:         220
        .size:           4
        .value_kind:     by_value
      - .offset:         224
        .size:           4
        .value_kind:     by_value
      - .offset:         228
        .size:           4
        .value_kind:     by_value
      - .offset:         232
        .size:           4
        .value_kind:     by_value
      - .offset:         236
        .size:           4
        .value_kind:     by_value
      - .offset:         240
        .size:           4
        .value_kind:     by_value
      - .offset:         244
        .size:           4
        .value_kind:     by_value
      - .offset:         248
        .size:           4
        .value_kind:     by_value
      - .offset:         252
        .size:           4
        .value_kind:     by_value
      - .offset:         256
        .size:           4
        .value_kind:     by_value
      - .offset:         260
        .size:           4
        .value_kind:     by_value
      - .offset:         264
        .size:           4
        .value_kind:     by_value
      - .offset:         268
        .size:           4
        .value_kind:     by_value
      - .offset:         272
        .size:           4
        .value_kind:     hidden_block_count_x
      - .offset:         276
        .size:           4
        .value_kind:     hidden_block_count_y
      - .offset:         280
        .size:           4
        .value_kind:     hidden_block_count_z
      - .offset:         284
        .size:           2
        .value_kind:     hidden_group_size_x
      - .offset:         286
        .size:           2
        .value_kind:     hidden_group_size_y
      - .offset:         288
        .size:           2
        .value_kind:     hidden_group_size_z
      - .offset:         290
        .size:           2
        .value_kind:     hidden_remainder_x
      - .offset:         292
        .size:           2
        .value_kind:     hidden_remainder_y
      - .offset:         294
        .size:           2
        .value_kind:     hidden_remainder_z
      - .offset:         312
        .size:           8
        .value_kind:     hidden_global_offset_x
      - .offset:         320
        .size:           8
        .value_kind:     hidden_global_offset_y
      - .offset:         328
        .size:           8
        .value_kind:     hidden_global_offset_z
      - .offset:         336
        .size:           2
        .value_kind:     hidden_grid_dims
    .group_segment_fixed_size: 0
    .kernarg_segment_align: 8
    .kernarg_segment_size: 528
    .language:       OpenCL C
    .language_version:
      - 2
      - 0
    .max_flat_workgroup_size: 1024
    .name:           naive_conv_ab_nonpacked_wrw_ndhwc_ushort_double_ushort_0
    .private_segment_fixed_size: 0
    .sgpr_count:     94
    .sgpr_spill_count: 0
    .symbol:         naive_conv_ab_nonpacked_wrw_ndhwc_ushort_double_ushort_0.kd
    .uniform_work_group_size: 1
    .uses_dynamic_stack: false
    .vgpr_count:     24
    .vgpr_spill_count: 0
    .wavefront_size: 32
    .workgroup_processor_mode: 1
amdhsa.target:   amdgcn-amd-amdhsa--gfx1201
amdhsa.version:
  - 1
  - 2
...

	.end_amdgpu_metadata
